;; amdgpu-corpus repo=ROCm/rocSPARSE kind=compiled arch=gfx90a opt=O3
	.text
	.amdgcn_target "amdgcn-amd-amdhsa--gfx90a"
	.amdhsa_code_object_version 6
	.section	.text._ZN9rocsparseL35bsr2csr_block_dim_equals_one_kernelILj1024EiiiEEvT2_S1_21rocsparse_index_base_PKT0_PKT1_PKS1_S2_PS3_PS6_PS1_,"axG",@progbits,_ZN9rocsparseL35bsr2csr_block_dim_equals_one_kernelILj1024EiiiEEvT2_S1_21rocsparse_index_base_PKT0_PKT1_PKS1_S2_PS3_PS6_PS1_,comdat
	.globl	_ZN9rocsparseL35bsr2csr_block_dim_equals_one_kernelILj1024EiiiEEvT2_S1_21rocsparse_index_base_PKT0_PKT1_PKS1_S2_PS3_PS6_PS1_ ; -- Begin function _ZN9rocsparseL35bsr2csr_block_dim_equals_one_kernelILj1024EiiiEEvT2_S1_21rocsparse_index_base_PKT0_PKT1_PKS1_S2_PS3_PS6_PS1_
	.p2align	8
	.type	_ZN9rocsparseL35bsr2csr_block_dim_equals_one_kernelILj1024EiiiEEvT2_S1_21rocsparse_index_base_PKT0_PKT1_PKS1_S2_PS3_PS6_PS1_,@function
_ZN9rocsparseL35bsr2csr_block_dim_equals_one_kernelILj1024EiiiEEvT2_S1_21rocsparse_index_base_PKT0_PKT1_PKS1_S2_PS3_PS6_PS1_: ; @_ZN9rocsparseL35bsr2csr_block_dim_equals_one_kernelILj1024EiiiEEvT2_S1_21rocsparse_index_base_PKT0_PKT1_PKS1_S2_PS3_PS6_PS1_
; %bb.0:
	v_lshl_or_b32 v0, s6, 10, v0
	s_load_dword s14, s[4:5], 0x0
	s_load_dword s20, s[4:5], 0x8
	s_load_dwordx4 s[0:3], s[4:5], 0x10
	s_load_dwordx2 s[8:9], s[4:5], 0x20
	s_load_dword s21, s[4:5], 0x28
	s_load_dwordx2 s[10:11], s[4:5], 0x40
	s_load_dwordx2 s[12:13], s[4:5], 0x30
	s_waitcnt lgkmcnt(0)
	v_cmp_gt_i32_e32 vcc, s14, v0
	s_and_saveexec_b64 s[6:7], vcc
	s_cbranch_execz .LBB0_6
; %bb.1:
	s_load_dwordx2 s[16:17], s[4:5], 0x38
	v_cmp_ne_u32_e32 vcc, 0, v0
                                        ; implicit-def: $sgpr15
	s_and_saveexec_b64 s[18:19], vcc
	s_xor_b64 s[18:19], exec, s[18:19]
; %bb.2:
	s_sub_i32 s15, s21, s20
; %bb.3:
	s_or_saveexec_b64 s[18:19], s[18:19]
	v_mov_b32_e32 v2, s15
	s_xor_b64 exec, exec, s[18:19]
	s_cbranch_execz .LBB0_5
; %bb.4:
	s_load_dword s15, s[2:3], 0x0
	s_sub_i32 s22, s21, s20
	v_mov_b32_e32 v1, 0
	s_waitcnt lgkmcnt(0)
	s_add_i32 s15, s22, s15
	v_mov_b32_e32 v2, s15
	global_store_dword v1, v2, s[16:17]
	v_mov_b32_e32 v2, s22
.LBB0_5:
	s_or_b64 exec, exec, s[18:19]
	v_ashrrev_i32_e32 v1, 31, v0
	v_lshlrev_b64 v[4:5], 2, v[0:1]
	v_mov_b32_e32 v1, s3
	v_add_co_u32_e32 v6, vcc, s2, v4
	v_addc_co_u32_e32 v7, vcc, v1, v5, vcc
	global_load_dword v1, v[6:7], off offset:4
	s_waitcnt lgkmcnt(0)
	v_mov_b32_e32 v3, s17
	s_waitcnt vmcnt(0)
	v_add_u32_e32 v1, v2, v1
	v_add_co_u32_e32 v2, vcc, s16, v4
	v_addc_co_u32_e32 v3, vcc, v3, v5, vcc
	global_store_dword v[2:3], v1, off offset:4
.LBB0_6:
	s_or_b64 exec, exec, s[6:7]
	s_ashr_i32 s15, s14, 31
	s_lshl_b64 s[6:7], s[14:15], 2
	s_add_u32 s6, s2, s6
	s_addc_u32 s7, s3, s7
	s_load_dword s14, s[6:7], 0x0
	s_load_dword s15, s[2:3], 0x0
	s_waitcnt lgkmcnt(0)
	s_sub_i32 s6, s14, s15
	v_cmp_gt_i32_e32 vcc, s6, v0
	s_and_saveexec_b64 s[2:3], vcc
	s_cbranch_execz .LBB0_9
; %bb.7:
	s_load_dword s5, s[4:5], 0x48
	s_sub_i32 s4, s21, s20
	s_mov_b64 s[2:3], 0
	v_mov_b32_e32 v2, s9
	v_mov_b32_e32 v3, s11
	s_waitcnt lgkmcnt(0)
	s_lshl_b32 s5, s5, 10
	v_mov_b32_e32 v4, s1
	v_mov_b32_e32 v5, s13
.LBB0_8:                                ; =>This Inner Loop Header: Depth=1
	v_ashrrev_i32_e32 v1, 31, v0
	v_lshlrev_b64 v[6:7], 2, v[0:1]
	v_add_co_u32_e32 v8, vcc, s8, v6
	v_addc_co_u32_e32 v9, vcc, v2, v7, vcc
	global_load_dword v1, v[8:9], off
	v_add_co_u32_e32 v8, vcc, s0, v6
	v_addc_co_u32_e32 v9, vcc, v4, v7, vcc
	global_load_dword v10, v[8:9], off
	v_add_co_u32_e32 v8, vcc, s10, v6
	v_addc_co_u32_e32 v9, vcc, v3, v7, vcc
	v_add_co_u32_e32 v6, vcc, s12, v6
	v_add_u32_e32 v0, s5, v0
	v_addc_co_u32_e32 v7, vcc, v5, v7, vcc
	v_cmp_le_i32_e32 vcc, s6, v0
	s_or_b64 s[2:3], vcc, s[2:3]
	s_waitcnt vmcnt(1)
	v_add_u32_e32 v1, s4, v1
	global_store_dword v[8:9], v1, off
	s_waitcnt vmcnt(1)
	global_store_dword v[6:7], v10, off
	s_andn2_b64 exec, exec, s[2:3]
	s_cbranch_execnz .LBB0_8
.LBB0_9:
	s_endpgm
	.section	.rodata,"a",@progbits
	.p2align	6, 0x0
	.amdhsa_kernel _ZN9rocsparseL35bsr2csr_block_dim_equals_one_kernelILj1024EiiiEEvT2_S1_21rocsparse_index_base_PKT0_PKT1_PKS1_S2_PS3_PS6_PS1_
		.amdhsa_group_segment_fixed_size 0
		.amdhsa_private_segment_fixed_size 0
		.amdhsa_kernarg_size 328
		.amdhsa_user_sgpr_count 6
		.amdhsa_user_sgpr_private_segment_buffer 1
		.amdhsa_user_sgpr_dispatch_ptr 0
		.amdhsa_user_sgpr_queue_ptr 0
		.amdhsa_user_sgpr_kernarg_segment_ptr 1
		.amdhsa_user_sgpr_dispatch_id 0
		.amdhsa_user_sgpr_flat_scratch_init 0
		.amdhsa_user_sgpr_kernarg_preload_length 0
		.amdhsa_user_sgpr_kernarg_preload_offset 0
		.amdhsa_user_sgpr_private_segment_size 0
		.amdhsa_uses_dynamic_stack 0
		.amdhsa_system_sgpr_private_segment_wavefront_offset 0
		.amdhsa_system_sgpr_workgroup_id_x 1
		.amdhsa_system_sgpr_workgroup_id_y 0
		.amdhsa_system_sgpr_workgroup_id_z 0
		.amdhsa_system_sgpr_workgroup_info 0
		.amdhsa_system_vgpr_workitem_id 0
		.amdhsa_next_free_vgpr 11
		.amdhsa_next_free_sgpr 23
		.amdhsa_accum_offset 12
		.amdhsa_reserve_vcc 1
		.amdhsa_reserve_flat_scratch 0
		.amdhsa_float_round_mode_32 0
		.amdhsa_float_round_mode_16_64 0
		.amdhsa_float_denorm_mode_32 3
		.amdhsa_float_denorm_mode_16_64 3
		.amdhsa_dx10_clamp 1
		.amdhsa_ieee_mode 1
		.amdhsa_fp16_overflow 0
		.amdhsa_tg_split 0
		.amdhsa_exception_fp_ieee_invalid_op 0
		.amdhsa_exception_fp_denorm_src 0
		.amdhsa_exception_fp_ieee_div_zero 0
		.amdhsa_exception_fp_ieee_overflow 0
		.amdhsa_exception_fp_ieee_underflow 0
		.amdhsa_exception_fp_ieee_inexact 0
		.amdhsa_exception_int_div_zero 0
	.end_amdhsa_kernel
	.section	.text._ZN9rocsparseL35bsr2csr_block_dim_equals_one_kernelILj1024EiiiEEvT2_S1_21rocsparse_index_base_PKT0_PKT1_PKS1_S2_PS3_PS6_PS1_,"axG",@progbits,_ZN9rocsparseL35bsr2csr_block_dim_equals_one_kernelILj1024EiiiEEvT2_S1_21rocsparse_index_base_PKT0_PKT1_PKS1_S2_PS3_PS6_PS1_,comdat
.Lfunc_end0:
	.size	_ZN9rocsparseL35bsr2csr_block_dim_equals_one_kernelILj1024EiiiEEvT2_S1_21rocsparse_index_base_PKT0_PKT1_PKS1_S2_PS3_PS6_PS1_, .Lfunc_end0-_ZN9rocsparseL35bsr2csr_block_dim_equals_one_kernelILj1024EiiiEEvT2_S1_21rocsparse_index_base_PKT0_PKT1_PKS1_S2_PS3_PS6_PS1_
                                        ; -- End function
	.section	.AMDGPU.csdata,"",@progbits
; Kernel info:
; codeLenInByte = 436
; NumSgprs: 27
; NumVgprs: 11
; NumAgprs: 0
; TotalNumVgprs: 11
; ScratchSize: 0
; MemoryBound: 0
; FloatMode: 240
; IeeeMode: 1
; LDSByteSize: 0 bytes/workgroup (compile time only)
; SGPRBlocks: 3
; VGPRBlocks: 1
; NumSGPRsForWavesPerEU: 27
; NumVGPRsForWavesPerEU: 11
; AccumOffset: 12
; Occupancy: 8
; WaveLimiterHint : 0
; COMPUTE_PGM_RSRC2:SCRATCH_EN: 0
; COMPUTE_PGM_RSRC2:USER_SGPR: 6
; COMPUTE_PGM_RSRC2:TRAP_HANDLER: 0
; COMPUTE_PGM_RSRC2:TGID_X_EN: 1
; COMPUTE_PGM_RSRC2:TGID_Y_EN: 0
; COMPUTE_PGM_RSRC2:TGID_Z_EN: 0
; COMPUTE_PGM_RSRC2:TIDIG_COMP_CNT: 0
; COMPUTE_PGM_RSRC3_GFX90A:ACCUM_OFFSET: 2
; COMPUTE_PGM_RSRC3_GFX90A:TG_SPLIT: 0
	.section	.text._ZN9rocsparseL32bsr2csr_block_per_row_2_7_kernelILj256ELj2EiiiEEv20rocsparse_direction_T3_S2_21rocsparse_index_base_PKT1_PKT2_PKS2_S2_S3_PS4_PS7_PS2_,"axG",@progbits,_ZN9rocsparseL32bsr2csr_block_per_row_2_7_kernelILj256ELj2EiiiEEv20rocsparse_direction_T3_S2_21rocsparse_index_base_PKT1_PKT2_PKS2_S2_S3_PS4_PS7_PS2_,comdat
	.globl	_ZN9rocsparseL32bsr2csr_block_per_row_2_7_kernelILj256ELj2EiiiEEv20rocsparse_direction_T3_S2_21rocsparse_index_base_PKT1_PKT2_PKS2_S2_S3_PS4_PS7_PS2_ ; -- Begin function _ZN9rocsparseL32bsr2csr_block_per_row_2_7_kernelILj256ELj2EiiiEEv20rocsparse_direction_T3_S2_21rocsparse_index_base_PKT1_PKT2_PKS2_S2_S3_PS4_PS7_PS2_
	.p2align	8
	.type	_ZN9rocsparseL32bsr2csr_block_per_row_2_7_kernelILj256ELj2EiiiEEv20rocsparse_direction_T3_S2_21rocsparse_index_base_PKT1_PKT2_PKS2_S2_S3_PS4_PS7_PS2_,@function
_ZN9rocsparseL32bsr2csr_block_per_row_2_7_kernelILj256ELj2EiiiEEv20rocsparse_direction_T3_S2_21rocsparse_index_base_PKT1_PKT2_PKS2_S2_S3_PS4_PS7_PS2_: ; @_ZN9rocsparseL32bsr2csr_block_per_row_2_7_kernelILj256ELj2EiiiEEv20rocsparse_direction_T3_S2_21rocsparse_index_base_PKT1_PKT2_PKS2_S2_S3_PS4_PS7_PS2_
; %bb.0:
	s_load_dwordx2 s[2:3], s[4:5], 0x18
	s_load_dword s26, s[4:5], 0x2c
	s_load_dwordx2 s[0:1], s[4:5], 0x38
	s_ashr_i32 s7, s6, 31
	s_lshl_b64 s[8:9], s[6:7], 2
	s_waitcnt lgkmcnt(0)
	s_add_u32 s2, s2, s8
	s_addc_u32 s3, s3, s9
	s_load_dwordx2 s[20:21], s[2:3], 0x0
	v_or_b32_e32 v1, s6, v0
	v_cmp_eq_u32_e32 vcc, 0, v1
	s_and_saveexec_b64 s[2:3], vcc
	s_cbranch_execz .LBB1_2
; %bb.1:
	v_mov_b32_e32 v1, 0
	v_mov_b32_e32 v2, s26
	global_store_dword v1, v2, s[0:1]
.LBB1_2:
	s_or_b64 exec, exec, s[2:3]
	s_load_dword s27, s[4:5], 0xc
	v_and_b32_e32 v4, 1, v0
	v_lshl_or_b32 v2, s6, 1, v4
	v_add_u32_e32 v2, 1, v2
	v_mov_b32_e32 v3, 0
	s_waitcnt lgkmcnt(0)
	s_sub_i32 s28, s20, s27
	s_sub_i32 s21, s21, s27
	s_sub_i32 s2, s21, s28
	s_lshl_b32 s2, s2, 1
	v_mul_lo_u32 v9, s2, v4
	v_lshlrev_b64 v[2:3], 2, v[2:3]
	s_add_i32 s2, s2, s26
	v_lshl_add_u32 v6, s28, 2, v9
	v_mov_b32_e32 v7, s1
	v_add_co_u32_e32 v2, vcc, s0, v2
	v_lshrrev_b32_e32 v1, 1, v0
	v_add_u32_e32 v5, s2, v6
	v_addc_co_u32_e32 v3, vcc, v7, v3, vcc
	global_store_dword v[2:3], v5, off
	v_add_u32_e32 v2, s28, v1
	v_cmp_gt_i32_e32 vcc, s21, v2
	s_and_saveexec_b64 s[0:1], vcc
	s_cbranch_execz .LBB1_12
; %bb.3:
	s_load_dwordx2 s[12:13], s[4:5], 0x20
	s_load_dwordx2 s[14:15], s[4:5], 0x30
	s_load_dword s0, s[4:5], 0x0
	s_load_dwordx2 s[16:17], s[4:5], 0x10
	s_load_dwordx2 s[18:19], s[4:5], 0x40
	v_add_u32_e32 v3, s20, v1
	v_subrev_u32_e32 v3, s27, v3
	s_waitcnt lgkmcnt(0)
	s_cmp_eq_u32 s0, 0
	s_cselect_b64 vcc, -1, 0
	v_add_u32_e32 v3, 0x80, v3
	s_not_b32 s0, s20
	v_max_i32_e32 v3, s21, v3
	s_add_i32 s0, s0, s27
	v_add_u32_e32 v3, s0, v3
	v_sub_u32_e32 v1, v3, v1
	s_movk_i32 s0, 0x2a80
	v_cmp_gt_u32_e64 s[22:23], s0, v1
	s_movk_i32 s0, 0x2a7f
	v_lshlrev_b32_e32 v8, 1, v4
	v_cmp_lt_u32_e64 s[0:1], s0, v1
	s_and_saveexec_b64 s[24:25], s[0:1]
	s_cbranch_execz .LBB1_9
; %bb.4:
	s_lshl_b32 s0, s20, 2
	v_and_b32_e32 v0, 0xfe, v0
	v_add3_u32 v0, v9, s0, v0
	s_lshl_b32 s2, s27, 2
	v_lshrrev_b32_e32 v10, 7, v1
	v_subrev_u32_e32 v12, s2, v0
	v_or_b32_e32 v0, 1, v0
	v_lshlrev_b32_e32 v3, 8, v10
	v_subrev_u32_e32 v0, s2, v0
	v_add_u32_e32 v5, v12, v3
	v_add_u32_e32 v3, v0, v3
	v_ashrrev_i32_e32 v13, 31, v12
	v_cmp_ge_i32_e64 s[0:1], v5, v12
	v_cmp_ge_i32_e64 s[4:5], v3, v0
	v_lshlrev_b64 v[12:13], 2, v[12:13]
	s_and_b64 s[30:31], s[4:5], s[0:1]
	v_mov_b32_e32 v0, s19
	v_add_co_u32_e64 v14, s[0:1], s18, v12
	v_mov_b32_e32 v11, 0
	v_addc_co_u32_e64 v15, s[0:1], v0, v13, s[0:1]
	v_lshlrev_b64 v[16:17], 10, v[10:11]
	v_add_co_u32_e64 v18, s[0:1], v14, v16
	v_addc_co_u32_e64 v19, s[0:1], v15, v17, s[0:1]
	v_cmp_ge_u64_e64 s[0:1], v[18:19], v[14:15]
	v_add_co_u32_e64 v14, s[4:5], 4, v14
	v_addc_co_u32_e64 v15, s[4:5], 0, v15, s[4:5]
	v_add_co_u32_e64 v18, s[4:5], 4, v18
	v_mov_b32_e32 v0, s15
	v_add_co_u32_e64 v12, s[6:7], s14, v12
	v_addc_co_u32_e64 v19, s[4:5], 0, v19, s[4:5]
	v_addc_co_u32_e64 v13, s[6:7], v0, v13, s[6:7]
	v_cmp_ge_u64_e64 s[4:5], v[18:19], v[14:15]
	v_add_co_u32_e64 v14, s[6:7], v12, v16
	v_addc_co_u32_e64 v15, s[6:7], v13, v17, s[6:7]
	v_cmp_lt_i32_e64 s[2:3], -1, v1
	v_cmp_ge_u64_e64 s[6:7], v[14:15], v[12:13]
	v_add_co_u32_e64 v12, s[8:9], 4, v12
	v_addc_co_u32_e64 v13, s[8:9], 0, v13, s[8:9]
	s_and_b64 s[2:3], s[30:31], s[2:3]
	v_add_co_u32_e64 v14, s[8:9], 4, v14
	s_and_b64 s[0:1], s[2:3], s[0:1]
	v_addc_co_u32_e64 v15, s[8:9], 0, v15, s[8:9]
	v_and_b32_e32 v0, 0xffffff80, v1
	s_and_b64 s[0:1], s[0:1], s[4:5]
	v_cmp_ge_u64_e64 s[8:9], v[14:15], v[12:13]
	v_add_u32_e32 v0, v2, v0
	s_and_b64 s[0:1], s[0:1], s[6:7]
	v_cmp_ge_i32_e64 s[10:11], v0, v2
	s_and_b64 s[0:1], s[0:1], s[8:9]
	s_and_b64 s[4:5], s[0:1], s[10:11]
	s_mov_b64 s[0:1], -1
	s_and_saveexec_b64 s[2:3], s[4:5]
	s_cbranch_execz .LBB1_8
; %bb.5:
	v_add_u32_e32 v0, 1, v10
	v_and_b32_e32 v14, 0x3fffffe, v0
	v_add_u32_e32 v3, 0x80, v2
	s_mov_b32 s6, s27
	s_mov_b32 s7, s28
	v_mov_b32_e32 v1, v6
	s_mov_b32 s8, s26
	v_mov_b32_e32 v5, v8
	v_mov_b32_e32 v7, v4
	s_mov_b64 s[4:5], 0
	v_mov_b32_e32 v15, s13
	v_mov_b32_e32 v16, s19
	;; [unrolled: 1-line block ×5, first 2 shown]
	v_pk_mov_b32 v[12:13], v[2:3], v[2:3] op_sel:[0,1]
.LBB1_6:                                ; =>This Inner Loop Header: Depth=1
	v_ashrrev_i32_e32 v23, 31, v12
	v_mov_b32_e32 v22, v12
	v_lshlrev_b64 v[22:23], 2, v[22:23]
	v_ashrrev_i32_e32 v21, 31, v13
	v_mov_b32_e32 v20, v13
	v_add_co_u32_e64 v22, s[0:1], s12, v22
	v_lshlrev_b32_e32 v10, 2, v12
	v_lshlrev_b64 v[20:21], 2, v[20:21]
	v_addc_co_u32_e64 v23, s[0:1], v15, v23, s[0:1]
	v_or_b32_e32 v26, v10, v8
	v_or_b32_e32 v29, v10, v4
	v_add_co_u32_e64 v20, s[0:1], s12, v20
	v_lshlrev_b32_e32 v3, 2, v13
	v_addc_co_u32_e64 v21, s[0:1], v15, v21, s[0:1]
	v_cndmask_b32_e32 v10, v29, v26, vcc
	v_or_b32_e32 v28, v3, v5
	v_or_b32_e32 v3, v3, v7
	global_load_dword v36, v[22:23], off
	global_load_dword v37, v[20:21], off
	v_lshlrev_b64 v[20:21], 2, v[10:11]
	v_mov_b32_e32 v25, v11
	v_cndmask_b32_e32 v24, v3, v28, vcc
	v_add_co_u32_e64 v20, s[0:1], s16, v20
	v_or_b32_e32 v30, 1, v26
	v_or_b32_e32 v26, 1, v28
	;; [unrolled: 1-line block ×3, first 2 shown]
	v_lshlrev_b64 v[22:23], 2, v[24:25]
	v_addc_co_u32_e64 v21, s[0:1], v17, v21, s[0:1]
	v_cndmask_b32_e32 v10, v28, v30, vcc
	v_add_co_u32_e64 v22, s[0:1], s16, v22
	v_or_b32_e32 v3, 2, v3
	v_addc_co_u32_e64 v23, s[0:1], v17, v23, s[0:1]
	v_lshlrev_b64 v[24:25], 2, v[10:11]
	v_mov_b32_e32 v27, v11
	v_cndmask_b32_e32 v26, v3, v26, vcc
	global_load_dword v3, v[20:21], off
	global_load_dword v10, v[22:23], off
	v_add_co_u32_e64 v20, s[0:1], s16, v24
	v_lshlrev_b64 v[26:27], 2, v[26:27]
	v_addc_co_u32_e64 v21, s[0:1], v17, v25, s[0:1]
	v_add_co_u32_e64 v22, s[0:1], s16, v26
	v_addc_co_u32_e64 v23, s[0:1], v17, v27, s[0:1]
	global_load_dword v38, v[20:21], off
	global_load_dword v39, v[22:23], off
	v_subrev_u32_e32 v20, s28, v12
	v_subrev_u32_e32 v21, s7, v13
	v_lshl_add_u32 v20, v20, 1, v6
	v_add_u32_e32 v19, -2, v19
	v_lshl_add_u32 v22, v21, 1, v1
	v_ashrrev_i32_e32 v21, 31, v20
	v_cmp_eq_u32_e64 s[0:1], 0, v19
	v_or_b32_e32 v24, 1, v20
	v_lshlrev_b64 v[20:21], 2, v[20:21]
	v_ashrrev_i32_e32 v23, 31, v22
	s_or_b64 s[4:5], s[0:1], s[4:5]
	v_add_co_u32_e64 v28, s[0:1], s18, v20
	v_or_b32_e32 v26, 1, v22
	v_lshlrev_b64 v[22:23], 2, v[22:23]
	v_addc_co_u32_e64 v29, s[0:1], v16, v21, s[0:1]
	v_add_co_u32_e64 v30, s[0:1], s18, v22
	v_addc_co_u32_e64 v31, s[0:1], v16, v23, s[0:1]
	v_add_co_u32_e64 v20, s[0:1], s14, v20
	v_addc_co_u32_e64 v21, s[0:1], v18, v21, s[0:1]
	v_ashrrev_i32_e32 v25, 31, v24
	v_add_co_u32_e64 v22, s[0:1], s14, v22
	v_addc_co_u32_e64 v23, s[0:1], v18, v23, s[0:1]
	v_lshlrev_b64 v[24:25], 2, v[24:25]
	v_ashrrev_i32_e32 v27, 31, v26
	v_add_co_u32_e64 v32, s[0:1], s18, v24
	v_lshlrev_b64 v[26:27], 2, v[26:27]
	v_addc_co_u32_e64 v33, s[0:1], v16, v25, s[0:1]
	v_add_co_u32_e64 v34, s[0:1], s18, v26
	v_addc_co_u32_e64 v35, s[0:1], v16, v27, s[0:1]
	v_add_co_u32_e64 v24, s[0:1], s14, v24
	v_addc_co_u32_e64 v25, s[0:1], v18, v25, s[0:1]
	v_add_u32_e32 v13, 0x100, v13
	v_add_u32_e32 v12, 0x100, v12
	s_waitcnt vmcnt(5)
	v_subrev_u32_e32 v36, s27, v36
	s_waitcnt vmcnt(4)
	v_subrev_u32_e32 v37, s6, v37
	v_lshl_add_u32 v36, v36, 1, s26
	v_add_co_u32_e64 v26, s[0:1], s14, v26
	v_lshl_add_u32 v37, v37, 1, s8
	global_store_dword v[28:29], v36, off
	global_store_dword v[30:31], v37, off
	s_waitcnt vmcnt(5)
	global_store_dword v[20:21], v3, off
	s_waitcnt vmcnt(5)
	global_store_dword v[22:23], v10, off
	v_add_u32_e32 v10, 1, v36
	v_addc_co_u32_e64 v27, s[0:1], v18, v27, s[0:1]
	v_add_u32_e32 v3, 1, v37
	global_store_dword v[32:33], v10, off
	global_store_dword v[34:35], v3, off
	s_waitcnt vmcnt(7)
	global_store_dword v[24:25], v38, off
	s_waitcnt vmcnt(7)
	global_store_dword v[26:27], v39, off
	s_andn2_b64 exec, exec, s[4:5]
	s_cbranch_execnz .LBB1_6
; %bb.7:
	s_or_b64 exec, exec, s[4:5]
	v_cmp_ne_u32_e64 s[0:1], v0, v14
	v_lshl_add_u32 v2, v14, 7, v2
	s_orn2_b64 s[0:1], s[0:1], exec
.LBB1_8:
	s_or_b64 exec, exec, s[2:3]
	s_andn2_b64 s[2:3], s[22:23], exec
	s_and_b64 s[0:1], s[0:1], exec
	s_or_b64 s[22:23], s[2:3], s[0:1]
.LBB1_9:
	s_or_b64 exec, exec, s[24:25]
	s_and_b64 exec, exec, s[22:23]
	s_cbranch_execz .LBB1_12
; %bb.10:
	v_add_u32_e32 v0, s20, v2
	v_lshl_add_u32 v0, v0, 1, v9
	s_lshl_b32 s0, s27, 1
	v_lshlrev_b32_e32 v1, 2, v2
	v_subrev_u32_e32 v0, s0, v0
	v_or_b32_e32 v6, v1, v8
	v_or_b32_e32 v7, v1, v4
	s_mov_b64 s[2:3], 0
	v_mov_b32_e32 v8, s13
	v_mov_b32_e32 v9, s19
	;; [unrolled: 1-line block ×5, first 2 shown]
.LBB1_11:                               ; =>This Inner Loop Header: Depth=1
	v_ashrrev_i32_e32 v3, 31, v2
	v_lshlrev_b64 v[12:13], 2, v[2:3]
	v_cndmask_b32_e32 v4, v7, v6, vcc
	v_add_co_u32_e64 v12, s[0:1], s12, v12
	v_add_u32_e32 v1, 1, v6
	v_add_u32_e32 v16, 2, v7
	v_lshlrev_b64 v[14:15], 2, v[4:5]
	v_addc_co_u32_e64 v13, s[0:1], v8, v13, s[0:1]
	v_cndmask_b32_e32 v4, v16, v1, vcc
	v_add_co_u32_e64 v14, s[0:1], s16, v14
	global_load_dword v3, v[12:13], off
	v_addc_co_u32_e64 v15, s[0:1], v10, v15, s[0:1]
	v_lshlrev_b64 v[16:17], 2, v[4:5]
	v_add_co_u32_e64 v12, s[0:1], s16, v16
	v_addc_co_u32_e64 v13, s[0:1], v10, v17, s[0:1]
	global_load_dword v16, v[14:15], off
	global_load_dword v17, v[12:13], off
	v_ashrrev_i32_e32 v1, 31, v0
	v_lshlrev_b64 v[12:13], 2, v[0:1]
	v_add_co_u32_e64 v14, s[0:1], s18, v12
	v_addc_co_u32_e64 v15, s[0:1], v9, v13, s[0:1]
	v_add_co_u32_e64 v12, s[0:1], s14, v12
	v_add_u32_e32 v2, 0x80, v2
	v_addc_co_u32_e64 v13, s[0:1], v11, v13, s[0:1]
	v_cmp_le_i32_e64 s[0:1], s21, v2
	v_add_u32_e32 v6, 0x200, v6
	v_add_u32_e32 v7, 0x200, v7
	v_add_u32_e32 v0, 0x100, v0
	s_or_b64 s[2:3], s[0:1], s[2:3]
	s_waitcnt vmcnt(2)
	v_subrev_u32_e32 v1, s27, v3
	v_lshl_add_u32 v18, v1, 1, s26
	v_add_u32_e32 v19, 1, v18
	global_store_dwordx2 v[14:15], v[18:19], off
	s_waitcnt vmcnt(1)
	global_store_dwordx2 v[12:13], v[16:17], off
	s_andn2_b64 exec, exec, s[2:3]
	s_cbranch_execnz .LBB1_11
.LBB1_12:
	s_endpgm
	.section	.rodata,"a",@progbits
	.p2align	6, 0x0
	.amdhsa_kernel _ZN9rocsparseL32bsr2csr_block_per_row_2_7_kernelILj256ELj2EiiiEEv20rocsparse_direction_T3_S2_21rocsparse_index_base_PKT1_PKT2_PKS2_S2_S3_PS4_PS7_PS2_
		.amdhsa_group_segment_fixed_size 0
		.amdhsa_private_segment_fixed_size 0
		.amdhsa_kernarg_size 72
		.amdhsa_user_sgpr_count 6
		.amdhsa_user_sgpr_private_segment_buffer 1
		.amdhsa_user_sgpr_dispatch_ptr 0
		.amdhsa_user_sgpr_queue_ptr 0
		.amdhsa_user_sgpr_kernarg_segment_ptr 1
		.amdhsa_user_sgpr_dispatch_id 0
		.amdhsa_user_sgpr_flat_scratch_init 0
		.amdhsa_user_sgpr_kernarg_preload_length 0
		.amdhsa_user_sgpr_kernarg_preload_offset 0
		.amdhsa_user_sgpr_private_segment_size 0
		.amdhsa_uses_dynamic_stack 0
		.amdhsa_system_sgpr_private_segment_wavefront_offset 0
		.amdhsa_system_sgpr_workgroup_id_x 1
		.amdhsa_system_sgpr_workgroup_id_y 0
		.amdhsa_system_sgpr_workgroup_id_z 0
		.amdhsa_system_sgpr_workgroup_info 0
		.amdhsa_system_vgpr_workitem_id 0
		.amdhsa_next_free_vgpr 40
		.amdhsa_next_free_sgpr 32
		.amdhsa_accum_offset 40
		.amdhsa_reserve_vcc 1
		.amdhsa_reserve_flat_scratch 0
		.amdhsa_float_round_mode_32 0
		.amdhsa_float_round_mode_16_64 0
		.amdhsa_float_denorm_mode_32 3
		.amdhsa_float_denorm_mode_16_64 3
		.amdhsa_dx10_clamp 1
		.amdhsa_ieee_mode 1
		.amdhsa_fp16_overflow 0
		.amdhsa_tg_split 0
		.amdhsa_exception_fp_ieee_invalid_op 0
		.amdhsa_exception_fp_denorm_src 0
		.amdhsa_exception_fp_ieee_div_zero 0
		.amdhsa_exception_fp_ieee_overflow 0
		.amdhsa_exception_fp_ieee_underflow 0
		.amdhsa_exception_fp_ieee_inexact 0
		.amdhsa_exception_int_div_zero 0
	.end_amdhsa_kernel
	.section	.text._ZN9rocsparseL32bsr2csr_block_per_row_2_7_kernelILj256ELj2EiiiEEv20rocsparse_direction_T3_S2_21rocsparse_index_base_PKT1_PKT2_PKS2_S2_S3_PS4_PS7_PS2_,"axG",@progbits,_ZN9rocsparseL32bsr2csr_block_per_row_2_7_kernelILj256ELj2EiiiEEv20rocsparse_direction_T3_S2_21rocsparse_index_base_PKT1_PKT2_PKS2_S2_S3_PS4_PS7_PS2_,comdat
.Lfunc_end1:
	.size	_ZN9rocsparseL32bsr2csr_block_per_row_2_7_kernelILj256ELj2EiiiEEv20rocsparse_direction_T3_S2_21rocsparse_index_base_PKT1_PKT2_PKS2_S2_S3_PS4_PS7_PS2_, .Lfunc_end1-_ZN9rocsparseL32bsr2csr_block_per_row_2_7_kernelILj256ELj2EiiiEEv20rocsparse_direction_T3_S2_21rocsparse_index_base_PKT1_PKT2_PKS2_S2_S3_PS4_PS7_PS2_
                                        ; -- End function
	.section	.AMDGPU.csdata,"",@progbits
; Kernel info:
; codeLenInByte = 1740
; NumSgprs: 36
; NumVgprs: 40
; NumAgprs: 0
; TotalNumVgprs: 40
; ScratchSize: 0
; MemoryBound: 0
; FloatMode: 240
; IeeeMode: 1
; LDSByteSize: 0 bytes/workgroup (compile time only)
; SGPRBlocks: 4
; VGPRBlocks: 4
; NumSGPRsForWavesPerEU: 36
; NumVGPRsForWavesPerEU: 40
; AccumOffset: 40
; Occupancy: 8
; WaveLimiterHint : 0
; COMPUTE_PGM_RSRC2:SCRATCH_EN: 0
; COMPUTE_PGM_RSRC2:USER_SGPR: 6
; COMPUTE_PGM_RSRC2:TRAP_HANDLER: 0
; COMPUTE_PGM_RSRC2:TGID_X_EN: 1
; COMPUTE_PGM_RSRC2:TGID_Y_EN: 0
; COMPUTE_PGM_RSRC2:TGID_Z_EN: 0
; COMPUTE_PGM_RSRC2:TIDIG_COMP_CNT: 0
; COMPUTE_PGM_RSRC3_GFX90A:ACCUM_OFFSET: 9
; COMPUTE_PGM_RSRC3_GFX90A:TG_SPLIT: 0
	.section	.text._ZN9rocsparseL32bsr2csr_block_per_row_2_7_kernelILj256ELj3EiiiEEv20rocsparse_direction_T3_S2_21rocsparse_index_base_PKT1_PKT2_PKS2_S2_S3_PS4_PS7_PS2_,"axG",@progbits,_ZN9rocsparseL32bsr2csr_block_per_row_2_7_kernelILj256ELj3EiiiEEv20rocsparse_direction_T3_S2_21rocsparse_index_base_PKT1_PKT2_PKS2_S2_S3_PS4_PS7_PS2_,comdat
	.globl	_ZN9rocsparseL32bsr2csr_block_per_row_2_7_kernelILj256ELj3EiiiEEv20rocsparse_direction_T3_S2_21rocsparse_index_base_PKT1_PKT2_PKS2_S2_S3_PS4_PS7_PS2_ ; -- Begin function _ZN9rocsparseL32bsr2csr_block_per_row_2_7_kernelILj256ELj3EiiiEEv20rocsparse_direction_T3_S2_21rocsparse_index_base_PKT1_PKT2_PKS2_S2_S3_PS4_PS7_PS2_
	.p2align	8
	.type	_ZN9rocsparseL32bsr2csr_block_per_row_2_7_kernelILj256ELj3EiiiEEv20rocsparse_direction_T3_S2_21rocsparse_index_base_PKT1_PKT2_PKS2_S2_S3_PS4_PS7_PS2_,@function
_ZN9rocsparseL32bsr2csr_block_per_row_2_7_kernelILj256ELj3EiiiEEv20rocsparse_direction_T3_S2_21rocsparse_index_base_PKT1_PKT2_PKS2_S2_S3_PS4_PS7_PS2_: ; @_ZN9rocsparseL32bsr2csr_block_per_row_2_7_kernelILj256ELj3EiiiEEv20rocsparse_direction_T3_S2_21rocsparse_index_base_PKT1_PKT2_PKS2_S2_S3_PS4_PS7_PS2_
; %bb.0:
	s_load_dwordx2 s[0:1], s[4:5], 0x18
	s_load_dword s15, s[4:5], 0x2c
	s_load_dwordx2 s[2:3], s[4:5], 0x38
	s_ashr_i32 s7, s6, 31
	s_lshl_b64 s[8:9], s[6:7], 2
	s_waitcnt lgkmcnt(0)
	s_add_u32 s8, s0, s8
	v_or_b32_e32 v1, s6, v0
	s_addc_u32 s9, s1, s9
	v_cmp_eq_u32_e32 vcc, 0, v1
	s_and_saveexec_b64 s[0:1], vcc
	s_cbranch_execz .LBB2_2
; %bb.1:
	v_mov_b32_e32 v1, 0
	v_mov_b32_e32 v2, s15
	global_store_dword v1, v2, s[2:3]
.LBB2_2:
	s_or_b64 exec, exec, s[0:1]
	v_and_b32_e32 v4, 3, v0
	v_cmp_ne_u32_e32 vcc, 3, v4
	s_and_saveexec_b64 s[0:1], vcc
	s_cbranch_execz .LBB2_6
; %bb.3:
	s_load_dwordx2 s[0:1], s[8:9], 0x0
	s_load_dword s12, s[4:5], 0xc
	v_lshrrev_b32_e32 v3, 2, v0
	v_mov_b32_e32 v1, 0
	s_waitcnt lgkmcnt(0)
	s_sub_i32 s7, s0, s12
	s_sub_i32 s13, s1, s12
	;; [unrolled: 1-line block ×3, first 2 shown]
	s_mul_i32 s8, s8, 3
	s_mul_i32 s1, s7, 9
	v_mul_lo_u32 v6, s8, v4
	s_add_i32 s8, s8, s15
	s_add_i32 s8, s8, s1
	s_mul_i32 s1, s6, 3
	v_add3_u32 v0, v4, s1, 1
	v_lshlrev_b64 v[8:9], 2, v[0:1]
	v_mov_b32_e32 v0, s3
	v_add_co_u32_e32 v8, vcc, s2, v8
	v_add_u32_e32 v2, s8, v6
	v_addc_co_u32_e32 v9, vcc, v0, v9, vcc
	global_store_dword v[8:9], v2, off
	v_add_u32_e32 v2, s7, v3
	v_cmp_gt_i32_e32 vcc, s13, v2
	s_and_b64 exec, exec, vcc
	s_cbranch_execz .LBB2_6
; %bb.4:
	s_load_dwordx2 s[2:3], s[4:5], 0x20
	s_load_dwordx2 s[6:7], s[4:5], 0x30
	s_load_dword s1, s[4:5], 0x0
	s_load_dwordx2 s[8:9], s[4:5], 0x10
	s_load_dwordx2 s[10:11], s[4:5], 0x40
	v_add_u32_e32 v0, s0, v3
	v_lshl_add_u32 v0, v0, 3, v0
	s_waitcnt lgkmcnt(0)
	s_cmp_eq_u32 s1, 0
	v_mad_u32_u24 v0, v4, 3, v0
	s_mul_i32 s1, s12, 9
	v_subrev_u32_e32 v9, s1, v0
	s_mul_i32 s0, s0, 9
	v_mul_u32_u24_e32 v0, 3, v3
	v_mad_u64_u32 v[4:5], s[4:5], v2, 9, v[4:5]
	v_add3_u32 v0, v6, s0, v0
	s_mov_b32 s14, 0
	s_cselect_b64 vcc, -1, 0
	v_subrev_u32_e32 v6, s1, v0
	s_mov_b64 s[4:5], 0
	v_mov_b32_e32 v5, s3
	v_mov_b32_e32 v8, s15
	;; [unrolled: 1-line block ×5, first 2 shown]
.LBB2_5:                                ; =>This Inner Loop Header: Depth=1
	v_ashrrev_i32_e32 v3, 31, v2
	v_add_u32_e32 v7, s14, v4
	v_add_u32_e32 v13, s14, v9
	v_lshlrev_b64 v[14:15], 2, v[2:3]
	v_cndmask_b32_e32 v0, v7, v13, vcc
	v_add_co_u32_e64 v14, s[0:1], s2, v14
	v_add_u32_e32 v3, 1, v13
	v_add_u32_e32 v18, 3, v7
	v_addc_co_u32_e64 v15, s[0:1], v5, v15, s[0:1]
	v_lshlrev_b64 v[16:17], 2, v[0:1]
	v_cndmask_b32_e32 v0, v18, v3, vcc
	global_load_dword v3, v[14:15], off
	v_add_co_u32_e64 v14, s[0:1], s8, v16
	v_add_u32_e32 v13, 2, v13
	v_add_u32_e32 v7, 6, v7
	v_addc_co_u32_e64 v15, s[0:1], v11, v17, s[0:1]
	v_lshlrev_b64 v[16:17], 2, v[0:1]
	v_cndmask_b32_e32 v0, v7, v13, vcc
	v_add_co_u32_e64 v18, s[0:1], s8, v16
	v_addc_co_u32_e64 v19, s[0:1], v11, v17, s[0:1]
	v_lshlrev_b64 v[16:17], 2, v[0:1]
	v_add_co_u32_e64 v20, s[0:1], s8, v16
	global_load_dword v14, v[14:15], off
	v_addc_co_u32_e64 v21, s[0:1], v11, v17, s[0:1]
	global_load_dword v15, v[18:19], off
	global_load_dword v16, v[20:21], off
	v_ashrrev_i32_e32 v7, 31, v6
	v_lshlrev_b64 v[18:19], 2, v[6:7]
	v_add_co_u32_e64 v22, s[0:1], s10, v18
	v_addc_co_u32_e64 v23, s[0:1], v10, v19, s[0:1]
	v_add_co_u32_e64 v24, s[0:1], s6, v18
	v_add_u32_e32 v2, 64, v2
	v_addc_co_u32_e64 v25, s[0:1], v12, v19, s[0:1]
	s_addk_i32 s14, 0x240
	v_cmp_le_i32_e64 s[0:1], s13, v2
	s_or_b64 s[4:5], s[0:1], s[4:5]
	v_add_u32_e32 v6, 0xc0, v6
	s_waitcnt vmcnt(3)
	v_subrev_u32_e32 v0, s12, v3
	v_mad_u64_u32 v[18:19], s[0:1], v0, 3, v[8:9]
	v_add_u32_e32 v19, 1, v18
	v_add_u32_e32 v20, 2, v18
	global_store_dwordx3 v[22:23], v[18:20], off
	s_waitcnt vmcnt(1)
	global_store_dwordx3 v[24:25], v[14:16], off
	s_andn2_b64 exec, exec, s[4:5]
	s_cbranch_execnz .LBB2_5
.LBB2_6:
	s_endpgm
	.section	.rodata,"a",@progbits
	.p2align	6, 0x0
	.amdhsa_kernel _ZN9rocsparseL32bsr2csr_block_per_row_2_7_kernelILj256ELj3EiiiEEv20rocsparse_direction_T3_S2_21rocsparse_index_base_PKT1_PKT2_PKS2_S2_S3_PS4_PS7_PS2_
		.amdhsa_group_segment_fixed_size 0
		.amdhsa_private_segment_fixed_size 0
		.amdhsa_kernarg_size 72
		.amdhsa_user_sgpr_count 6
		.amdhsa_user_sgpr_private_segment_buffer 1
		.amdhsa_user_sgpr_dispatch_ptr 0
		.amdhsa_user_sgpr_queue_ptr 0
		.amdhsa_user_sgpr_kernarg_segment_ptr 1
		.amdhsa_user_sgpr_dispatch_id 0
		.amdhsa_user_sgpr_flat_scratch_init 0
		.amdhsa_user_sgpr_kernarg_preload_length 0
		.amdhsa_user_sgpr_kernarg_preload_offset 0
		.amdhsa_user_sgpr_private_segment_size 0
		.amdhsa_uses_dynamic_stack 0
		.amdhsa_system_sgpr_private_segment_wavefront_offset 0
		.amdhsa_system_sgpr_workgroup_id_x 1
		.amdhsa_system_sgpr_workgroup_id_y 0
		.amdhsa_system_sgpr_workgroup_id_z 0
		.amdhsa_system_sgpr_workgroup_info 0
		.amdhsa_system_vgpr_workitem_id 0
		.amdhsa_next_free_vgpr 26
		.amdhsa_next_free_sgpr 16
		.amdhsa_accum_offset 28
		.amdhsa_reserve_vcc 1
		.amdhsa_reserve_flat_scratch 0
		.amdhsa_float_round_mode_32 0
		.amdhsa_float_round_mode_16_64 0
		.amdhsa_float_denorm_mode_32 3
		.amdhsa_float_denorm_mode_16_64 3
		.amdhsa_dx10_clamp 1
		.amdhsa_ieee_mode 1
		.amdhsa_fp16_overflow 0
		.amdhsa_tg_split 0
		.amdhsa_exception_fp_ieee_invalid_op 0
		.amdhsa_exception_fp_denorm_src 0
		.amdhsa_exception_fp_ieee_div_zero 0
		.amdhsa_exception_fp_ieee_overflow 0
		.amdhsa_exception_fp_ieee_underflow 0
		.amdhsa_exception_fp_ieee_inexact 0
		.amdhsa_exception_int_div_zero 0
	.end_amdhsa_kernel
	.section	.text._ZN9rocsparseL32bsr2csr_block_per_row_2_7_kernelILj256ELj3EiiiEEv20rocsparse_direction_T3_S2_21rocsparse_index_base_PKT1_PKT2_PKS2_S2_S3_PS4_PS7_PS2_,"axG",@progbits,_ZN9rocsparseL32bsr2csr_block_per_row_2_7_kernelILj256ELj3EiiiEEv20rocsparse_direction_T3_S2_21rocsparse_index_base_PKT1_PKT2_PKS2_S2_S3_PS4_PS7_PS2_,comdat
.Lfunc_end2:
	.size	_ZN9rocsparseL32bsr2csr_block_per_row_2_7_kernelILj256ELj3EiiiEEv20rocsparse_direction_T3_S2_21rocsparse_index_base_PKT1_PKT2_PKS2_S2_S3_PS4_PS7_PS2_, .Lfunc_end2-_ZN9rocsparseL32bsr2csr_block_per_row_2_7_kernelILj256ELj3EiiiEEv20rocsparse_direction_T3_S2_21rocsparse_index_base_PKT1_PKT2_PKS2_S2_S3_PS4_PS7_PS2_
                                        ; -- End function
	.section	.AMDGPU.csdata,"",@progbits
; Kernel info:
; codeLenInByte = 652
; NumSgprs: 20
; NumVgprs: 26
; NumAgprs: 0
; TotalNumVgprs: 26
; ScratchSize: 0
; MemoryBound: 0
; FloatMode: 240
; IeeeMode: 1
; LDSByteSize: 0 bytes/workgroup (compile time only)
; SGPRBlocks: 2
; VGPRBlocks: 3
; NumSGPRsForWavesPerEU: 20
; NumVGPRsForWavesPerEU: 26
; AccumOffset: 28
; Occupancy: 8
; WaveLimiterHint : 1
; COMPUTE_PGM_RSRC2:SCRATCH_EN: 0
; COMPUTE_PGM_RSRC2:USER_SGPR: 6
; COMPUTE_PGM_RSRC2:TRAP_HANDLER: 0
; COMPUTE_PGM_RSRC2:TGID_X_EN: 1
; COMPUTE_PGM_RSRC2:TGID_Y_EN: 0
; COMPUTE_PGM_RSRC2:TGID_Z_EN: 0
; COMPUTE_PGM_RSRC2:TIDIG_COMP_CNT: 0
; COMPUTE_PGM_RSRC3_GFX90A:ACCUM_OFFSET: 6
; COMPUTE_PGM_RSRC3_GFX90A:TG_SPLIT: 0
	.section	.text._ZN9rocsparseL32bsr2csr_block_per_row_2_7_kernelILj256ELj4EiiiEEv20rocsparse_direction_T3_S2_21rocsparse_index_base_PKT1_PKT2_PKS2_S2_S3_PS4_PS7_PS2_,"axG",@progbits,_ZN9rocsparseL32bsr2csr_block_per_row_2_7_kernelILj256ELj4EiiiEEv20rocsparse_direction_T3_S2_21rocsparse_index_base_PKT1_PKT2_PKS2_S2_S3_PS4_PS7_PS2_,comdat
	.globl	_ZN9rocsparseL32bsr2csr_block_per_row_2_7_kernelILj256ELj4EiiiEEv20rocsparse_direction_T3_S2_21rocsparse_index_base_PKT1_PKT2_PKS2_S2_S3_PS4_PS7_PS2_ ; -- Begin function _ZN9rocsparseL32bsr2csr_block_per_row_2_7_kernelILj256ELj4EiiiEEv20rocsparse_direction_T3_S2_21rocsparse_index_base_PKT1_PKT2_PKS2_S2_S3_PS4_PS7_PS2_
	.p2align	8
	.type	_ZN9rocsparseL32bsr2csr_block_per_row_2_7_kernelILj256ELj4EiiiEEv20rocsparse_direction_T3_S2_21rocsparse_index_base_PKT1_PKT2_PKS2_S2_S3_PS4_PS7_PS2_,@function
_ZN9rocsparseL32bsr2csr_block_per_row_2_7_kernelILj256ELj4EiiiEEv20rocsparse_direction_T3_S2_21rocsparse_index_base_PKT1_PKT2_PKS2_S2_S3_PS4_PS7_PS2_: ; @_ZN9rocsparseL32bsr2csr_block_per_row_2_7_kernelILj256ELj4EiiiEEv20rocsparse_direction_T3_S2_21rocsparse_index_base_PKT1_PKT2_PKS2_S2_S3_PS4_PS7_PS2_
; %bb.0:
	s_load_dwordx2 s[2:3], s[4:5], 0x18
	s_load_dword s33, s[4:5], 0x2c
	s_load_dwordx2 s[0:1], s[4:5], 0x38
	s_ashr_i32 s7, s6, 31
	s_lshl_b64 s[8:9], s[6:7], 2
	s_waitcnt lgkmcnt(0)
	s_add_u32 s2, s2, s8
	s_addc_u32 s3, s3, s9
	s_load_dwordx2 s[34:35], s[2:3], 0x0
	v_or_b32_e32 v1, s6, v0
	v_cmp_eq_u32_e32 vcc, 0, v1
	s_and_saveexec_b64 s[2:3], vcc
	s_cbranch_execz .LBB3_2
; %bb.1:
	v_mov_b32_e32 v1, 0
	v_mov_b32_e32 v2, s33
	global_store_dword v1, v2, s[0:1]
.LBB3_2:
	s_or_b64 exec, exec, s[2:3]
	s_load_dword s40, s[4:5], 0xc
	v_and_b32_e32 v2, 3, v0
	v_lshl_or_b32 v4, s6, 2, v2
	v_add_u32_e32 v4, 1, v4
	v_mov_b32_e32 v5, 0
	s_waitcnt lgkmcnt(0)
	s_sub_i32 s41, s34, s40
	s_sub_i32 s35, s35, s40
	;; [unrolled: 1-line block ×3, first 2 shown]
	s_lshl_b32 s2, s2, 2
	v_mul_lo_u32 v9, s2, v2
	v_lshlrev_b64 v[4:5], 2, v[4:5]
	s_add_i32 s2, s2, s33
	v_lshl_add_u32 v8, s41, 4, v9
	v_mov_b32_e32 v6, s1
	v_add_co_u32_e32 v4, vcc, s0, v4
	v_lshrrev_b32_e32 v1, 2, v0
	v_add_u32_e32 v3, s2, v8
	v_addc_co_u32_e32 v5, vcc, v6, v5, vcc
	global_store_dword v[4:5], v3, off
	v_add_u32_e32 v4, s41, v1
	v_cmp_gt_i32_e32 vcc, s35, v4
	s_and_saveexec_b64 s[0:1], vcc
	s_cbranch_execz .LBB3_12
; %bb.3:
	s_load_dwordx2 s[24:25], s[4:5], 0x20
	s_load_dwordx2 s[26:27], s[4:5], 0x30
	s_load_dword s0, s[4:5], 0x0
	s_load_dwordx2 s[28:29], s[4:5], 0x10
	s_load_dwordx2 s[30:31], s[4:5], 0x40
	v_add_u32_e32 v3, s34, v1
	v_subrev_u32_e32 v3, s40, v3
	s_waitcnt lgkmcnt(0)
	s_cmp_eq_u32 s0, 0
	s_cselect_b64 vcc, -1, 0
	v_add_u32_e32 v3, 64, v3
	s_not_b32 s0, s34
	v_max_i32_e32 v3, s35, v3
	s_add_i32 s0, s0, s40
	v_add_u32_e32 v3, s0, v3
	v_sub_u32_e32 v1, v3, v1
	s_movk_i32 s0, 0x2040
	v_cmp_gt_u32_e64 s[36:37], s0, v1
	s_movk_i32 s0, 0x203f
	v_lshlrev_b32_e32 v6, 2, v2
	v_cmp_lt_u32_e64 s[0:1], s0, v1
	s_and_saveexec_b64 s[38:39], s[0:1]
	s_cbranch_execz .LBB3_9
; %bb.4:
	s_lshl_b32 s0, s34, 4
	v_and_b32_e32 v0, 0xfc, v0
	v_lshrrev_b32_e32 v10, 6, v1
	v_add3_u32 v0, v9, s0, v0
	s_lshl_b32 s6, s40, 4
	v_subrev_u32_e32 v12, s6, v0
	v_lshlrev_b32_e32 v3, 8, v10
	v_add_u32_e32 v5, v12, v3
	v_cmp_ge_i32_e64 s[2:3], v5, v12
	v_or_b32_e32 v5, 1, v0
	v_subrev_u32_e32 v5, s6, v5
	v_add_u32_e32 v7, v5, v3
	v_cmp_ge_i32_e64 s[4:5], v7, v5
	v_or_b32_e32 v5, 2, v0
	v_or_b32_e32 v0, 3, v0
	v_subrev_u32_e32 v5, s6, v5
	v_subrev_u32_e32 v0, s6, v0
	v_ashrrev_i32_e32 v13, 31, v12
	v_add_u32_e32 v7, v5, v3
	v_add_u32_e32 v3, v0, v3
	v_lshlrev_b64 v[12:13], 2, v[12:13]
	s_and_b64 s[42:43], s[4:5], s[2:3]
	v_cmp_ge_i32_e64 s[4:5], v3, v0
	v_mov_b32_e32 v0, s31
	v_add_co_u32_e64 v14, s[6:7], s30, v12
	v_addc_co_u32_e64 v15, s[6:7], v0, v13, s[6:7]
	v_add_co_u32_e64 v16, s[6:7], 8, v14
	v_mov_b32_e32 v11, 0
	v_addc_co_u32_e64 v17, s[6:7], 0, v15, s[6:7]
	v_lshlrev_b64 v[18:19], 10, v[10:11]
	v_add_co_u32_e64 v20, s[6:7], v14, v18
	v_addc_co_u32_e64 v21, s[6:7], v15, v19, s[6:7]
	v_add_co_u32_e64 v22, s[6:7], 8, v20
	v_addc_co_u32_e64 v23, s[6:7], 0, v21, s[6:7]
	v_cmp_ge_u64_e64 s[6:7], v[22:23], v[16:17]
	v_add_co_u32_e64 v16, s[8:9], 12, v14
	v_addc_co_u32_e64 v17, s[8:9], 0, v15, s[8:9]
	v_add_co_u32_e64 v22, s[8:9], 12, v20
	v_addc_co_u32_e64 v23, s[8:9], 0, v21, s[8:9]
	v_cmp_ge_u64_e64 s[8:9], v[22:23], v[16:17]
	v_add_co_u32_e64 v16, s[10:11], 4, v14
	v_mov_b32_e32 v0, s27
	v_add_co_u32_e64 v12, s[14:15], s26, v12
	v_addc_co_u32_e64 v17, s[10:11], 0, v15, s[10:11]
	v_addc_co_u32_e64 v13, s[14:15], v0, v13, s[14:15]
	v_add_co_u32_e64 v22, s[10:11], 4, v20
	v_cmp_ge_u64_e64 s[12:13], v[20:21], v[14:15]
	v_add_co_u32_e64 v14, s[14:15], 8, v12
	v_addc_co_u32_e64 v23, s[10:11], 0, v21, s[10:11]
	v_addc_co_u32_e64 v15, s[14:15], 0, v13, s[14:15]
	v_cmp_ge_u64_e64 s[10:11], v[22:23], v[16:17]
	v_add_co_u32_e64 v16, s[14:15], v12, v18
	v_addc_co_u32_e64 v17, s[14:15], v13, v19, s[14:15]
	v_add_co_u32_e64 v18, s[14:15], 8, v16
	v_cmp_gt_u32_e64 s[0:1], 2.0, v1
	v_addc_co_u32_e64 v19, s[14:15], 0, v17, s[14:15]
	v_cmp_ge_i32_e64 s[2:3], v7, v5
	v_cmp_ge_u64_e64 s[14:15], v[18:19], v[14:15]
	v_add_co_u32_e64 v14, s[16:17], 12, v12
	s_and_b64 s[0:1], s[42:43], s[0:1]
	v_addc_co_u32_e64 v15, s[16:17], 0, v13, s[16:17]
	s_and_b64 s[0:1], s[2:3], s[0:1]
	v_add_co_u32_e64 v18, s[16:17], 12, v16
	s_and_b64 s[0:1], s[4:5], s[0:1]
	v_addc_co_u32_e64 v19, s[16:17], 0, v17, s[16:17]
	s_and_b64 s[0:1], s[0:1], s[6:7]
	v_cmp_ge_u64_e64 s[16:17], v[18:19], v[14:15]
	v_add_co_u32_e64 v14, s[18:19], 4, v12
	s_and_b64 s[0:1], s[0:1], s[8:9]
	v_addc_co_u32_e64 v15, s[18:19], 0, v13, s[18:19]
	s_and_b64 s[0:1], s[0:1], s[10:11]
	v_add_co_u32_e64 v18, s[18:19], 4, v16
	s_and_b64 s[0:1], s[0:1], s[12:13]
	v_addc_co_u32_e64 v19, s[18:19], 0, v17, s[18:19]
	s_and_b64 s[0:1], s[0:1], s[14:15]
	v_cmp_ge_u64_e64 s[18:19], v[18:19], v[14:15]
	v_and_b32_e32 v0, 0xffffffc0, v1
	s_and_b64 s[0:1], s[0:1], s[16:17]
	v_cmp_ge_u64_e64 s[20:21], v[16:17], v[12:13]
	v_add_u32_e32 v0, v4, v0
	s_and_b64 s[0:1], s[0:1], s[18:19]
	v_cmp_ge_i32_e64 s[22:23], v0, v4
	s_and_b64 s[0:1], s[0:1], s[20:21]
	s_and_b64 s[4:5], s[0:1], s[22:23]
	s_mov_b64 s[0:1], -1
	s_and_saveexec_b64 s[2:3], s[4:5]
	s_cbranch_execz .LBB3_8
; %bb.5:
	v_add_u32_e32 v0, 1, v10
	v_and_b32_e32 v18, 0x7fffffe, v0
	v_add_u32_e32 v5, 64, v4
	s_mov_b32 s6, s40
	s_mov_b32 s7, s41
	v_mov_b32_e32 v1, v8
	s_mov_b32 s8, s33
	v_mov_b32_e32 v3, v6
	v_mov_b32_e32 v7, v2
	s_mov_b64 s[4:5], 0
	v_mov_b32_e32 v19, s25
	v_mov_b32_e32 v20, s31
	;; [unrolled: 1-line block ×5, first 2 shown]
	v_pk_mov_b32 v[12:13], v[4:5], v[4:5] op_sel:[0,1]
.LBB3_6:                                ; =>This Inner Loop Header: Depth=1
	v_ashrrev_i32_e32 v17, 31, v12
	v_mov_b32_e32 v16, v12
	v_lshlrev_b64 v[16:17], 2, v[16:17]
	v_ashrrev_i32_e32 v15, 31, v13
	v_mov_b32_e32 v14, v13
	v_add_co_u32_e64 v16, s[0:1], s24, v16
	v_addc_co_u32_e64 v17, s[0:1], v19, v17, s[0:1]
	v_lshlrev_b64 v[14:15], 2, v[14:15]
	v_add_co_u32_e64 v14, s[0:1], s24, v14
	v_addc_co_u32_e64 v15, s[0:1], v19, v15, s[0:1]
	global_load_dword v5, v[16:17], off
	global_load_dword v10, v[14:15], off
	v_subrev_u32_e32 v15, s41, v12
	v_lshl_add_u32 v16, v15, 2, v8
	v_subrev_u32_e32 v14, s7, v13
	v_ashrrev_i32_e32 v17, 31, v16
	v_lshl_add_u32 v14, v14, 2, v1
	v_lshlrev_b64 v[24:25], 2, v[16:17]
	v_ashrrev_i32_e32 v15, 31, v14
	v_add_co_u32_e64 v26, s[0:1], s30, v24
	v_lshlrev_b32_e32 v33, 4, v12
	v_addc_co_u32_e64 v27, s[0:1], v20, v25, s[0:1]
	v_lshlrev_b64 v[28:29], 2, v[14:15]
	v_or_b32_e32 v34, v33, v6
	v_add_co_u32_e64 v30, s[0:1], s30, v28
	v_or_b32_e32 v33, v33, v2
	v_addc_co_u32_e64 v31, s[0:1], v20, v29, s[0:1]
	v_or_b32_e32 v17, 4, v33
	v_add_u32_e32 v23, -2, v23
	v_add_u32_e32 v12, 0x80, v12
	s_waitcnt vmcnt(1)
	v_subrev_u32_e32 v5, s40, v5
	s_waitcnt vmcnt(0)
	v_subrev_u32_e32 v10, s6, v10
	v_lshl_add_u32 v32, v10, 2, s8
	v_lshlrev_b32_e32 v10, 4, v13
	v_lshl_add_u32 v5, v5, 2, s33
	v_or_b32_e32 v35, v10, v3
	v_or_b32_e32 v36, v10, v7
	v_cndmask_b32_e32 v10, v33, v34, vcc
	global_store_dword v[26:27], v5, off
	global_store_dword v[30:31], v32, off
	v_lshlrev_b64 v[30:31], 2, v[10:11]
	v_cndmask_b32_e32 v26, v36, v35, vcc
	v_add_co_u32_e64 v30, s[0:1], s28, v30
	v_mov_b32_e32 v27, v11
	v_addc_co_u32_e64 v31, s[0:1], v21, v31, s[0:1]
	v_lshlrev_b64 v[26:27], 2, v[26:27]
	v_add_co_u32_e64 v26, s[0:1], s28, v26
	v_addc_co_u32_e64 v27, s[0:1], v21, v27, s[0:1]
	global_load_dword v10, v[30:31], off
	global_load_dword v15, v[26:27], off
	v_add_co_u32_e64 v24, s[0:1], s26, v24
	v_addc_co_u32_e64 v25, s[0:1], v22, v25, s[0:1]
	v_add_co_u32_e64 v26, s[0:1], s26, v28
	v_addc_co_u32_e64 v27, s[0:1], v22, v29, s[0:1]
	v_add_u32_e32 v13, 0x80, v13
	s_waitcnt vmcnt(1)
	global_store_dword v[24:25], v10, off
	s_waitcnt vmcnt(1)
	global_store_dword v[26:27], v15, off
	v_or_b32_e32 v24, 1, v16
	v_ashrrev_i32_e32 v25, 31, v24
	v_or_b32_e32 v26, 1, v14
	v_lshlrev_b64 v[24:25], 2, v[24:25]
	v_ashrrev_i32_e32 v27, 31, v26
	v_add_co_u32_e64 v28, s[0:1], s30, v24
	v_addc_co_u32_e64 v29, s[0:1], v20, v25, s[0:1]
	v_lshlrev_b64 v[26:27], 2, v[26:27]
	v_add_u32_e32 v10, 1, v32
	v_add_u32_e32 v15, 1, v5
	v_add_co_u32_e64 v30, s[0:1], s30, v26
	v_addc_co_u32_e64 v31, s[0:1], v20, v27, s[0:1]
	global_store_dword v[28:29], v15, off
	global_store_dword v[30:31], v10, off
	v_or_b32_e32 v10, 1, v34
	v_cndmask_b32_e32 v10, v17, v10, vcc
	v_or_b32_e32 v15, 1, v35
	v_or_b32_e32 v28, 4, v36
	v_lshlrev_b64 v[30:31], 2, v[10:11]
	v_cndmask_b32_e32 v28, v28, v15, vcc
	v_add_co_u32_e64 v30, s[0:1], s28, v30
	v_mov_b32_e32 v29, v11
	v_addc_co_u32_e64 v31, s[0:1], v21, v31, s[0:1]
	v_lshlrev_b64 v[28:29], 2, v[28:29]
	v_add_co_u32_e64 v28, s[0:1], s28, v28
	v_addc_co_u32_e64 v29, s[0:1], v21, v29, s[0:1]
	global_load_dword v10, v[30:31], off
	global_load_dword v15, v[28:29], off
	v_add_co_u32_e64 v24, s[0:1], s26, v24
	v_addc_co_u32_e64 v25, s[0:1], v22, v25, s[0:1]
	v_add_co_u32_e64 v26, s[0:1], s26, v26
	v_addc_co_u32_e64 v27, s[0:1], v22, v27, s[0:1]
	v_or_b32_e32 v17, 8, v33
	s_waitcnt vmcnt(1)
	global_store_dword v[24:25], v10, off
	s_waitcnt vmcnt(1)
	global_store_dword v[26:27], v15, off
	v_or_b32_e32 v24, 2, v16
	v_ashrrev_i32_e32 v25, 31, v24
	v_or_b32_e32 v26, 2, v14
	v_lshlrev_b64 v[24:25], 2, v[24:25]
	v_ashrrev_i32_e32 v27, 31, v26
	v_add_co_u32_e64 v28, s[0:1], s30, v24
	v_addc_co_u32_e64 v29, s[0:1], v20, v25, s[0:1]
	v_lshlrev_b64 v[26:27], 2, v[26:27]
	v_add_u32_e32 v10, 2, v32
	v_add_u32_e32 v15, 2, v5
	v_add_co_u32_e64 v30, s[0:1], s30, v26
	v_addc_co_u32_e64 v31, s[0:1], v20, v27, s[0:1]
	global_store_dword v[28:29], v15, off
	global_store_dword v[30:31], v10, off
	v_or_b32_e32 v10, 2, v34
	v_cndmask_b32_e32 v10, v17, v10, vcc
	v_or_b32_e32 v15, 2, v35
	v_or_b32_e32 v28, 8, v36
	v_lshlrev_b64 v[30:31], 2, v[10:11]
	v_cndmask_b32_e32 v28, v28, v15, vcc
	v_add_co_u32_e64 v30, s[0:1], s28, v30
	v_mov_b32_e32 v29, v11
	v_addc_co_u32_e64 v31, s[0:1], v21, v31, s[0:1]
	v_lshlrev_b64 v[28:29], 2, v[28:29]
	v_add_co_u32_e64 v28, s[0:1], s28, v28
	v_addc_co_u32_e64 v29, s[0:1], v21, v29, s[0:1]
	global_load_dword v10, v[30:31], off
	global_load_dword v15, v[28:29], off
	v_add_co_u32_e64 v24, s[0:1], s26, v24
	v_addc_co_u32_e64 v25, s[0:1], v22, v25, s[0:1]
	v_or_b32_e32 v16, 3, v16
	v_add_co_u32_e64 v26, s[0:1], s26, v26
	v_ashrrev_i32_e32 v17, 31, v16
	v_addc_co_u32_e64 v27, s[0:1], v22, v27, s[0:1]
	v_or_b32_e32 v14, 3, v14
	v_lshlrev_b64 v[16:17], 2, v[16:17]
	v_add_u32_e32 v5, 3, v5
	s_waitcnt vmcnt(1)
	global_store_dword v[24:25], v10, off
	s_waitcnt vmcnt(1)
	global_store_dword v[26:27], v15, off
	v_ashrrev_i32_e32 v15, 31, v14
	v_add_co_u32_e64 v24, s[0:1], s30, v16
	v_addc_co_u32_e64 v25, s[0:1], v20, v17, s[0:1]
	v_lshlrev_b64 v[14:15], 2, v[14:15]
	v_add_u32_e32 v10, 3, v32
	v_add_co_u32_e64 v26, s[0:1], s30, v14
	v_addc_co_u32_e64 v27, s[0:1], v20, v15, s[0:1]
	global_store_dword v[24:25], v5, off
	global_store_dword v[26:27], v10, off
	v_or_b32_e32 v5, 3, v34
	v_or_b32_e32 v10, 3, v35
	;; [unrolled: 1-line block ×4, first 2 shown]
	v_cndmask_b32_e32 v24, v24, v10, vcc
	v_cndmask_b32_e32 v10, v25, v5, vcc
	v_lshlrev_b64 v[26:27], 2, v[10:11]
	v_add_co_u32_e64 v26, s[0:1], s28, v26
	v_mov_b32_e32 v25, v11
	v_addc_co_u32_e64 v27, s[0:1], v21, v27, s[0:1]
	v_lshlrev_b64 v[24:25], 2, v[24:25]
	v_add_co_u32_e64 v24, s[0:1], s28, v24
	v_addc_co_u32_e64 v25, s[0:1], v21, v25, s[0:1]
	global_load_dword v5, v[26:27], off
	global_load_dword v10, v[24:25], off
	v_add_co_u32_e64 v16, s[0:1], s26, v16
	v_addc_co_u32_e64 v17, s[0:1], v22, v17, s[0:1]
	v_add_co_u32_e64 v14, s[0:1], s26, v14
	v_addc_co_u32_e64 v15, s[0:1], v22, v15, s[0:1]
	v_cmp_eq_u32_e64 s[0:1], 0, v23
	s_or_b64 s[4:5], s[0:1], s[4:5]
	s_waitcnt vmcnt(1)
	global_store_dword v[16:17], v5, off
	s_waitcnt vmcnt(1)
	global_store_dword v[14:15], v10, off
	s_andn2_b64 exec, exec, s[4:5]
	s_cbranch_execnz .LBB3_6
; %bb.7:
	s_or_b64 exec, exec, s[4:5]
	v_cmp_ne_u32_e64 s[0:1], v0, v18
	v_lshl_add_u32 v4, v18, 6, v4
	s_orn2_b64 s[0:1], s[0:1], exec
.LBB3_8:
	s_or_b64 exec, exec, s[2:3]
	s_andn2_b64 s[2:3], s[36:37], exec
	s_and_b64 s[0:1], s[0:1], exec
	s_or_b64 s[36:37], s[2:3], s[0:1]
.LBB3_9:
	s_or_b64 exec, exec, s[38:39]
	s_and_b64 exec, exec, s[36:37]
	s_cbranch_execz .LBB3_12
; %bb.10:
	s_mul_i32 s0, s34, 12
	v_lshlrev_b32_e32 v0, 2, v4
	v_add3_u32 v0, v9, s0, v0
	s_mul_i32 s0, s40, 12
	v_subrev_u32_e32 v0, s0, v0
	v_lshlrev_b32_e32 v3, 4, v4
	s_mov_b64 s[2:3], 0
	v_mov_b32_e32 v7, s25
	v_mov_b32_e32 v10, s31
	v_mov_b32_e32 v11, s29
	v_mov_b32_e32 v12, s27
	v_mov_b32_e32 v9, 0
.LBB3_11:                               ; =>This Inner Loop Header: Depth=1
	v_ashrrev_i32_e32 v5, 31, v4
	v_add_u32_e32 v1, v6, v3
	v_add_u32_e32 v13, v2, v3
	v_lshlrev_b64 v[14:15], 2, v[4:5]
	v_cndmask_b32_e32 v8, v13, v1, vcc
	v_add_co_u32_e64 v14, s[0:1], s24, v14
	v_add_u32_e32 v5, 1, v1
	v_add_u32_e32 v18, 4, v13
	v_addc_co_u32_e64 v15, s[0:1], v7, v15, s[0:1]
	v_lshlrev_b64 v[16:17], 2, v[8:9]
	v_cndmask_b32_e32 v8, v18, v5, vcc
	v_add_co_u32_e64 v16, s[0:1], s28, v16
	v_add_u32_e32 v19, 2, v1
	v_add_u32_e32 v20, 8, v13
	global_load_dword v5, v[14:15], off
	v_addc_co_u32_e64 v17, s[0:1], v11, v17, s[0:1]
	v_lshlrev_b64 v[14:15], 2, v[8:9]
	v_cndmask_b32_e32 v8, v20, v19, vcc
	v_add_co_u32_e64 v18, s[0:1], s28, v14
	v_add_u32_e32 v1, 3, v1
	v_add_u32_e32 v13, 12, v13
	v_addc_co_u32_e64 v19, s[0:1], v11, v15, s[0:1]
	v_lshlrev_b64 v[20:21], 2, v[8:9]
	v_cndmask_b32_e32 v8, v13, v1, vcc
	global_load_dword v14, v[16:17], off
	global_load_dword v15, v[18:19], off
	v_add_co_u32_e64 v18, s[0:1], s28, v20
	v_addc_co_u32_e64 v19, s[0:1], v11, v21, s[0:1]
	v_lshlrev_b64 v[16:17], 2, v[8:9]
	v_add_co_u32_e64 v20, s[0:1], s28, v16
	v_addc_co_u32_e64 v21, s[0:1], v11, v17, s[0:1]
	global_load_dword v16, v[18:19], off
	global_load_dword v17, v[20:21], off
	v_ashrrev_i32_e32 v1, 31, v0
	v_lshlrev_b64 v[18:19], 2, v[0:1]
	v_add_co_u32_e64 v22, s[0:1], s30, v18
	v_addc_co_u32_e64 v23, s[0:1], v10, v19, s[0:1]
	v_add_co_u32_e64 v24, s[0:1], s26, v18
	v_add_u32_e32 v4, 64, v4
	v_addc_co_u32_e64 v25, s[0:1], v12, v19, s[0:1]
	v_cmp_le_i32_e64 s[0:1], s35, v4
	v_add_u32_e32 v3, 0x400, v3
	v_add_u32_e32 v0, 0x100, v0
	s_or_b64 s[2:3], s[0:1], s[2:3]
	s_waitcnt vmcnt(4)
	v_subrev_u32_e32 v1, s40, v5
	v_lshl_add_u32 v18, v1, 2, s33
	v_add_u32_e32 v20, 2, v18
	v_add_u32_e32 v19, 1, v18
	;; [unrolled: 1-line block ×3, first 2 shown]
	global_store_dwordx4 v[22:23], v[18:21], off
	s_waitcnt vmcnt(1)
	global_store_dwordx4 v[24:25], v[14:17], off
	s_andn2_b64 exec, exec, s[2:3]
	s_cbranch_execnz .LBB3_11
.LBB3_12:
	s_endpgm
	.section	.rodata,"a",@progbits
	.p2align	6, 0x0
	.amdhsa_kernel _ZN9rocsparseL32bsr2csr_block_per_row_2_7_kernelILj256ELj4EiiiEEv20rocsparse_direction_T3_S2_21rocsparse_index_base_PKT1_PKT2_PKS2_S2_S3_PS4_PS7_PS2_
		.amdhsa_group_segment_fixed_size 0
		.amdhsa_private_segment_fixed_size 0
		.amdhsa_kernarg_size 72
		.amdhsa_user_sgpr_count 6
		.amdhsa_user_sgpr_private_segment_buffer 1
		.amdhsa_user_sgpr_dispatch_ptr 0
		.amdhsa_user_sgpr_queue_ptr 0
		.amdhsa_user_sgpr_kernarg_segment_ptr 1
		.amdhsa_user_sgpr_dispatch_id 0
		.amdhsa_user_sgpr_flat_scratch_init 0
		.amdhsa_user_sgpr_kernarg_preload_length 0
		.amdhsa_user_sgpr_kernarg_preload_offset 0
		.amdhsa_user_sgpr_private_segment_size 0
		.amdhsa_uses_dynamic_stack 0
		.amdhsa_system_sgpr_private_segment_wavefront_offset 0
		.amdhsa_system_sgpr_workgroup_id_x 1
		.amdhsa_system_sgpr_workgroup_id_y 0
		.amdhsa_system_sgpr_workgroup_id_z 0
		.amdhsa_system_sgpr_workgroup_info 0
		.amdhsa_system_vgpr_workitem_id 0
		.amdhsa_next_free_vgpr 37
		.amdhsa_next_free_sgpr 44
		.amdhsa_accum_offset 40
		.amdhsa_reserve_vcc 1
		.amdhsa_reserve_flat_scratch 0
		.amdhsa_float_round_mode_32 0
		.amdhsa_float_round_mode_16_64 0
		.amdhsa_float_denorm_mode_32 3
		.amdhsa_float_denorm_mode_16_64 3
		.amdhsa_dx10_clamp 1
		.amdhsa_ieee_mode 1
		.amdhsa_fp16_overflow 0
		.amdhsa_tg_split 0
		.amdhsa_exception_fp_ieee_invalid_op 0
		.amdhsa_exception_fp_denorm_src 0
		.amdhsa_exception_fp_ieee_div_zero 0
		.amdhsa_exception_fp_ieee_overflow 0
		.amdhsa_exception_fp_ieee_underflow 0
		.amdhsa_exception_fp_ieee_inexact 0
		.amdhsa_exception_int_div_zero 0
	.end_amdhsa_kernel
	.section	.text._ZN9rocsparseL32bsr2csr_block_per_row_2_7_kernelILj256ELj4EiiiEEv20rocsparse_direction_T3_S2_21rocsparse_index_base_PKT1_PKT2_PKS2_S2_S3_PS4_PS7_PS2_,"axG",@progbits,_ZN9rocsparseL32bsr2csr_block_per_row_2_7_kernelILj256ELj4EiiiEEv20rocsparse_direction_T3_S2_21rocsparse_index_base_PKT1_PKT2_PKS2_S2_S3_PS4_PS7_PS2_,comdat
.Lfunc_end3:
	.size	_ZN9rocsparseL32bsr2csr_block_per_row_2_7_kernelILj256ELj4EiiiEEv20rocsparse_direction_T3_S2_21rocsparse_index_base_PKT1_PKT2_PKS2_S2_S3_PS4_PS7_PS2_, .Lfunc_end3-_ZN9rocsparseL32bsr2csr_block_per_row_2_7_kernelILj256ELj4EiiiEEv20rocsparse_direction_T3_S2_21rocsparse_index_base_PKT1_PKT2_PKS2_S2_S3_PS4_PS7_PS2_
                                        ; -- End function
	.section	.AMDGPU.csdata,"",@progbits
; Kernel info:
; codeLenInByte = 2516
; NumSgprs: 48
; NumVgprs: 37
; NumAgprs: 0
; TotalNumVgprs: 37
; ScratchSize: 0
; MemoryBound: 0
; FloatMode: 240
; IeeeMode: 1
; LDSByteSize: 0 bytes/workgroup (compile time only)
; SGPRBlocks: 5
; VGPRBlocks: 4
; NumSGPRsForWavesPerEU: 48
; NumVGPRsForWavesPerEU: 37
; AccumOffset: 40
; Occupancy: 8
; WaveLimiterHint : 0
; COMPUTE_PGM_RSRC2:SCRATCH_EN: 0
; COMPUTE_PGM_RSRC2:USER_SGPR: 6
; COMPUTE_PGM_RSRC2:TRAP_HANDLER: 0
; COMPUTE_PGM_RSRC2:TGID_X_EN: 1
; COMPUTE_PGM_RSRC2:TGID_Y_EN: 0
; COMPUTE_PGM_RSRC2:TGID_Z_EN: 0
; COMPUTE_PGM_RSRC2:TIDIG_COMP_CNT: 0
; COMPUTE_PGM_RSRC3_GFX90A:ACCUM_OFFSET: 9
; COMPUTE_PGM_RSRC3_GFX90A:TG_SPLIT: 0
	.section	.text._ZN9rocsparseL32bsr2csr_block_per_row_2_7_kernelILj256ELj5EiiiEEv20rocsparse_direction_T3_S2_21rocsparse_index_base_PKT1_PKT2_PKS2_S2_S3_PS4_PS7_PS2_,"axG",@progbits,_ZN9rocsparseL32bsr2csr_block_per_row_2_7_kernelILj256ELj5EiiiEEv20rocsparse_direction_T3_S2_21rocsparse_index_base_PKT1_PKT2_PKS2_S2_S3_PS4_PS7_PS2_,comdat
	.globl	_ZN9rocsparseL32bsr2csr_block_per_row_2_7_kernelILj256ELj5EiiiEEv20rocsparse_direction_T3_S2_21rocsparse_index_base_PKT1_PKT2_PKS2_S2_S3_PS4_PS7_PS2_ ; -- Begin function _ZN9rocsparseL32bsr2csr_block_per_row_2_7_kernelILj256ELj5EiiiEEv20rocsparse_direction_T3_S2_21rocsparse_index_base_PKT1_PKT2_PKS2_S2_S3_PS4_PS7_PS2_
	.p2align	8
	.type	_ZN9rocsparseL32bsr2csr_block_per_row_2_7_kernelILj256ELj5EiiiEEv20rocsparse_direction_T3_S2_21rocsparse_index_base_PKT1_PKT2_PKS2_S2_S3_PS4_PS7_PS2_,@function
_ZN9rocsparseL32bsr2csr_block_per_row_2_7_kernelILj256ELj5EiiiEEv20rocsparse_direction_T3_S2_21rocsparse_index_base_PKT1_PKT2_PKS2_S2_S3_PS4_PS7_PS2_: ; @_ZN9rocsparseL32bsr2csr_block_per_row_2_7_kernelILj256ELj5EiiiEEv20rocsparse_direction_T3_S2_21rocsparse_index_base_PKT1_PKT2_PKS2_S2_S3_PS4_PS7_PS2_
; %bb.0:
	s_load_dwordx2 s[0:1], s[4:5], 0x18
	s_load_dword s15, s[4:5], 0x2c
	s_load_dwordx2 s[2:3], s[4:5], 0x38
	s_ashr_i32 s7, s6, 31
	s_lshl_b64 s[8:9], s[6:7], 2
	s_waitcnt lgkmcnt(0)
	s_add_u32 s8, s0, s8
	v_or_b32_e32 v1, s6, v0
	s_addc_u32 s9, s1, s9
	v_cmp_eq_u32_e32 vcc, 0, v1
	s_and_saveexec_b64 s[0:1], vcc
	s_cbranch_execz .LBB4_2
; %bb.1:
	v_mov_b32_e32 v1, 0
	v_mov_b32_e32 v2, s15
	global_store_dword v1, v2, s[2:3]
.LBB4_2:
	s_or_b64 exec, exec, s[0:1]
	v_and_b32_e32 v4, 7, v0
	v_cmp_gt_u32_e32 vcc, 5, v4
	s_and_saveexec_b64 s[0:1], vcc
	s_cbranch_execz .LBB4_6
; %bb.3:
	s_load_dwordx2 s[0:1], s[8:9], 0x0
	s_load_dword s12, s[4:5], 0xc
	v_lshrrev_b32_e32 v3, 3, v0
	v_mov_b32_e32 v1, 0
	s_waitcnt lgkmcnt(0)
	s_sub_i32 s7, s0, s12
	s_sub_i32 s13, s1, s12
	;; [unrolled: 1-line block ×3, first 2 shown]
	s_mul_i32 s8, s8, 5
	s_mul_i32 s1, s7, 25
	v_mul_lo_u32 v6, s8, v4
	s_add_i32 s8, s8, s15
	s_add_i32 s8, s8, s1
	s_mul_i32 s1, s6, 5
	v_add3_u32 v0, v4, s1, 1
	v_lshlrev_b64 v[8:9], 2, v[0:1]
	v_mov_b32_e32 v0, s3
	v_add_co_u32_e32 v8, vcc, s2, v8
	v_add_u32_e32 v2, s8, v6
	v_addc_co_u32_e32 v9, vcc, v0, v9, vcc
	global_store_dword v[8:9], v2, off
	v_add_u32_e32 v2, s7, v3
	v_cmp_gt_i32_e32 vcc, s13, v2
	s_and_b64 exec, exec, vcc
	s_cbranch_execz .LBB4_6
; %bb.4:
	s_load_dwordx2 s[2:3], s[4:5], 0x20
	s_load_dwordx2 s[6:7], s[4:5], 0x30
	s_load_dword s1, s[4:5], 0x0
	s_load_dwordx2 s[8:9], s[4:5], 0x10
	s_load_dwordx2 s[10:11], s[4:5], 0x40
	v_add_u32_e32 v0, s0, v3
	v_mul_lo_u32 v0, v0, 25
	s_waitcnt lgkmcnt(0)
	s_cmp_eq_u32 s1, 0
	v_mad_u32_u24 v0, v4, 5, v0
	s_mul_i32 s1, s12, 25
	v_subrev_u32_e32 v9, s1, v0
	s_mul_i32 s0, s0, 25
	v_mul_u32_u24_e32 v0, 5, v3
	v_mad_u64_u32 v[4:5], s[4:5], v2, 25, v[4:5]
	v_add3_u32 v0, v6, s0, v0
	s_mov_b32 s14, 0
	s_cselect_b64 vcc, -1, 0
	v_subrev_u32_e32 v6, s1, v0
	s_mov_b64 s[4:5], 0
	v_mov_b32_e32 v5, s3
	v_mov_b32_e32 v8, s15
	;; [unrolled: 1-line block ×5, first 2 shown]
.LBB4_5:                                ; =>This Inner Loop Header: Depth=1
	v_ashrrev_i32_e32 v3, 31, v2
	v_add_u32_e32 v7, s14, v4
	v_add_u32_e32 v13, s14, v9
	v_lshlrev_b64 v[14:15], 2, v[2:3]
	v_cndmask_b32_e32 v0, v7, v13, vcc
	v_add_co_u32_e64 v14, s[0:1], s2, v14
	v_add_u32_e32 v3, 1, v13
	v_add_u32_e32 v18, 5, v7
	v_addc_co_u32_e64 v15, s[0:1], v5, v15, s[0:1]
	v_lshlrev_b64 v[16:17], 2, v[0:1]
	v_cndmask_b32_e32 v0, v18, v3, vcc
	global_load_dword v3, v[14:15], off
	v_add_co_u32_e64 v14, s[0:1], s8, v16
	v_add_u32_e32 v19, 2, v13
	v_add_u32_e32 v20, 10, v7
	v_addc_co_u32_e64 v15, s[0:1], v11, v17, s[0:1]
	v_lshlrev_b64 v[16:17], 2, v[0:1]
	v_cndmask_b32_e32 v0, v20, v19, vcc
	v_add_co_u32_e64 v18, s[0:1], s8, v16
	v_add_u32_e32 v21, 3, v13
	v_add_u32_e32 v22, 15, v7
	v_addc_co_u32_e64 v19, s[0:1], v11, v17, s[0:1]
	v_lshlrev_b64 v[16:17], 2, v[0:1]
	v_cndmask_b32_e32 v0, v22, v21, vcc
	v_add_co_u32_e64 v20, s[0:1], s8, v16
	v_add_u32_e32 v13, 4, v13
	v_add_u32_e32 v7, 20, v7
	v_addc_co_u32_e64 v21, s[0:1], v11, v17, s[0:1]
	v_lshlrev_b64 v[22:23], 2, v[0:1]
	global_load_dword v14, v[14:15], off
	v_cndmask_b32_e32 v0, v7, v13, vcc
	global_load_dword v15, v[18:19], off
	global_load_dword v16, v[20:21], off
	v_add_co_u32_e64 v18, s[0:1], s8, v22
	v_addc_co_u32_e64 v19, s[0:1], v11, v23, s[0:1]
	v_lshlrev_b64 v[20:21], 2, v[0:1]
	v_add_co_u32_e64 v20, s[0:1], s8, v20
	v_addc_co_u32_e64 v21, s[0:1], v11, v21, s[0:1]
	global_load_dword v17, v[18:19], off
	global_load_dword v0, v[20:21], off
	v_ashrrev_i32_e32 v7, 31, v6
	v_lshlrev_b64 v[18:19], 2, v[6:7]
	v_add_co_u32_e64 v22, s[0:1], s10, v18
	v_addc_co_u32_e64 v23, s[0:1], v10, v19, s[0:1]
	v_add_co_u32_e64 v24, s[0:1], s6, v18
	v_add_u32_e32 v2, 32, v2
	v_addc_co_u32_e64 v25, s[0:1], v12, v19, s[0:1]
	s_addk_i32 s14, 0x320
	v_cmp_le_i32_e64 s[0:1], s13, v2
	s_or_b64 s[4:5], s[0:1], s[4:5]
	v_add_u32_e32 v6, 0xa0, v6
	s_waitcnt vmcnt(5)
	v_subrev_u32_e32 v3, s12, v3
	v_mad_u64_u32 v[18:19], s[0:1], v3, 5, v[8:9]
	v_add_u32_e32 v19, 1, v18
	v_add_u32_e32 v20, 2, v18
	;; [unrolled: 1-line block ×4, first 2 shown]
	global_store_dwordx4 v[22:23], v[18:21], off
	global_store_dword v[22:23], v3, off offset:16
	s_waitcnt vmcnt(3)
	global_store_dwordx4 v[24:25], v[14:17], off
	s_waitcnt vmcnt(3)
	global_store_dword v[24:25], v0, off offset:16
	s_andn2_b64 exec, exec, s[4:5]
	s_cbranch_execnz .LBB4_5
.LBB4_6:
	s_endpgm
	.section	.rodata,"a",@progbits
	.p2align	6, 0x0
	.amdhsa_kernel _ZN9rocsparseL32bsr2csr_block_per_row_2_7_kernelILj256ELj5EiiiEEv20rocsparse_direction_T3_S2_21rocsparse_index_base_PKT1_PKT2_PKS2_S2_S3_PS4_PS7_PS2_
		.amdhsa_group_segment_fixed_size 0
		.amdhsa_private_segment_fixed_size 0
		.amdhsa_kernarg_size 72
		.amdhsa_user_sgpr_count 6
		.amdhsa_user_sgpr_private_segment_buffer 1
		.amdhsa_user_sgpr_dispatch_ptr 0
		.amdhsa_user_sgpr_queue_ptr 0
		.amdhsa_user_sgpr_kernarg_segment_ptr 1
		.amdhsa_user_sgpr_dispatch_id 0
		.amdhsa_user_sgpr_flat_scratch_init 0
		.amdhsa_user_sgpr_kernarg_preload_length 0
		.amdhsa_user_sgpr_kernarg_preload_offset 0
		.amdhsa_user_sgpr_private_segment_size 0
		.amdhsa_uses_dynamic_stack 0
		.amdhsa_system_sgpr_private_segment_wavefront_offset 0
		.amdhsa_system_sgpr_workgroup_id_x 1
		.amdhsa_system_sgpr_workgroup_id_y 0
		.amdhsa_system_sgpr_workgroup_id_z 0
		.amdhsa_system_sgpr_workgroup_info 0
		.amdhsa_system_vgpr_workitem_id 0
		.amdhsa_next_free_vgpr 26
		.amdhsa_next_free_sgpr 16
		.amdhsa_accum_offset 28
		.amdhsa_reserve_vcc 1
		.amdhsa_reserve_flat_scratch 0
		.amdhsa_float_round_mode_32 0
		.amdhsa_float_round_mode_16_64 0
		.amdhsa_float_denorm_mode_32 3
		.amdhsa_float_denorm_mode_16_64 3
		.amdhsa_dx10_clamp 1
		.amdhsa_ieee_mode 1
		.amdhsa_fp16_overflow 0
		.amdhsa_tg_split 0
		.amdhsa_exception_fp_ieee_invalid_op 0
		.amdhsa_exception_fp_denorm_src 0
		.amdhsa_exception_fp_ieee_div_zero 0
		.amdhsa_exception_fp_ieee_overflow 0
		.amdhsa_exception_fp_ieee_underflow 0
		.amdhsa_exception_fp_ieee_inexact 0
		.amdhsa_exception_int_div_zero 0
	.end_amdhsa_kernel
	.section	.text._ZN9rocsparseL32bsr2csr_block_per_row_2_7_kernelILj256ELj5EiiiEEv20rocsparse_direction_T3_S2_21rocsparse_index_base_PKT1_PKT2_PKS2_S2_S3_PS4_PS7_PS2_,"axG",@progbits,_ZN9rocsparseL32bsr2csr_block_per_row_2_7_kernelILj256ELj5EiiiEEv20rocsparse_direction_T3_S2_21rocsparse_index_base_PKT1_PKT2_PKS2_S2_S3_PS4_PS7_PS2_,comdat
.Lfunc_end4:
	.size	_ZN9rocsparseL32bsr2csr_block_per_row_2_7_kernelILj256ELj5EiiiEEv20rocsparse_direction_T3_S2_21rocsparse_index_base_PKT1_PKT2_PKS2_S2_S3_PS4_PS7_PS2_, .Lfunc_end4-_ZN9rocsparseL32bsr2csr_block_per_row_2_7_kernelILj256ELj5EiiiEEv20rocsparse_direction_T3_S2_21rocsparse_index_base_PKT1_PKT2_PKS2_S2_S3_PS4_PS7_PS2_
                                        ; -- End function
	.section	.AMDGPU.csdata,"",@progbits
; Kernel info:
; codeLenInByte = 768
; NumSgprs: 20
; NumVgprs: 26
; NumAgprs: 0
; TotalNumVgprs: 26
; ScratchSize: 0
; MemoryBound: 0
; FloatMode: 240
; IeeeMode: 1
; LDSByteSize: 0 bytes/workgroup (compile time only)
; SGPRBlocks: 2
; VGPRBlocks: 3
; NumSGPRsForWavesPerEU: 20
; NumVGPRsForWavesPerEU: 26
; AccumOffset: 28
; Occupancy: 8
; WaveLimiterHint : 1
; COMPUTE_PGM_RSRC2:SCRATCH_EN: 0
; COMPUTE_PGM_RSRC2:USER_SGPR: 6
; COMPUTE_PGM_RSRC2:TRAP_HANDLER: 0
; COMPUTE_PGM_RSRC2:TGID_X_EN: 1
; COMPUTE_PGM_RSRC2:TGID_Y_EN: 0
; COMPUTE_PGM_RSRC2:TGID_Z_EN: 0
; COMPUTE_PGM_RSRC2:TIDIG_COMP_CNT: 0
; COMPUTE_PGM_RSRC3_GFX90A:ACCUM_OFFSET: 6
; COMPUTE_PGM_RSRC3_GFX90A:TG_SPLIT: 0
	.section	.text._ZN9rocsparseL32bsr2csr_block_per_row_2_7_kernelILj256ELj6EiiiEEv20rocsparse_direction_T3_S2_21rocsparse_index_base_PKT1_PKT2_PKS2_S2_S3_PS4_PS7_PS2_,"axG",@progbits,_ZN9rocsparseL32bsr2csr_block_per_row_2_7_kernelILj256ELj6EiiiEEv20rocsparse_direction_T3_S2_21rocsparse_index_base_PKT1_PKT2_PKS2_S2_S3_PS4_PS7_PS2_,comdat
	.globl	_ZN9rocsparseL32bsr2csr_block_per_row_2_7_kernelILj256ELj6EiiiEEv20rocsparse_direction_T3_S2_21rocsparse_index_base_PKT1_PKT2_PKS2_S2_S3_PS4_PS7_PS2_ ; -- Begin function _ZN9rocsparseL32bsr2csr_block_per_row_2_7_kernelILj256ELj6EiiiEEv20rocsparse_direction_T3_S2_21rocsparse_index_base_PKT1_PKT2_PKS2_S2_S3_PS4_PS7_PS2_
	.p2align	8
	.type	_ZN9rocsparseL32bsr2csr_block_per_row_2_7_kernelILj256ELj6EiiiEEv20rocsparse_direction_T3_S2_21rocsparse_index_base_PKT1_PKT2_PKS2_S2_S3_PS4_PS7_PS2_,@function
_ZN9rocsparseL32bsr2csr_block_per_row_2_7_kernelILj256ELj6EiiiEEv20rocsparse_direction_T3_S2_21rocsparse_index_base_PKT1_PKT2_PKS2_S2_S3_PS4_PS7_PS2_: ; @_ZN9rocsparseL32bsr2csr_block_per_row_2_7_kernelILj256ELj6EiiiEEv20rocsparse_direction_T3_S2_21rocsparse_index_base_PKT1_PKT2_PKS2_S2_S3_PS4_PS7_PS2_
; %bb.0:
	s_load_dwordx2 s[2:3], s[4:5], 0x18
	s_load_dword s15, s[4:5], 0x2c
	s_load_dwordx2 s[0:1], s[4:5], 0x38
	s_ashr_i32 s7, s6, 31
	s_lshl_b64 s[8:9], s[6:7], 2
	s_waitcnt lgkmcnt(0)
	s_add_u32 s2, s2, s8
	v_or_b32_e32 v1, s6, v0
	s_addc_u32 s3, s3, s9
	v_cmp_eq_u32_e32 vcc, 0, v1
	s_and_saveexec_b64 s[8:9], vcc
	s_cbranch_execz .LBB5_2
; %bb.1:
	v_mov_b32_e32 v1, 0
	v_mov_b32_e32 v2, s15
	global_store_dword v1, v2, s[0:1]
.LBB5_2:
	s_or_b64 exec, exec, s[8:9]
	v_and_b32_e32 v4, 7, v0
	v_cmp_gt_u32_e32 vcc, 6, v4
	s_and_saveexec_b64 s[8:9], vcc
	s_cbranch_execz .LBB5_6
; %bb.3:
	s_load_dwordx2 s[12:13], s[2:3], 0x0
	s_load_dword s14, s[4:5], 0xc
	v_lshrrev_b32_e32 v3, 3, v0
	v_mov_b32_e32 v1, 0
	s_waitcnt lgkmcnt(0)
	s_sub_i32 s2, s12, s14
	s_sub_i32 s13, s13, s14
	;; [unrolled: 1-line block ×3, first 2 shown]
	s_mul_i32 s7, s7, 6
	s_mul_i32 s3, s2, 36
	v_mul_lo_u32 v6, s7, v4
	s_add_i32 s7, s7, s15
	s_add_i32 s7, s7, s3
	s_mul_i32 s3, s6, 6
	v_add3_u32 v0, v4, s3, 1
	v_lshlrev_b64 v[8:9], 2, v[0:1]
	v_mov_b32_e32 v0, s1
	v_add_co_u32_e32 v8, vcc, s0, v8
	v_add_u32_e32 v2, s7, v6
	v_addc_co_u32_e32 v9, vcc, v0, v9, vcc
	global_store_dword v[8:9], v2, off
	v_add_u32_e32 v2, s2, v3
	v_cmp_gt_i32_e32 vcc, s13, v2
	s_and_b64 exec, exec, vcc
	s_cbranch_execz .LBB5_6
; %bb.4:
	s_load_dwordx2 s[2:3], s[4:5], 0x20
	s_load_dwordx2 s[6:7], s[4:5], 0x30
	s_load_dword s0, s[4:5], 0x0
	s_load_dwordx2 s[8:9], s[4:5], 0x10
	s_load_dwordx2 s[10:11], s[4:5], 0x40
	v_mul_u32_u24_e32 v9, 5, v4
	v_mul_u32_u24_e32 v0, 6, v3
	s_waitcnt lgkmcnt(0)
	s_cmp_eq_u32 s0, 0
	v_mad_u64_u32 v[4:5], s[0:1], v2, 36, v[4:5]
	s_mul_i32 s0, s12, 36
	v_add3_u32 v0, v6, s0, v0
	s_mul_i32 s0, s14, 36
	s_cselect_b64 vcc, -1, 0
	v_subrev_u32_e32 v6, s0, v0
	s_mov_b64 s[4:5], 0
	v_mov_b32_e32 v5, s3
	v_mov_b32_e32 v8, s15
	;; [unrolled: 1-line block ×5, first 2 shown]
.LBB5_5:                                ; =>This Inner Loop Header: Depth=1
	v_ashrrev_i32_e32 v3, 31, v2
	v_add_u32_e32 v7, v9, v4
	v_lshlrev_b64 v[14:15], 2, v[2:3]
	v_cndmask_b32_e32 v0, v4, v7, vcc
	v_add_co_u32_e64 v14, s[0:1], s2, v14
	v_add_u32_e32 v13, 6, v4
	v_add_u32_e32 v3, 1, v7
	v_addc_co_u32_e64 v15, s[0:1], v5, v15, s[0:1]
	v_lshlrev_b64 v[16:17], 2, v[0:1]
	v_cndmask_b32_e32 v0, v13, v3, vcc
	v_add_co_u32_e64 v16, s[0:1], s8, v16
	v_add_u32_e32 v18, 12, v4
	v_add_u32_e32 v19, 2, v7
	global_load_dword v3, v[14:15], off
	v_addc_co_u32_e64 v17, s[0:1], v11, v17, s[0:1]
	v_lshlrev_b64 v[14:15], 2, v[0:1]
	v_cndmask_b32_e32 v0, v18, v19, vcc
	v_add_co_u32_e64 v18, s[0:1], s8, v14
	v_add_u32_e32 v22, 18, v4
	v_add_u32_e32 v25, 3, v7
	v_addc_co_u32_e64 v19, s[0:1], v11, v15, s[0:1]
	v_lshlrev_b64 v[20:21], 2, v[0:1]
	v_cndmask_b32_e32 v0, v22, v25, vcc
	global_load_dword v14, v[16:17], off
	global_load_dword v15, v[18:19], off
	v_add_co_u32_e64 v18, s[0:1], s8, v20
	v_add_u32_e32 v23, 24, v4
	v_add_u32_e32 v26, 4, v7
	v_addc_co_u32_e64 v19, s[0:1], v11, v21, s[0:1]
	v_lshlrev_b64 v[16:17], 2, v[0:1]
	v_cndmask_b32_e32 v0, v23, v26, vcc
	v_add_co_u32_e64 v20, s[0:1], s8, v16
	v_add_u32_e32 v24, 30, v4
	v_add_u32_e32 v7, 5, v7
	v_addc_co_u32_e64 v21, s[0:1], v11, v17, s[0:1]
	v_lshlrev_b64 v[22:23], 2, v[0:1]
	v_cndmask_b32_e32 v0, v24, v7, vcc
	global_load_dword v16, v[18:19], off
	global_load_dword v17, v[20:21], off
	v_add_co_u32_e64 v18, s[0:1], s8, v22
	v_addc_co_u32_e64 v19, s[0:1], v11, v23, s[0:1]
	v_lshlrev_b64 v[20:21], 2, v[0:1]
	v_add_co_u32_e64 v20, s[0:1], s8, v20
	v_addc_co_u32_e64 v21, s[0:1], v11, v21, s[0:1]
	global_load_dword v22, v[18:19], off
	global_load_dword v23, v[20:21], off
	v_ashrrev_i32_e32 v7, 31, v6
	v_lshlrev_b64 v[18:19], 2, v[6:7]
	v_add_co_u32_e64 v24, s[0:1], s10, v18
	v_addc_co_u32_e64 v25, s[0:1], v10, v19, s[0:1]
	v_add_co_u32_e64 v26, s[0:1], s6, v18
	v_add_u32_e32 v2, 32, v2
	v_addc_co_u32_e64 v27, s[0:1], v12, v19, s[0:1]
	v_cmp_le_i32_e64 s[0:1], s13, v2
	s_or_b64 s[4:5], s[0:1], s[4:5]
	v_add_u32_e32 v4, 0x480, v4
	v_add_u32_e32 v6, 0xc0, v6
	s_waitcnt vmcnt(6)
	v_subrev_u32_e32 v0, s14, v3
	v_mad_u64_u32 v[18:19], s[0:1], v0, 6, v[8:9]
	v_add_u32_e32 v19, 1, v18
	v_add_u32_e32 v20, 2, v18
	v_add_u32_e32 v21, 3, v18
	v_add_u32_e32 v28, 4, v18
	v_add_u32_e32 v29, 5, v18
	global_store_dwordx4 v[24:25], v[18:21], off
	global_store_dwordx2 v[24:25], v[28:29], off offset:16
	s_waitcnt vmcnt(4)
	global_store_dwordx4 v[26:27], v[14:17], off
	s_waitcnt vmcnt(3)
	global_store_dwordx2 v[26:27], v[22:23], off offset:16
	s_andn2_b64 exec, exec, s[4:5]
	s_cbranch_execnz .LBB5_5
.LBB5_6:
	s_endpgm
	.section	.rodata,"a",@progbits
	.p2align	6, 0x0
	.amdhsa_kernel _ZN9rocsparseL32bsr2csr_block_per_row_2_7_kernelILj256ELj6EiiiEEv20rocsparse_direction_T3_S2_21rocsparse_index_base_PKT1_PKT2_PKS2_S2_S3_PS4_PS7_PS2_
		.amdhsa_group_segment_fixed_size 0
		.amdhsa_private_segment_fixed_size 0
		.amdhsa_kernarg_size 72
		.amdhsa_user_sgpr_count 6
		.amdhsa_user_sgpr_private_segment_buffer 1
		.amdhsa_user_sgpr_dispatch_ptr 0
		.amdhsa_user_sgpr_queue_ptr 0
		.amdhsa_user_sgpr_kernarg_segment_ptr 1
		.amdhsa_user_sgpr_dispatch_id 0
		.amdhsa_user_sgpr_flat_scratch_init 0
		.amdhsa_user_sgpr_kernarg_preload_length 0
		.amdhsa_user_sgpr_kernarg_preload_offset 0
		.amdhsa_user_sgpr_private_segment_size 0
		.amdhsa_uses_dynamic_stack 0
		.amdhsa_system_sgpr_private_segment_wavefront_offset 0
		.amdhsa_system_sgpr_workgroup_id_x 1
		.amdhsa_system_sgpr_workgroup_id_y 0
		.amdhsa_system_sgpr_workgroup_id_z 0
		.amdhsa_system_sgpr_workgroup_info 0
		.amdhsa_system_vgpr_workitem_id 0
		.amdhsa_next_free_vgpr 30
		.amdhsa_next_free_sgpr 16
		.amdhsa_accum_offset 32
		.amdhsa_reserve_vcc 1
		.amdhsa_reserve_flat_scratch 0
		.amdhsa_float_round_mode_32 0
		.amdhsa_float_round_mode_16_64 0
		.amdhsa_float_denorm_mode_32 3
		.amdhsa_float_denorm_mode_16_64 3
		.amdhsa_dx10_clamp 1
		.amdhsa_ieee_mode 1
		.amdhsa_fp16_overflow 0
		.amdhsa_tg_split 0
		.amdhsa_exception_fp_ieee_invalid_op 0
		.amdhsa_exception_fp_denorm_src 0
		.amdhsa_exception_fp_ieee_div_zero 0
		.amdhsa_exception_fp_ieee_overflow 0
		.amdhsa_exception_fp_ieee_underflow 0
		.amdhsa_exception_fp_ieee_inexact 0
		.amdhsa_exception_int_div_zero 0
	.end_amdhsa_kernel
	.section	.text._ZN9rocsparseL32bsr2csr_block_per_row_2_7_kernelILj256ELj6EiiiEEv20rocsparse_direction_T3_S2_21rocsparse_index_base_PKT1_PKT2_PKS2_S2_S3_PS4_PS7_PS2_,"axG",@progbits,_ZN9rocsparseL32bsr2csr_block_per_row_2_7_kernelILj256ELj6EiiiEEv20rocsparse_direction_T3_S2_21rocsparse_index_base_PKT1_PKT2_PKS2_S2_S3_PS4_PS7_PS2_,comdat
.Lfunc_end5:
	.size	_ZN9rocsparseL32bsr2csr_block_per_row_2_7_kernelILj256ELj6EiiiEEv20rocsparse_direction_T3_S2_21rocsparse_index_base_PKT1_PKT2_PKS2_S2_S3_PS4_PS7_PS2_, .Lfunc_end5-_ZN9rocsparseL32bsr2csr_block_per_row_2_7_kernelILj256ELj6EiiiEEv20rocsparse_direction_T3_S2_21rocsparse_index_base_PKT1_PKT2_PKS2_S2_S3_PS4_PS7_PS2_
                                        ; -- End function
	.section	.AMDGPU.csdata,"",@progbits
; Kernel info:
; codeLenInByte = 792
; NumSgprs: 20
; NumVgprs: 30
; NumAgprs: 0
; TotalNumVgprs: 30
; ScratchSize: 0
; MemoryBound: 0
; FloatMode: 240
; IeeeMode: 1
; LDSByteSize: 0 bytes/workgroup (compile time only)
; SGPRBlocks: 2
; VGPRBlocks: 3
; NumSGPRsForWavesPerEU: 20
; NumVGPRsForWavesPerEU: 30
; AccumOffset: 32
; Occupancy: 8
; WaveLimiterHint : 0
; COMPUTE_PGM_RSRC2:SCRATCH_EN: 0
; COMPUTE_PGM_RSRC2:USER_SGPR: 6
; COMPUTE_PGM_RSRC2:TRAP_HANDLER: 0
; COMPUTE_PGM_RSRC2:TGID_X_EN: 1
; COMPUTE_PGM_RSRC2:TGID_Y_EN: 0
; COMPUTE_PGM_RSRC2:TGID_Z_EN: 0
; COMPUTE_PGM_RSRC2:TIDIG_COMP_CNT: 0
; COMPUTE_PGM_RSRC3_GFX90A:ACCUM_OFFSET: 7
; COMPUTE_PGM_RSRC3_GFX90A:TG_SPLIT: 0
	.section	.text._ZN9rocsparseL32bsr2csr_block_per_row_2_7_kernelILj256ELj7EiiiEEv20rocsparse_direction_T3_S2_21rocsparse_index_base_PKT1_PKT2_PKS2_S2_S3_PS4_PS7_PS2_,"axG",@progbits,_ZN9rocsparseL32bsr2csr_block_per_row_2_7_kernelILj256ELj7EiiiEEv20rocsparse_direction_T3_S2_21rocsparse_index_base_PKT1_PKT2_PKS2_S2_S3_PS4_PS7_PS2_,comdat
	.globl	_ZN9rocsparseL32bsr2csr_block_per_row_2_7_kernelILj256ELj7EiiiEEv20rocsparse_direction_T3_S2_21rocsparse_index_base_PKT1_PKT2_PKS2_S2_S3_PS4_PS7_PS2_ ; -- Begin function _ZN9rocsparseL32bsr2csr_block_per_row_2_7_kernelILj256ELj7EiiiEEv20rocsparse_direction_T3_S2_21rocsparse_index_base_PKT1_PKT2_PKS2_S2_S3_PS4_PS7_PS2_
	.p2align	8
	.type	_ZN9rocsparseL32bsr2csr_block_per_row_2_7_kernelILj256ELj7EiiiEEv20rocsparse_direction_T3_S2_21rocsparse_index_base_PKT1_PKT2_PKS2_S2_S3_PS4_PS7_PS2_,@function
_ZN9rocsparseL32bsr2csr_block_per_row_2_7_kernelILj256ELj7EiiiEEv20rocsparse_direction_T3_S2_21rocsparse_index_base_PKT1_PKT2_PKS2_S2_S3_PS4_PS7_PS2_: ; @_ZN9rocsparseL32bsr2csr_block_per_row_2_7_kernelILj256ELj7EiiiEEv20rocsparse_direction_T3_S2_21rocsparse_index_base_PKT1_PKT2_PKS2_S2_S3_PS4_PS7_PS2_
; %bb.0:
	s_load_dwordx2 s[2:3], s[4:5], 0x18
	s_load_dword s15, s[4:5], 0x2c
	s_load_dwordx2 s[0:1], s[4:5], 0x38
	s_ashr_i32 s7, s6, 31
	s_lshl_b64 s[8:9], s[6:7], 2
	s_waitcnt lgkmcnt(0)
	s_add_u32 s2, s2, s8
	v_or_b32_e32 v1, s6, v0
	s_addc_u32 s3, s3, s9
	v_cmp_eq_u32_e32 vcc, 0, v1
	s_and_saveexec_b64 s[8:9], vcc
	s_cbranch_execz .LBB6_2
; %bb.1:
	v_mov_b32_e32 v1, 0
	v_mov_b32_e32 v2, s15
	global_store_dword v1, v2, s[0:1]
.LBB6_2:
	s_or_b64 exec, exec, s[8:9]
	v_and_b32_e32 v4, 7, v0
	v_cmp_ne_u32_e32 vcc, 7, v4
	s_and_saveexec_b64 s[8:9], vcc
	s_cbranch_execz .LBB6_6
; %bb.3:
	s_load_dwordx2 s[12:13], s[2:3], 0x0
	s_load_dword s14, s[4:5], 0xc
	v_lshrrev_b32_e32 v3, 3, v0
	v_mov_b32_e32 v1, 0
	s_waitcnt lgkmcnt(0)
	s_sub_i32 s2, s12, s14
	s_sub_i32 s13, s13, s14
	;; [unrolled: 1-line block ×3, first 2 shown]
	s_mul_i32 s7, s7, 7
	s_mul_i32 s3, s2, 49
	v_mul_lo_u32 v6, s7, v4
	s_add_i32 s7, s7, s15
	s_add_i32 s7, s7, s3
	s_mul_i32 s3, s6, 7
	v_add3_u32 v0, v4, s3, 1
	v_lshlrev_b64 v[8:9], 2, v[0:1]
	v_mov_b32_e32 v0, s1
	v_add_co_u32_e32 v8, vcc, s0, v8
	v_add_u32_e32 v2, s7, v6
	v_addc_co_u32_e32 v9, vcc, v0, v9, vcc
	global_store_dword v[8:9], v2, off
	v_add_u32_e32 v2, s2, v3
	v_cmp_gt_i32_e32 vcc, s13, v2
	s_and_b64 exec, exec, vcc
	s_cbranch_execz .LBB6_6
; %bb.4:
	s_load_dwordx2 s[2:3], s[4:5], 0x20
	s_load_dwordx2 s[6:7], s[4:5], 0x30
	s_load_dword s0, s[4:5], 0x0
	s_load_dwordx2 s[8:9], s[4:5], 0x10
	s_load_dwordx2 s[10:11], s[4:5], 0x40
	v_mul_u32_u24_e32 v9, 6, v4
	v_mul_u32_u24_e32 v0, 7, v3
	s_waitcnt lgkmcnt(0)
	s_cmp_eq_u32 s0, 0
	v_mad_u64_u32 v[4:5], s[0:1], v2, 49, v[4:5]
	s_mul_i32 s0, s12, 49
	v_add3_u32 v0, v6, s0, v0
	s_mul_i32 s0, s14, 49
	s_cselect_b64 vcc, -1, 0
	v_subrev_u32_e32 v6, s0, v0
	s_mov_b64 s[4:5], 0
	v_mov_b32_e32 v5, s3
	v_mov_b32_e32 v8, s15
	;; [unrolled: 1-line block ×5, first 2 shown]
.LBB6_5:                                ; =>This Inner Loop Header: Depth=1
	v_ashrrev_i32_e32 v3, 31, v2
	v_add_u32_e32 v7, v9, v4
	v_lshlrev_b64 v[14:15], 2, v[2:3]
	v_cndmask_b32_e32 v0, v4, v7, vcc
	v_add_co_u32_e64 v14, s[0:1], s2, v14
	v_add_u32_e32 v13, 7, v4
	v_add_u32_e32 v3, 1, v7
	v_addc_co_u32_e64 v15, s[0:1], v5, v15, s[0:1]
	v_lshlrev_b64 v[16:17], 2, v[0:1]
	v_cndmask_b32_e32 v0, v13, v3, vcc
	global_load_dword v3, v[14:15], off
	v_add_co_u32_e64 v14, s[0:1], s8, v16
	v_add_u32_e32 v18, 14, v4
	v_add_u32_e32 v19, 2, v7
	v_addc_co_u32_e64 v15, s[0:1], v11, v17, s[0:1]
	v_lshlrev_b64 v[16:17], 2, v[0:1]
	v_cndmask_b32_e32 v0, v18, v19, vcc
	v_add_co_u32_e64 v18, s[0:1], s8, v16
	v_add_u32_e32 v20, 21, v4
	v_add_u32_e32 v21, 3, v7
	v_addc_co_u32_e64 v19, s[0:1], v11, v17, s[0:1]
	v_lshlrev_b64 v[16:17], 2, v[0:1]
	v_cndmask_b32_e32 v0, v20, v21, vcc
	v_add_co_u32_e64 v20, s[0:1], s8, v16
	v_add_u32_e32 v24, 28, v4
	v_add_u32_e32 v27, 4, v7
	v_addc_co_u32_e64 v21, s[0:1], v11, v17, s[0:1]
	v_lshlrev_b64 v[22:23], 2, v[0:1]
	global_load_dword v14, v[14:15], off
	v_cndmask_b32_e32 v0, v24, v27, vcc
	global_load_dword v15, v[18:19], off
	global_load_dword v16, v[20:21], off
	v_add_co_u32_e64 v18, s[0:1], s8, v22
	v_add_u32_e32 v25, 35, v4
	v_add_u32_e32 v28, 5, v7
	v_addc_co_u32_e64 v19, s[0:1], v11, v23, s[0:1]
	v_lshlrev_b64 v[20:21], 2, v[0:1]
	v_cndmask_b32_e32 v0, v25, v28, vcc
	v_add_co_u32_e64 v20, s[0:1], s8, v20
	v_add_u32_e32 v26, 42, v4
	v_add_u32_e32 v7, 6, v7
	v_addc_co_u32_e64 v21, s[0:1], v11, v21, s[0:1]
	v_lshlrev_b64 v[24:25], 2, v[0:1]
	v_cndmask_b32_e32 v0, v26, v7, vcc
	global_load_dword v17, v[18:19], off
	global_load_dword v22, v[20:21], off
	v_add_co_u32_e64 v18, s[0:1], s8, v24
	v_addc_co_u32_e64 v19, s[0:1], v11, v25, s[0:1]
	v_lshlrev_b64 v[20:21], 2, v[0:1]
	v_add_co_u32_e64 v20, s[0:1], s8, v20
	v_addc_co_u32_e64 v21, s[0:1], v11, v21, s[0:1]
	global_load_dword v23, v[18:19], off
	global_load_dword v24, v[20:21], off
	v_ashrrev_i32_e32 v7, 31, v6
	v_lshlrev_b64 v[18:19], 2, v[6:7]
	v_add_co_u32_e64 v30, s[0:1], s10, v18
	v_addc_co_u32_e64 v31, s[0:1], v10, v19, s[0:1]
	v_add_co_u32_e64 v32, s[0:1], s6, v18
	v_add_u32_e32 v2, 32, v2
	v_addc_co_u32_e64 v33, s[0:1], v12, v19, s[0:1]
	v_cmp_le_i32_e64 s[0:1], s13, v2
	s_or_b64 s[4:5], s[0:1], s[4:5]
	v_add_u32_e32 v4, 0x620, v4
	v_add_u32_e32 v6, 0xe0, v6
	s_waitcnt vmcnt(7)
	v_subrev_u32_e32 v0, s14, v3
	v_mad_u64_u32 v[18:19], s[0:1], v0, 7, v[8:9]
	v_add_u32_e32 v19, 1, v18
	v_add_u32_e32 v20, 2, v18
	;; [unrolled: 1-line block ×6, first 2 shown]
	global_store_dwordx4 v[30:31], v[18:21], off
	global_store_dwordx3 v[30:31], v[26:28], off offset:16
	s_waitcnt vmcnt(5)
	global_store_dwordx4 v[32:33], v[14:17], off
	s_waitcnt vmcnt(3)
	global_store_dwordx3 v[32:33], v[22:24], off offset:16
	s_andn2_b64 exec, exec, s[4:5]
	s_cbranch_execnz .LBB6_5
.LBB6_6:
	s_endpgm
	.section	.rodata,"a",@progbits
	.p2align	6, 0x0
	.amdhsa_kernel _ZN9rocsparseL32bsr2csr_block_per_row_2_7_kernelILj256ELj7EiiiEEv20rocsparse_direction_T3_S2_21rocsparse_index_base_PKT1_PKT2_PKS2_S2_S3_PS4_PS7_PS2_
		.amdhsa_group_segment_fixed_size 0
		.amdhsa_private_segment_fixed_size 0
		.amdhsa_kernarg_size 72
		.amdhsa_user_sgpr_count 6
		.amdhsa_user_sgpr_private_segment_buffer 1
		.amdhsa_user_sgpr_dispatch_ptr 0
		.amdhsa_user_sgpr_queue_ptr 0
		.amdhsa_user_sgpr_kernarg_segment_ptr 1
		.amdhsa_user_sgpr_dispatch_id 0
		.amdhsa_user_sgpr_flat_scratch_init 0
		.amdhsa_user_sgpr_kernarg_preload_length 0
		.amdhsa_user_sgpr_kernarg_preload_offset 0
		.amdhsa_user_sgpr_private_segment_size 0
		.amdhsa_uses_dynamic_stack 0
		.amdhsa_system_sgpr_private_segment_wavefront_offset 0
		.amdhsa_system_sgpr_workgroup_id_x 1
		.amdhsa_system_sgpr_workgroup_id_y 0
		.amdhsa_system_sgpr_workgroup_id_z 0
		.amdhsa_system_sgpr_workgroup_info 0
		.amdhsa_system_vgpr_workitem_id 0
		.amdhsa_next_free_vgpr 34
		.amdhsa_next_free_sgpr 16
		.amdhsa_accum_offset 36
		.amdhsa_reserve_vcc 1
		.amdhsa_reserve_flat_scratch 0
		.amdhsa_float_round_mode_32 0
		.amdhsa_float_round_mode_16_64 0
		.amdhsa_float_denorm_mode_32 3
		.amdhsa_float_denorm_mode_16_64 3
		.amdhsa_dx10_clamp 1
		.amdhsa_ieee_mode 1
		.amdhsa_fp16_overflow 0
		.amdhsa_tg_split 0
		.amdhsa_exception_fp_ieee_invalid_op 0
		.amdhsa_exception_fp_denorm_src 0
		.amdhsa_exception_fp_ieee_div_zero 0
		.amdhsa_exception_fp_ieee_overflow 0
		.amdhsa_exception_fp_ieee_underflow 0
		.amdhsa_exception_fp_ieee_inexact 0
		.amdhsa_exception_int_div_zero 0
	.end_amdhsa_kernel
	.section	.text._ZN9rocsparseL32bsr2csr_block_per_row_2_7_kernelILj256ELj7EiiiEEv20rocsparse_direction_T3_S2_21rocsparse_index_base_PKT1_PKT2_PKS2_S2_S3_PS4_PS7_PS2_,"axG",@progbits,_ZN9rocsparseL32bsr2csr_block_per_row_2_7_kernelILj256ELj7EiiiEEv20rocsparse_direction_T3_S2_21rocsparse_index_base_PKT1_PKT2_PKS2_S2_S3_PS4_PS7_PS2_,comdat
.Lfunc_end6:
	.size	_ZN9rocsparseL32bsr2csr_block_per_row_2_7_kernelILj256ELj7EiiiEEv20rocsparse_direction_T3_S2_21rocsparse_index_base_PKT1_PKT2_PKS2_S2_S3_PS4_PS7_PS2_, .Lfunc_end6-_ZN9rocsparseL32bsr2csr_block_per_row_2_7_kernelILj256ELj7EiiiEEv20rocsparse_direction_T3_S2_21rocsparse_index_base_PKT1_PKT2_PKS2_S2_S3_PS4_PS7_PS2_
                                        ; -- End function
	.section	.AMDGPU.csdata,"",@progbits
; Kernel info:
; codeLenInByte = 840
; NumSgprs: 20
; NumVgprs: 34
; NumAgprs: 0
; TotalNumVgprs: 34
; ScratchSize: 0
; MemoryBound: 0
; FloatMode: 240
; IeeeMode: 1
; LDSByteSize: 0 bytes/workgroup (compile time only)
; SGPRBlocks: 2
; VGPRBlocks: 4
; NumSGPRsForWavesPerEU: 20
; NumVGPRsForWavesPerEU: 34
; AccumOffset: 36
; Occupancy: 8
; WaveLimiterHint : 0
; COMPUTE_PGM_RSRC2:SCRATCH_EN: 0
; COMPUTE_PGM_RSRC2:USER_SGPR: 6
; COMPUTE_PGM_RSRC2:TRAP_HANDLER: 0
; COMPUTE_PGM_RSRC2:TGID_X_EN: 1
; COMPUTE_PGM_RSRC2:TGID_Y_EN: 0
; COMPUTE_PGM_RSRC2:TGID_Z_EN: 0
; COMPUTE_PGM_RSRC2:TIDIG_COMP_CNT: 0
; COMPUTE_PGM_RSRC3_GFX90A:ACCUM_OFFSET: 8
; COMPUTE_PGM_RSRC3_GFX90A:TG_SPLIT: 0
	.section	.text._ZN9rocsparseL33bsr2csr_block_per_row_8_32_kernelILj1024ELj8EiiiEEv20rocsparse_direction_T3_S2_21rocsparse_index_base_PKT1_PKT2_PKS2_S2_S3_PS4_PS7_PS2_,"axG",@progbits,_ZN9rocsparseL33bsr2csr_block_per_row_8_32_kernelILj1024ELj8EiiiEEv20rocsparse_direction_T3_S2_21rocsparse_index_base_PKT1_PKT2_PKS2_S2_S3_PS4_PS7_PS2_,comdat
	.globl	_ZN9rocsparseL33bsr2csr_block_per_row_8_32_kernelILj1024ELj8EiiiEEv20rocsparse_direction_T3_S2_21rocsparse_index_base_PKT1_PKT2_PKS2_S2_S3_PS4_PS7_PS2_ ; -- Begin function _ZN9rocsparseL33bsr2csr_block_per_row_8_32_kernelILj1024ELj8EiiiEEv20rocsparse_direction_T3_S2_21rocsparse_index_base_PKT1_PKT2_PKS2_S2_S3_PS4_PS7_PS2_
	.p2align	8
	.type	_ZN9rocsparseL33bsr2csr_block_per_row_8_32_kernelILj1024ELj8EiiiEEv20rocsparse_direction_T3_S2_21rocsparse_index_base_PKT1_PKT2_PKS2_S2_S3_PS4_PS7_PS2_,@function
_ZN9rocsparseL33bsr2csr_block_per_row_8_32_kernelILj1024ELj8EiiiEEv20rocsparse_direction_T3_S2_21rocsparse_index_base_PKT1_PKT2_PKS2_S2_S3_PS4_PS7_PS2_: ; @_ZN9rocsparseL33bsr2csr_block_per_row_8_32_kernelILj1024ELj8EiiiEEv20rocsparse_direction_T3_S2_21rocsparse_index_base_PKT1_PKT2_PKS2_S2_S3_PS4_PS7_PS2_
; %bb.0:
	s_load_dwordx2 s[2:3], s[4:5], 0x18
	s_load_dwordx2 s[8:9], s[4:5], 0x28
	;; [unrolled: 1-line block ×3, first 2 shown]
	s_ashr_i32 s7, s6, 31
	s_lshl_b64 s[10:11], s[6:7], 2
	s_waitcnt lgkmcnt(0)
	s_add_u32 s2, s2, s10
	v_or_b32_e32 v1, s6, v0
	s_addc_u32 s3, s3, s11
	v_cmp_eq_u32_e32 vcc, 0, v1
	s_and_saveexec_b64 s[10:11], vcc
	s_cbranch_execz .LBB7_2
; %bb.1:
	v_mov_b32_e32 v1, 0
	v_mov_b32_e32 v2, s9
	global_store_dword v1, v2, s[0:1]
.LBB7_2:
	s_or_b64 exec, exec, s[10:11]
	v_and_b32_e32 v4, 7, v0
	v_bfe_u32 v10, v0, 3, 3
	v_max_i32_e32 v1, v10, v4
	v_cmp_gt_i32_e32 vcc, s8, v1
	s_and_saveexec_b64 s[10:11], vcc
	s_cbranch_execz .LBB7_15
; %bb.3:
	s_load_dwordx2 s[18:19], s[2:3], 0x0
	s_load_dword s22, s[4:5], 0xc
	s_mul_i32 s23, s8, s8
	v_lshrrev_b32_e32 v5, 6, v0
	v_mov_b32_e32 v6, s1
	s_waitcnt lgkmcnt(0)
	s_sub_i32 s24, s18, s22
	s_sub_i32 s19, s19, s22
	;; [unrolled: 1-line block ×3, first 2 shown]
	s_mul_i32 s3, s7, s8
	s_mul_i32 s2, s24, s23
	v_mul_lo_u32 v0, s3, v10
	v_add_u32_e32 v1, s2, v0
	s_mul_i32 s2, s6, s8
	v_add_u32_e32 v2, s2, v10
	v_ashrrev_i32_e32 v3, 31, v2
	v_lshlrev_b64 v[2:3], 2, v[2:3]
	s_add_i32 s3, s3, s9
	v_add_co_u32_e32 v2, vcc, s0, v2
	v_add_u32_e32 v0, s3, v1
	v_addc_co_u32_e32 v3, vcc, v6, v3, vcc
	global_store_dword v[2:3], v0, off offset:4
	v_add_u32_e32 v0, s24, v5
	v_cmp_gt_i32_e32 vcc, s19, v0
	s_and_b64 exec, exec, vcc
	s_cbranch_execz .LBB7_15
; %bb.4:
	s_load_dwordx2 s[10:11], s[4:5], 0x20
	s_load_dwordx2 s[12:13], s[4:5], 0x30
	s_load_dword s0, s[4:5], 0x0
	s_load_dwordx2 s[14:15], s[4:5], 0x10
	s_load_dwordx2 s[16:17], s[4:5], 0x40
	v_add_u32_e32 v3, s18, v5
	v_subrev_u32_e32 v3, s22, v3
	s_waitcnt lgkmcnt(0)
	s_cmp_eq_u32 s0, 0
	v_mad_u64_u32 v[6:7], s[0:1], v4, s8, v[10:11]
	v_mad_u64_u32 v[8:9], s[0:1], v10, s8, v[4:5]
	s_cselect_b64 vcc, -1, 0
	v_add_u32_e32 v3, 16, v3
	s_not_b32 s0, s18
	v_max_i32_e32 v3, s19, v3
	s_add_i32 s0, s0, s22
	v_add_u32_e32 v3, s0, v3
	v_sub_u32_e32 v9, v3, v5
	s_movk_i32 s0, 0x18f
	v_add_u32_e32 v2, s9, v4
	v_cmp_lt_u32_e64 s[0:1], s0, v9
	s_mov_b64 s[2:3], 0
	v_mul_lo_u32 v3, s7, v10
                                        ; implicit-def: $sgpr25
                                        ; implicit-def: $sgpr9
	s_and_saveexec_b64 s[4:5], s[0:1]
	s_xor_b64 s[20:21], exec, s[4:5]
	s_cbranch_execz .LBB7_10
; %bb.5:
	v_and_b32_e32 v3, -16, v9
	v_add_u32_e32 v3, v0, v3
	v_cmp_ge_i32_e64 s[0:1], v3, v0
	s_lshl_b32 s9, s8, 4
	s_mul_i32 s25, s24, s8
	v_mul_lo_u32 v3, s7, v10
	s_sub_i32 s6, 0, s9
	v_add3_u32 v5, v5, s25, v3
	v_mad_u64_u32 v[10:11], s[2:3], v5, s8, v[4:5]
	s_cmp_lt_i32 s9, 0
	s_cselect_b64 s[2:3], -1, 0
	s_and_b64 s[4:5], s[2:3], exec
	v_lshrrev_b32_e32 v7, 4, v9
	s_cselect_b32 s6, s6, s9
	v_mul_hi_u32 v5, s6, v7
	v_cmp_eq_u32_e64 s[4:5], 0, v5
	v_mul_lo_u32 v5, s6, v7
	v_add_u32_e32 v9, v10, v5
	v_sub_u32_e32 v5, v10, v5
	v_cmp_gt_i32_e64 s[6:7], v5, v10
	v_cndmask_b32_e64 v5, 0, 1, s[6:7]
	v_cmp_lt_i32_e64 s[6:7], v9, v10
	v_cndmask_b32_e64 v9, 0, 1, s[6:7]
	v_cndmask_b32_e64 v5, v9, v5, s[2:3]
	v_and_b32_e32 v5, 1, v5
	v_cmp_eq_u32_e64 s[2:3], 1, v5
	s_xor_b64 s[2:3], s[2:3], -1
	s_and_b64 s[2:3], s[2:3], s[4:5]
	s_mov_b64 s[6:7], -1
	s_and_b64 s[0:1], s[0:1], s[2:3]
	s_and_saveexec_b64 s[2:3], s[0:1]
	s_cbranch_execz .LBB7_9
; %bb.6:
	v_add_u32_e32 v5, 1, v7
	v_add_u32_e32 v10, v1, v4
	v_and_b32_e32 v7, 0x1ffffffe, v5
	v_add_u32_e32 v1, 16, v0
	v_cndmask_b32_e32 v12, v6, v8, vcc
	s_mov_b32 s6, s22
	s_mov_b32 s7, s24
	;; [unrolled: 1-line block ×4, first 2 shown]
	s_mov_b64 s[4:5], 0
	v_mov_b32_e32 v9, s11
	v_mov_b32_e32 v14, v10
	;; [unrolled: 1-line block ×8, first 2 shown]
	v_pk_mov_b32 v[20:21], v[0:1], v[0:1] op_sel:[0,1]
.LBB7_7:                                ; =>This Inner Loop Header: Depth=1
	v_ashrrev_i32_e32 v25, 31, v20
	v_mov_b32_e32 v24, v20
	v_mad_u64_u32 v[26:27], s[0:1], v20, s23, v[12:13]
	v_mad_u64_u32 v[28:29], s[0:1], v21, s27, v[18:19]
	v_lshlrev_b64 v[24:25], 2, v[24:25]
	v_ashrrev_i32_e32 v23, 31, v21
	v_mov_b32_e32 v22, v21
	v_add_co_u32_e64 v24, s[0:1], s10, v24
	v_lshlrev_b64 v[22:23], 2, v[22:23]
	v_addc_co_u32_e64 v25, s[0:1], v9, v25, s[0:1]
	v_ashrrev_i32_e32 v27, 31, v26
	v_add_co_u32_e64 v22, s[0:1], s10, v22
	v_addc_co_u32_e64 v23, s[0:1], v9, v23, s[0:1]
	v_lshlrev_b64 v[26:27], 2, v[26:27]
	v_ashrrev_i32_e32 v29, 31, v28
	global_load_dword v1, v[24:25], off
	global_load_dword v19, v[22:23], off
	v_add_co_u32_e64 v22, s[0:1], s14, v26
	v_lshlrev_b64 v[28:29], 2, v[28:29]
	v_addc_co_u32_e64 v23, s[0:1], v13, v27, s[0:1]
	v_add_co_u32_e64 v24, s[0:1], s14, v28
	v_addc_co_u32_e64 v25, s[0:1], v13, v29, s[0:1]
	global_load_dword v34, v[22:23], off
	global_load_dword v35, v[24:25], off
	v_subrev_u32_e32 v22, s24, v20
	v_subrev_u32_e32 v24, s7, v21
	v_mad_u64_u32 v[22:23], s[0:1], v22, s8, v[10:11]
	v_add_u32_e32 v17, -2, v17
	v_mad_u64_u32 v[24:25], s[0:1], v24, s26, v[14:15]
	v_ashrrev_i32_e32 v23, 31, v22
	v_cmp_eq_u32_e64 s[0:1], 0, v17
	v_lshlrev_b64 v[22:23], 2, v[22:23]
	v_ashrrev_i32_e32 v25, 31, v24
	s_or_b64 s[4:5], s[0:1], s[4:5]
	v_add_co_u32_e64 v26, s[0:1], s16, v22
	v_lshlrev_b64 v[24:25], 2, v[24:25]
	v_addc_co_u32_e64 v27, s[0:1], v11, v23, s[0:1]
	v_add_co_u32_e64 v28, s[0:1], s16, v24
	v_addc_co_u32_e64 v29, s[0:1], v11, v25, s[0:1]
	v_add_co_u32_e64 v22, s[0:1], s12, v22
	v_addc_co_u32_e64 v23, s[0:1], v15, v23, s[0:1]
	v_add_u32_e32 v21, 32, v21
	v_add_u32_e32 v20, 32, v20
	v_add_co_u32_e64 v24, s[0:1], s12, v24
	v_addc_co_u32_e64 v25, s[0:1], v15, v25, s[0:1]
	s_waitcnt vmcnt(3)
	v_subrev_u32_e32 v1, s22, v1
	s_waitcnt vmcnt(2)
	v_subrev_u32_e32 v19, s6, v19
	v_mad_u64_u32 v[30:31], s[0:1], v19, s26, v[16:17]
	v_mad_u64_u32 v[32:33], s[0:1], v1, s8, v[2:3]
	s_waitcnt vmcnt(1)
	global_store_dword v[22:23], v34, off
	s_waitcnt vmcnt(1)
	global_store_dword v[24:25], v35, off
	global_store_dword v[26:27], v32, off
	;; [unrolled: 1-line block ×3, first 2 shown]
	s_andn2_b64 exec, exec, s[4:5]
	s_cbranch_execnz .LBB7_7
; %bb.8:
	s_or_b64 exec, exec, s[4:5]
	v_cmp_ne_u32_e64 s[0:1], v5, v7
	v_lshl_add_u32 v0, v7, 4, v0
	s_orn2_b64 s[6:7], s[0:1], exec
.LBB7_9:
	s_or_b64 exec, exec, s[2:3]
	s_and_b64 s[2:3], s[6:7], exec
.LBB7_10:
	s_or_saveexec_b64 s[0:1], s[20:21]
	v_mov_b32_e32 v1, s25
	v_mov_b32_e32 v9, s9
	s_xor_b64 exec, exec, s[0:1]
; %bb.11:
	s_mul_i32 s4, s8, s24
	s_lshl_b32 s5, s8, 4
	v_mov_b32_e32 v1, s4
	v_mov_b32_e32 v9, s5
	s_or_b64 s[2:3], s[2:3], exec
; %bb.12:
	s_or_b64 exec, exec, s[0:1]
	s_and_b64 exec, exec, s[2:3]
	s_cbranch_execz .LBB7_15
; %bb.13:
	v_add_u32_e32 v5, s22, v0
	v_add3_u32 v1, v5, v1, v3
	v_cndmask_b32_e32 v6, v6, v8, vcc
	v_subrev_u32_e32 v1, s18, v1
	v_mad_u64_u32 v[6:7], s[0:1], v0, s23, v[6:7]
	v_mad_u64_u32 v[4:5], s[0:1], s8, v1, v[4:5]
	s_lshl_b32 s2, s23, 4
	s_mov_b64 s[0:1], 0
	v_mov_b32_e32 v3, s11
	v_mov_b32_e32 v8, s17
	;; [unrolled: 1-line block ×4, first 2 shown]
.LBB7_14:                               ; =>This Inner Loop Header: Depth=1
	v_ashrrev_i32_e32 v1, 31, v0
	v_lshlrev_b64 v[12:13], 2, v[0:1]
	v_add_co_u32_e32 v12, vcc, s10, v12
	v_addc_co_u32_e32 v13, vcc, v3, v13, vcc
	v_ashrrev_i32_e32 v7, 31, v6
	global_load_dword v1, v[12:13], off
	v_lshlrev_b64 v[12:13], 2, v[6:7]
	v_add_co_u32_e32 v12, vcc, s14, v12
	v_addc_co_u32_e32 v13, vcc, v10, v13, vcc
	global_load_dword v7, v[12:13], off
	v_ashrrev_i32_e32 v5, 31, v4
	v_lshlrev_b64 v[12:13], 2, v[4:5]
	v_add_co_u32_e32 v14, vcc, s16, v12
	v_addc_co_u32_e32 v15, vcc, v8, v13, vcc
	v_add_co_u32_e32 v12, vcc, s12, v12
	v_add_u32_e32 v0, 16, v0
	v_addc_co_u32_e32 v13, vcc, v11, v13, vcc
	v_cmp_le_i32_e32 vcc, s19, v0
	v_add_u32_e32 v6, s2, v6
	s_or_b64 s[0:1], vcc, s[0:1]
	v_add_u32_e32 v4, v4, v9
	s_waitcnt vmcnt(1)
	v_subrev_u32_e32 v1, s22, v1
	s_waitcnt vmcnt(0)
	global_store_dword v[12:13], v7, off
	v_mad_u64_u32 v[12:13], s[4:5], v1, s8, v[2:3]
	global_store_dword v[14:15], v12, off
	s_andn2_b64 exec, exec, s[0:1]
	s_cbranch_execnz .LBB7_14
.LBB7_15:
	s_endpgm
	.section	.rodata,"a",@progbits
	.p2align	6, 0x0
	.amdhsa_kernel _ZN9rocsparseL33bsr2csr_block_per_row_8_32_kernelILj1024ELj8EiiiEEv20rocsparse_direction_T3_S2_21rocsparse_index_base_PKT1_PKT2_PKS2_S2_S3_PS4_PS7_PS2_
		.amdhsa_group_segment_fixed_size 0
		.amdhsa_private_segment_fixed_size 0
		.amdhsa_kernarg_size 72
		.amdhsa_user_sgpr_count 6
		.amdhsa_user_sgpr_private_segment_buffer 1
		.amdhsa_user_sgpr_dispatch_ptr 0
		.amdhsa_user_sgpr_queue_ptr 0
		.amdhsa_user_sgpr_kernarg_segment_ptr 1
		.amdhsa_user_sgpr_dispatch_id 0
		.amdhsa_user_sgpr_flat_scratch_init 0
		.amdhsa_user_sgpr_kernarg_preload_length 0
		.amdhsa_user_sgpr_kernarg_preload_offset 0
		.amdhsa_user_sgpr_private_segment_size 0
		.amdhsa_uses_dynamic_stack 0
		.amdhsa_system_sgpr_private_segment_wavefront_offset 0
		.amdhsa_system_sgpr_workgroup_id_x 1
		.amdhsa_system_sgpr_workgroup_id_y 0
		.amdhsa_system_sgpr_workgroup_id_z 0
		.amdhsa_system_sgpr_workgroup_info 0
		.amdhsa_system_vgpr_workitem_id 0
		.amdhsa_next_free_vgpr 36
		.amdhsa_next_free_sgpr 28
		.amdhsa_accum_offset 36
		.amdhsa_reserve_vcc 1
		.amdhsa_reserve_flat_scratch 0
		.amdhsa_float_round_mode_32 0
		.amdhsa_float_round_mode_16_64 0
		.amdhsa_float_denorm_mode_32 3
		.amdhsa_float_denorm_mode_16_64 3
		.amdhsa_dx10_clamp 1
		.amdhsa_ieee_mode 1
		.amdhsa_fp16_overflow 0
		.amdhsa_tg_split 0
		.amdhsa_exception_fp_ieee_invalid_op 0
		.amdhsa_exception_fp_denorm_src 0
		.amdhsa_exception_fp_ieee_div_zero 0
		.amdhsa_exception_fp_ieee_overflow 0
		.amdhsa_exception_fp_ieee_underflow 0
		.amdhsa_exception_fp_ieee_inexact 0
		.amdhsa_exception_int_div_zero 0
	.end_amdhsa_kernel
	.section	.text._ZN9rocsparseL33bsr2csr_block_per_row_8_32_kernelILj1024ELj8EiiiEEv20rocsparse_direction_T3_S2_21rocsparse_index_base_PKT1_PKT2_PKS2_S2_S3_PS4_PS7_PS2_,"axG",@progbits,_ZN9rocsparseL33bsr2csr_block_per_row_8_32_kernelILj1024ELj8EiiiEEv20rocsparse_direction_T3_S2_21rocsparse_index_base_PKT1_PKT2_PKS2_S2_S3_PS4_PS7_PS2_,comdat
.Lfunc_end7:
	.size	_ZN9rocsparseL33bsr2csr_block_per_row_8_32_kernelILj1024ELj8EiiiEEv20rocsparse_direction_T3_S2_21rocsparse_index_base_PKT1_PKT2_PKS2_S2_S3_PS4_PS7_PS2_, .Lfunc_end7-_ZN9rocsparseL33bsr2csr_block_per_row_8_32_kernelILj1024ELj8EiiiEEv20rocsparse_direction_T3_S2_21rocsparse_index_base_PKT1_PKT2_PKS2_S2_S3_PS4_PS7_PS2_
                                        ; -- End function
	.section	.AMDGPU.csdata,"",@progbits
; Kernel info:
; codeLenInByte = 1312
; NumSgprs: 32
; NumVgprs: 36
; NumAgprs: 0
; TotalNumVgprs: 36
; ScratchSize: 0
; MemoryBound: 0
; FloatMode: 240
; IeeeMode: 1
; LDSByteSize: 0 bytes/workgroup (compile time only)
; SGPRBlocks: 3
; VGPRBlocks: 4
; NumSGPRsForWavesPerEU: 32
; NumVGPRsForWavesPerEU: 36
; AccumOffset: 36
; Occupancy: 8
; WaveLimiterHint : 0
; COMPUTE_PGM_RSRC2:SCRATCH_EN: 0
; COMPUTE_PGM_RSRC2:USER_SGPR: 6
; COMPUTE_PGM_RSRC2:TRAP_HANDLER: 0
; COMPUTE_PGM_RSRC2:TGID_X_EN: 1
; COMPUTE_PGM_RSRC2:TGID_Y_EN: 0
; COMPUTE_PGM_RSRC2:TGID_Z_EN: 0
; COMPUTE_PGM_RSRC2:TIDIG_COMP_CNT: 0
; COMPUTE_PGM_RSRC3_GFX90A:ACCUM_OFFSET: 8
; COMPUTE_PGM_RSRC3_GFX90A:TG_SPLIT: 0
	.section	.text._ZN9rocsparseL33bsr2csr_block_per_row_8_32_kernelILj1024ELj16EiiiEEv20rocsparse_direction_T3_S2_21rocsparse_index_base_PKT1_PKT2_PKS2_S2_S3_PS4_PS7_PS2_,"axG",@progbits,_ZN9rocsparseL33bsr2csr_block_per_row_8_32_kernelILj1024ELj16EiiiEEv20rocsparse_direction_T3_S2_21rocsparse_index_base_PKT1_PKT2_PKS2_S2_S3_PS4_PS7_PS2_,comdat
	.globl	_ZN9rocsparseL33bsr2csr_block_per_row_8_32_kernelILj1024ELj16EiiiEEv20rocsparse_direction_T3_S2_21rocsparse_index_base_PKT1_PKT2_PKS2_S2_S3_PS4_PS7_PS2_ ; -- Begin function _ZN9rocsparseL33bsr2csr_block_per_row_8_32_kernelILj1024ELj16EiiiEEv20rocsparse_direction_T3_S2_21rocsparse_index_base_PKT1_PKT2_PKS2_S2_S3_PS4_PS7_PS2_
	.p2align	8
	.type	_ZN9rocsparseL33bsr2csr_block_per_row_8_32_kernelILj1024ELj16EiiiEEv20rocsparse_direction_T3_S2_21rocsparse_index_base_PKT1_PKT2_PKS2_S2_S3_PS4_PS7_PS2_,@function
_ZN9rocsparseL33bsr2csr_block_per_row_8_32_kernelILj1024ELj16EiiiEEv20rocsparse_direction_T3_S2_21rocsparse_index_base_PKT1_PKT2_PKS2_S2_S3_PS4_PS7_PS2_: ; @_ZN9rocsparseL33bsr2csr_block_per_row_8_32_kernelILj1024ELj16EiiiEEv20rocsparse_direction_T3_S2_21rocsparse_index_base_PKT1_PKT2_PKS2_S2_S3_PS4_PS7_PS2_
; %bb.0:
	s_load_dwordx2 s[2:3], s[4:5], 0x18
	s_load_dwordx2 s[8:9], s[4:5], 0x28
	;; [unrolled: 1-line block ×3, first 2 shown]
	s_ashr_i32 s7, s6, 31
	s_lshl_b64 s[10:11], s[6:7], 2
	s_waitcnt lgkmcnt(0)
	s_add_u32 s2, s2, s10
	v_or_b32_e32 v1, s6, v0
	s_addc_u32 s3, s3, s11
	v_cmp_eq_u32_e32 vcc, 0, v1
	s_and_saveexec_b64 s[10:11], vcc
	s_cbranch_execz .LBB8_2
; %bb.1:
	v_mov_b32_e32 v1, 0
	v_mov_b32_e32 v2, s9
	global_store_dword v1, v2, s[0:1]
.LBB8_2:
	s_or_b64 exec, exec, s[10:11]
	v_and_b32_e32 v4, 15, v0
	v_bfe_u32 v10, v0, 4, 4
	v_max_i32_e32 v1, v10, v4
	v_cmp_gt_i32_e32 vcc, s8, v1
	s_and_saveexec_b64 s[10:11], vcc
	s_cbranch_execz .LBB8_15
; %bb.3:
	s_load_dwordx2 s[18:19], s[2:3], 0x0
	s_load_dword s22, s[4:5], 0xc
	s_mul_i32 s23, s8, s8
	v_lshrrev_b32_e32 v5, 8, v0
	v_mov_b32_e32 v6, s1
	s_waitcnt lgkmcnt(0)
	s_sub_i32 s24, s18, s22
	s_sub_i32 s19, s19, s22
	;; [unrolled: 1-line block ×3, first 2 shown]
	s_mul_i32 s3, s7, s8
	s_mul_i32 s2, s24, s23
	v_mul_lo_u32 v0, s3, v10
	v_add_u32_e32 v1, s2, v0
	s_mul_i32 s2, s6, s8
	v_add_u32_e32 v2, s2, v10
	v_ashrrev_i32_e32 v3, 31, v2
	v_lshlrev_b64 v[2:3], 2, v[2:3]
	s_add_i32 s3, s3, s9
	v_add_co_u32_e32 v2, vcc, s0, v2
	v_add_u32_e32 v0, s3, v1
	v_addc_co_u32_e32 v3, vcc, v6, v3, vcc
	global_store_dword v[2:3], v0, off offset:4
	v_add_u32_e32 v0, s24, v5
	v_cmp_gt_i32_e32 vcc, s19, v0
	s_and_b64 exec, exec, vcc
	s_cbranch_execz .LBB8_15
; %bb.4:
	s_load_dwordx2 s[10:11], s[4:5], 0x20
	s_load_dwordx2 s[12:13], s[4:5], 0x30
	s_load_dword s0, s[4:5], 0x0
	s_load_dwordx2 s[14:15], s[4:5], 0x10
	s_load_dwordx2 s[16:17], s[4:5], 0x40
	v_add_u32_e32 v3, s18, v5
	v_subrev_u32_e32 v3, s22, v3
	s_waitcnt lgkmcnt(0)
	s_cmp_eq_u32 s0, 0
	v_mad_u64_u32 v[6:7], s[0:1], v4, s8, v[10:11]
	v_mad_u64_u32 v[8:9], s[0:1], v10, s8, v[4:5]
	s_cselect_b64 vcc, -1, 0
	v_add_u32_e32 v3, 4, v3
	s_not_b32 s0, s18
	v_max_i32_e32 v3, s19, v3
	s_add_i32 s0, s0, s22
	v_add_u32_e32 v3, s0, v3
	v_sub_u32_e32 v9, v3, v5
	s_movk_i32 s0, 0x63
	v_add_u32_e32 v2, s9, v4
	v_cmp_lt_u32_e64 s[0:1], s0, v9
	s_mov_b64 s[2:3], 0
	v_mul_lo_u32 v3, s7, v10
                                        ; implicit-def: $sgpr25
                                        ; implicit-def: $sgpr9
	s_and_saveexec_b64 s[4:5], s[0:1]
	s_xor_b64 s[20:21], exec, s[4:5]
	s_cbranch_execz .LBB8_10
; %bb.5:
	v_and_b32_e32 v3, -4, v9
	v_add_u32_e32 v3, v0, v3
	v_cmp_ge_i32_e64 s[0:1], v3, v0
	s_lshl_b32 s9, s8, 2
	s_mul_i32 s25, s24, s8
	v_mul_lo_u32 v3, s7, v10
	s_sub_i32 s6, 0, s9
	v_add3_u32 v5, v5, s25, v3
	v_mad_u64_u32 v[10:11], s[2:3], v5, s8, v[4:5]
	s_cmp_lt_i32 s9, 0
	s_cselect_b64 s[2:3], -1, 0
	s_and_b64 s[4:5], s[2:3], exec
	v_lshrrev_b32_e32 v7, 2, v9
	s_cselect_b32 s6, s6, s9
	v_mul_hi_u32 v5, s6, v7
	v_cmp_eq_u32_e64 s[4:5], 0, v5
	v_mul_lo_u32 v5, s6, v7
	v_add_u32_e32 v9, v10, v5
	v_sub_u32_e32 v5, v10, v5
	v_cmp_gt_i32_e64 s[6:7], v5, v10
	v_cndmask_b32_e64 v5, 0, 1, s[6:7]
	v_cmp_lt_i32_e64 s[6:7], v9, v10
	v_cndmask_b32_e64 v9, 0, 1, s[6:7]
	v_cndmask_b32_e64 v5, v9, v5, s[2:3]
	v_and_b32_e32 v5, 1, v5
	v_cmp_eq_u32_e64 s[2:3], 1, v5
	s_xor_b64 s[2:3], s[2:3], -1
	s_and_b64 s[2:3], s[2:3], s[4:5]
	s_mov_b64 s[6:7], -1
	s_and_b64 s[0:1], s[0:1], s[2:3]
	s_and_saveexec_b64 s[2:3], s[0:1]
	s_cbranch_execz .LBB8_9
; %bb.6:
	v_add_u32_e32 v5, 1, v7
	v_add_u32_e32 v10, v1, v4
	v_and_b32_e32 v7, 0x7ffffffe, v5
	v_add_u32_e32 v1, 4, v0
	v_cndmask_b32_e32 v12, v6, v8, vcc
	s_mov_b32 s6, s22
	s_mov_b32 s7, s24
	;; [unrolled: 1-line block ×4, first 2 shown]
	s_mov_b64 s[4:5], 0
	v_mov_b32_e32 v9, s11
	v_mov_b32_e32 v14, v10
	;; [unrolled: 1-line block ×8, first 2 shown]
	v_pk_mov_b32 v[20:21], v[0:1], v[0:1] op_sel:[0,1]
.LBB8_7:                                ; =>This Inner Loop Header: Depth=1
	v_ashrrev_i32_e32 v25, 31, v20
	v_mov_b32_e32 v24, v20
	v_mad_u64_u32 v[26:27], s[0:1], v20, s23, v[12:13]
	v_mad_u64_u32 v[28:29], s[0:1], v21, s27, v[18:19]
	v_lshlrev_b64 v[24:25], 2, v[24:25]
	v_ashrrev_i32_e32 v23, 31, v21
	v_mov_b32_e32 v22, v21
	v_add_co_u32_e64 v24, s[0:1], s10, v24
	v_lshlrev_b64 v[22:23], 2, v[22:23]
	v_addc_co_u32_e64 v25, s[0:1], v9, v25, s[0:1]
	v_ashrrev_i32_e32 v27, 31, v26
	v_add_co_u32_e64 v22, s[0:1], s10, v22
	v_addc_co_u32_e64 v23, s[0:1], v9, v23, s[0:1]
	v_lshlrev_b64 v[26:27], 2, v[26:27]
	v_ashrrev_i32_e32 v29, 31, v28
	global_load_dword v1, v[24:25], off
	global_load_dword v19, v[22:23], off
	v_add_co_u32_e64 v22, s[0:1], s14, v26
	v_lshlrev_b64 v[28:29], 2, v[28:29]
	v_addc_co_u32_e64 v23, s[0:1], v13, v27, s[0:1]
	v_add_co_u32_e64 v24, s[0:1], s14, v28
	v_addc_co_u32_e64 v25, s[0:1], v13, v29, s[0:1]
	global_load_dword v34, v[22:23], off
	global_load_dword v35, v[24:25], off
	v_subrev_u32_e32 v22, s24, v20
	v_subrev_u32_e32 v24, s7, v21
	v_mad_u64_u32 v[22:23], s[0:1], v22, s8, v[10:11]
	v_add_u32_e32 v17, -2, v17
	v_mad_u64_u32 v[24:25], s[0:1], v24, s26, v[14:15]
	v_ashrrev_i32_e32 v23, 31, v22
	v_cmp_eq_u32_e64 s[0:1], 0, v17
	v_lshlrev_b64 v[22:23], 2, v[22:23]
	v_ashrrev_i32_e32 v25, 31, v24
	s_or_b64 s[4:5], s[0:1], s[4:5]
	v_add_co_u32_e64 v26, s[0:1], s16, v22
	v_lshlrev_b64 v[24:25], 2, v[24:25]
	v_addc_co_u32_e64 v27, s[0:1], v11, v23, s[0:1]
	v_add_co_u32_e64 v28, s[0:1], s16, v24
	v_addc_co_u32_e64 v29, s[0:1], v11, v25, s[0:1]
	v_add_co_u32_e64 v22, s[0:1], s12, v22
	v_addc_co_u32_e64 v23, s[0:1], v15, v23, s[0:1]
	v_add_u32_e32 v21, 8, v21
	v_add_u32_e32 v20, 8, v20
	v_add_co_u32_e64 v24, s[0:1], s12, v24
	v_addc_co_u32_e64 v25, s[0:1], v15, v25, s[0:1]
	s_waitcnt vmcnt(3)
	v_subrev_u32_e32 v1, s22, v1
	s_waitcnt vmcnt(2)
	v_subrev_u32_e32 v19, s6, v19
	v_mad_u64_u32 v[30:31], s[0:1], v19, s26, v[16:17]
	v_mad_u64_u32 v[32:33], s[0:1], v1, s8, v[2:3]
	s_waitcnt vmcnt(1)
	global_store_dword v[22:23], v34, off
	s_waitcnt vmcnt(1)
	global_store_dword v[24:25], v35, off
	global_store_dword v[26:27], v32, off
	;; [unrolled: 1-line block ×3, first 2 shown]
	s_andn2_b64 exec, exec, s[4:5]
	s_cbranch_execnz .LBB8_7
; %bb.8:
	s_or_b64 exec, exec, s[4:5]
	v_cmp_ne_u32_e64 s[0:1], v5, v7
	v_lshl_add_u32 v0, v7, 2, v0
	s_orn2_b64 s[6:7], s[0:1], exec
.LBB8_9:
	s_or_b64 exec, exec, s[2:3]
	s_and_b64 s[2:3], s[6:7], exec
.LBB8_10:
	s_or_saveexec_b64 s[0:1], s[20:21]
	v_mov_b32_e32 v1, s25
	v_mov_b32_e32 v9, s9
	s_xor_b64 exec, exec, s[0:1]
; %bb.11:
	s_mul_i32 s4, s8, s24
	s_lshl_b32 s5, s8, 2
	v_mov_b32_e32 v1, s4
	v_mov_b32_e32 v9, s5
	s_or_b64 s[2:3], s[2:3], exec
; %bb.12:
	s_or_b64 exec, exec, s[0:1]
	s_and_b64 exec, exec, s[2:3]
	s_cbranch_execz .LBB8_15
; %bb.13:
	v_add_u32_e32 v5, s22, v0
	v_add3_u32 v1, v5, v1, v3
	v_cndmask_b32_e32 v6, v6, v8, vcc
	v_subrev_u32_e32 v1, s18, v1
	v_mad_u64_u32 v[6:7], s[0:1], v0, s23, v[6:7]
	v_mad_u64_u32 v[4:5], s[0:1], s8, v1, v[4:5]
	s_lshl_b32 s2, s23, 2
	s_mov_b64 s[0:1], 0
	v_mov_b32_e32 v3, s11
	v_mov_b32_e32 v8, s17
	;; [unrolled: 1-line block ×4, first 2 shown]
.LBB8_14:                               ; =>This Inner Loop Header: Depth=1
	v_ashrrev_i32_e32 v1, 31, v0
	v_lshlrev_b64 v[12:13], 2, v[0:1]
	v_add_co_u32_e32 v12, vcc, s10, v12
	v_addc_co_u32_e32 v13, vcc, v3, v13, vcc
	v_ashrrev_i32_e32 v7, 31, v6
	global_load_dword v1, v[12:13], off
	v_lshlrev_b64 v[12:13], 2, v[6:7]
	v_add_co_u32_e32 v12, vcc, s14, v12
	v_addc_co_u32_e32 v13, vcc, v10, v13, vcc
	global_load_dword v7, v[12:13], off
	v_ashrrev_i32_e32 v5, 31, v4
	v_lshlrev_b64 v[12:13], 2, v[4:5]
	v_add_co_u32_e32 v14, vcc, s16, v12
	v_addc_co_u32_e32 v15, vcc, v8, v13, vcc
	v_add_co_u32_e32 v12, vcc, s12, v12
	v_add_u32_e32 v0, 4, v0
	v_addc_co_u32_e32 v13, vcc, v11, v13, vcc
	v_cmp_le_i32_e32 vcc, s19, v0
	v_add_u32_e32 v6, s2, v6
	s_or_b64 s[0:1], vcc, s[0:1]
	v_add_u32_e32 v4, v4, v9
	s_waitcnt vmcnt(1)
	v_subrev_u32_e32 v1, s22, v1
	s_waitcnt vmcnt(0)
	global_store_dword v[12:13], v7, off
	v_mad_u64_u32 v[12:13], s[4:5], v1, s8, v[2:3]
	global_store_dword v[14:15], v12, off
	s_andn2_b64 exec, exec, s[0:1]
	s_cbranch_execnz .LBB8_14
.LBB8_15:
	s_endpgm
	.section	.rodata,"a",@progbits
	.p2align	6, 0x0
	.amdhsa_kernel _ZN9rocsparseL33bsr2csr_block_per_row_8_32_kernelILj1024ELj16EiiiEEv20rocsparse_direction_T3_S2_21rocsparse_index_base_PKT1_PKT2_PKS2_S2_S3_PS4_PS7_PS2_
		.amdhsa_group_segment_fixed_size 0
		.amdhsa_private_segment_fixed_size 0
		.amdhsa_kernarg_size 72
		.amdhsa_user_sgpr_count 6
		.amdhsa_user_sgpr_private_segment_buffer 1
		.amdhsa_user_sgpr_dispatch_ptr 0
		.amdhsa_user_sgpr_queue_ptr 0
		.amdhsa_user_sgpr_kernarg_segment_ptr 1
		.amdhsa_user_sgpr_dispatch_id 0
		.amdhsa_user_sgpr_flat_scratch_init 0
		.amdhsa_user_sgpr_kernarg_preload_length 0
		.amdhsa_user_sgpr_kernarg_preload_offset 0
		.amdhsa_user_sgpr_private_segment_size 0
		.amdhsa_uses_dynamic_stack 0
		.amdhsa_system_sgpr_private_segment_wavefront_offset 0
		.amdhsa_system_sgpr_workgroup_id_x 1
		.amdhsa_system_sgpr_workgroup_id_y 0
		.amdhsa_system_sgpr_workgroup_id_z 0
		.amdhsa_system_sgpr_workgroup_info 0
		.amdhsa_system_vgpr_workitem_id 0
		.amdhsa_next_free_vgpr 36
		.amdhsa_next_free_sgpr 28
		.amdhsa_accum_offset 36
		.amdhsa_reserve_vcc 1
		.amdhsa_reserve_flat_scratch 0
		.amdhsa_float_round_mode_32 0
		.amdhsa_float_round_mode_16_64 0
		.amdhsa_float_denorm_mode_32 3
		.amdhsa_float_denorm_mode_16_64 3
		.amdhsa_dx10_clamp 1
		.amdhsa_ieee_mode 1
		.amdhsa_fp16_overflow 0
		.amdhsa_tg_split 0
		.amdhsa_exception_fp_ieee_invalid_op 0
		.amdhsa_exception_fp_denorm_src 0
		.amdhsa_exception_fp_ieee_div_zero 0
		.amdhsa_exception_fp_ieee_overflow 0
		.amdhsa_exception_fp_ieee_underflow 0
		.amdhsa_exception_fp_ieee_inexact 0
		.amdhsa_exception_int_div_zero 0
	.end_amdhsa_kernel
	.section	.text._ZN9rocsparseL33bsr2csr_block_per_row_8_32_kernelILj1024ELj16EiiiEEv20rocsparse_direction_T3_S2_21rocsparse_index_base_PKT1_PKT2_PKS2_S2_S3_PS4_PS7_PS2_,"axG",@progbits,_ZN9rocsparseL33bsr2csr_block_per_row_8_32_kernelILj1024ELj16EiiiEEv20rocsparse_direction_T3_S2_21rocsparse_index_base_PKT1_PKT2_PKS2_S2_S3_PS4_PS7_PS2_,comdat
.Lfunc_end8:
	.size	_ZN9rocsparseL33bsr2csr_block_per_row_8_32_kernelILj1024ELj16EiiiEEv20rocsparse_direction_T3_S2_21rocsparse_index_base_PKT1_PKT2_PKS2_S2_S3_PS4_PS7_PS2_, .Lfunc_end8-_ZN9rocsparseL33bsr2csr_block_per_row_8_32_kernelILj1024ELj16EiiiEEv20rocsparse_direction_T3_S2_21rocsparse_index_base_PKT1_PKT2_PKS2_S2_S3_PS4_PS7_PS2_
                                        ; -- End function
	.section	.AMDGPU.csdata,"",@progbits
; Kernel info:
; codeLenInByte = 1312
; NumSgprs: 32
; NumVgprs: 36
; NumAgprs: 0
; TotalNumVgprs: 36
; ScratchSize: 0
; MemoryBound: 0
; FloatMode: 240
; IeeeMode: 1
; LDSByteSize: 0 bytes/workgroup (compile time only)
; SGPRBlocks: 3
; VGPRBlocks: 4
; NumSGPRsForWavesPerEU: 32
; NumVGPRsForWavesPerEU: 36
; AccumOffset: 36
; Occupancy: 8
; WaveLimiterHint : 0
; COMPUTE_PGM_RSRC2:SCRATCH_EN: 0
; COMPUTE_PGM_RSRC2:USER_SGPR: 6
; COMPUTE_PGM_RSRC2:TRAP_HANDLER: 0
; COMPUTE_PGM_RSRC2:TGID_X_EN: 1
; COMPUTE_PGM_RSRC2:TGID_Y_EN: 0
; COMPUTE_PGM_RSRC2:TGID_Z_EN: 0
; COMPUTE_PGM_RSRC2:TIDIG_COMP_CNT: 0
; COMPUTE_PGM_RSRC3_GFX90A:ACCUM_OFFSET: 8
; COMPUTE_PGM_RSRC3_GFX90A:TG_SPLIT: 0
	.section	.text._ZN9rocsparseL33bsr2csr_block_per_row_8_32_kernelILj1024ELj32EiiiEEv20rocsparse_direction_T3_S2_21rocsparse_index_base_PKT1_PKT2_PKS2_S2_S3_PS4_PS7_PS2_,"axG",@progbits,_ZN9rocsparseL33bsr2csr_block_per_row_8_32_kernelILj1024ELj32EiiiEEv20rocsparse_direction_T3_S2_21rocsparse_index_base_PKT1_PKT2_PKS2_S2_S3_PS4_PS7_PS2_,comdat
	.globl	_ZN9rocsparseL33bsr2csr_block_per_row_8_32_kernelILj1024ELj32EiiiEEv20rocsparse_direction_T3_S2_21rocsparse_index_base_PKT1_PKT2_PKS2_S2_S3_PS4_PS7_PS2_ ; -- Begin function _ZN9rocsparseL33bsr2csr_block_per_row_8_32_kernelILj1024ELj32EiiiEEv20rocsparse_direction_T3_S2_21rocsparse_index_base_PKT1_PKT2_PKS2_S2_S3_PS4_PS7_PS2_
	.p2align	8
	.type	_ZN9rocsparseL33bsr2csr_block_per_row_8_32_kernelILj1024ELj32EiiiEEv20rocsparse_direction_T3_S2_21rocsparse_index_base_PKT1_PKT2_PKS2_S2_S3_PS4_PS7_PS2_,@function
_ZN9rocsparseL33bsr2csr_block_per_row_8_32_kernelILj1024ELj32EiiiEEv20rocsparse_direction_T3_S2_21rocsparse_index_base_PKT1_PKT2_PKS2_S2_S3_PS4_PS7_PS2_: ; @_ZN9rocsparseL33bsr2csr_block_per_row_8_32_kernelILj1024ELj32EiiiEEv20rocsparse_direction_T3_S2_21rocsparse_index_base_PKT1_PKT2_PKS2_S2_S3_PS4_PS7_PS2_
; %bb.0:
	s_load_dwordx2 s[8:9], s[4:5], 0x18
	s_load_dwordx2 s[2:3], s[4:5], 0x28
	s_load_dwordx2 s[0:1], s[4:5], 0x38
	s_ashr_i32 s7, s6, 31
	s_lshl_b64 s[10:11], s[6:7], 2
	s_waitcnt lgkmcnt(0)
	s_add_u32 s8, s8, s10
	v_or_b32_e32 v1, s6, v0
	s_addc_u32 s9, s9, s11
	v_cmp_eq_u32_e32 vcc, 0, v1
	s_and_saveexec_b64 s[10:11], vcc
	s_cbranch_execz .LBB9_2
; %bb.1:
	v_mov_b32_e32 v1, 0
	v_mov_b32_e32 v2, s3
	global_store_dword v1, v2, s[0:1]
.LBB9_2:
	s_or_b64 exec, exec, s[10:11]
	v_and_b32_e32 v2, 31, v0
	v_lshrrev_b32_e32 v8, 5, v0
	v_max_i32_e32 v0, v8, v2
	v_cmp_gt_i32_e32 vcc, s2, v0
	s_and_saveexec_b64 s[10:11], vcc
	s_cbranch_execz .LBB9_18
; %bb.3:
	s_load_dwordx2 s[12:13], s[8:9], 0x0
	s_load_dword s22, s[4:5], 0xc
	s_mul_i32 s23, s2, s2
	s_mul_i32 s6, s6, s2
	v_mov_b32_e32 v4, s1
	s_waitcnt lgkmcnt(0)
	s_sub_i32 s14, s12, s22
	s_sub_i32 s24, s13, s22
	;; [unrolled: 1-line block ×3, first 2 shown]
	s_mul_i32 s7, s15, s2
	s_mul_i32 s25, s14, s23
	v_mul_lo_u32 v0, s7, v8
	s_add_i32 s7, s7, s3
	s_add_i32 s7, s7, s25
	v_add_u32_e32 v3, s7, v0
	v_add_u32_e32 v0, s6, v8
	v_ashrrev_i32_e32 v1, 31, v0
	v_lshlrev_b64 v[0:1], 2, v[0:1]
	v_add_co_u32_e32 v0, vcc, s0, v0
	v_addc_co_u32_e32 v1, vcc, v4, v1, vcc
	s_cmp_ge_i32 s12, s13
	global_store_dword v[0:1], v3, off offset:4
	s_cbranch_scc1 .LBB9_18
; %bb.4:
	s_load_dwordx2 s[16:17], s[4:5], 0x20
	s_load_dwordx2 s[6:7], s[4:5], 0x30
	s_load_dword s0, s[4:5], 0x0
	s_load_dwordx2 s[8:9], s[4:5], 0x10
	s_load_dwordx2 s[10:11], s[4:5], 0x40
	v_add_u32_e32 v0, s3, v2
	v_mad_u64_u32 v[4:5], s[4:5], v2, s2, v[8:9]
	s_waitcnt lgkmcnt(0)
	s_cmp_eq_u32 s0, 0
	s_cselect_b64 s[0:1], -1, 0
	s_sub_i32 s3, s12, s22
	v_mad_u64_u32 v[6:7], s[4:5], v8, s2, v[2:3]
	s_add_i32 s3, s3, 1
	s_max_i32 s4, s3, s24
	s_add_i32 s4, s4, s22
	s_sub_i32 s3, s4, s12
	s_cmp_gt_u32 s3, 7
	v_mul_lo_u32 v5, v8, s15
	s_cbranch_scc0 .LBB9_10
; %bb.5:
	s_cmp_eq_u32 s2, 1
	v_mul_lo_u32 v7, v8, s15
	s_cselect_b64 s[18:19], -1, 0
	s_not_b32 s5, s12
	v_add3_u32 v1, s12, v7, v2
	s_add_i32 s4, s4, s5
	v_subrev_u32_e32 v1, s22, v1
	v_add_u32_e32 v3, s4, v1
	v_cmp_ge_i32_e32 vcc, v3, v1
	s_and_b64 s[20:21], s[18:19], vcc
	s_mov_b64 s[18:19], -1
	v_mov_b32_e32 v8, s14
	v_mov_b32_e32 v1, s25
	s_and_saveexec_b64 s[4:5], s[20:21]
	s_cbranch_execz .LBB9_14
; %bb.6:
	s_and_b32 s13, s3, -2
	s_add_i32 s15, s14, 1
	v_cndmask_b32_e64 v8, v4, v6, s[0:1]
	s_mov_b32 s26, s22
	v_mov_b32_e32 v1, v0
	s_mov_b32 s27, s23
	v_mov_b32_e32 v3, v8
	v_add3_u32 v10, s14, v7, v2
	v_mov_b32_e32 v9, s11
	v_mov_b32_e32 v12, s9
	v_mov_b32_e32 v13, s7
	s_mov_b32 s18, s14
	s_mov_b32 s28, s13
	s_mov_b64 s[20:21], s[14:15]
.LBB9_7:                                ; =>This Inner Loop Header: Depth=1
	s_mul_i32 s19, s20, s23
	v_add_u32_e32 v14, s19, v8
	s_mul_i32 s15, s21, s27
	v_ashrrev_i32_e32 v15, 31, v14
	v_add_u32_e32 v16, s15, v3
	v_lshlrev_b64 v[14:15], 2, v[14:15]
	v_ashrrev_i32_e32 v17, 31, v16
	v_add_co_u32_e32 v14, vcc, s8, v14
	v_lshlrev_b64 v[16:17], 2, v[16:17]
	v_addc_co_u32_e32 v15, vcc, v12, v15, vcc
	v_add_co_u32_e32 v16, vcc, s8, v16
	v_addc_co_u32_e32 v17, vcc, v12, v17, vcc
	global_load_dword v18, v[14:15], off
	global_load_dword v19, v[16:17], off
	s_ashr_i32 s19, s18, 31
	s_lshl_b64 s[30:31], s[18:19], 2
	s_add_u32 s30, s16, s30
	s_addc_u32 s31, s17, s31
	s_load_dwordx2 s[30:31], s[30:31], 0x0
	v_ashrrev_i32_e32 v11, 31, v10
	v_lshlrev_b64 v[14:15], 2, v[10:11]
	v_add_co_u32_e32 v16, vcc, s10, v14
	v_addc_co_u32_e32 v17, vcc, v9, v15, vcc
	s_add_i32 s21, s21, 2
	s_add_i32 s20, s20, 2
	s_add_i32 s28, s28, -2
	s_add_i32 s18, s18, 2
	s_waitcnt lgkmcnt(0)
	s_sub_i32 s15, s30, s22
	s_sub_i32 s19, s31, s26
	v_add_u32_e32 v10, 2, v10
	v_add_co_u32_e32 v14, vcc, s6, v14
	v_add_u32_e32 v21, s19, v1
	v_add_u32_e32 v20, s15, v0
	s_cmp_lg_u32 s28, 0
	v_addc_co_u32_e32 v15, vcc, v13, v15, vcc
	global_store_dwordx2 v[16:17], v[20:21], off
	s_waitcnt vmcnt(1)
	global_store_dwordx2 v[14:15], v[18:19], off
	s_cbranch_scc1 .LBB9_7
; %bb.8:
	s_cmp_eq_u32 s3, s13
	s_cbranch_scc1 .LBB9_12
; %bb.9:
	s_add_i32 s3, s14, s13
	s_mul_i32 s13, s3, s23
	s_mov_b64 s[18:19], -1
	s_branch .LBB9_13
.LBB9_10:
	s_mov_b64 s[18:19], 0
                                        ; implicit-def: $vgpr8
                                        ; implicit-def: $vgpr1
                                        ; implicit-def: $vgpr7
	s_cbranch_execnz .LBB9_15
.LBB9_11:
	v_mov_b32_e32 v5, v7
	s_and_b64 exec, exec, s[18:19]
	s_cbranch_execnz .LBB9_16
	s_branch .LBB9_18
.LBB9_12:
	s_mov_b64 s[18:19], 0
                                        ; implicit-def: $sgpr3
                                        ; implicit-def: $sgpr13
                                        ; implicit-def: $vgpr7
.LBB9_13:
	v_mov_b32_e32 v8, s3
	v_mov_b32_e32 v1, s13
	s_orn2_b64 s[18:19], s[18:19], exec
.LBB9_14:
	s_or_b64 exec, exec, s[4:5]
	s_branch .LBB9_11
.LBB9_15:
	v_mov_b32_e32 v8, s14
	v_mov_b32_e32 v1, s25
	s_or_b64 s[18:19], s[18:19], exec
	s_and_b64 exec, exec, s[18:19]
	s_cbranch_execz .LBB9_18
.LBB9_16:
	v_cndmask_b32_e64 v3, v4, v6, s[0:1]
	s_mul_i32 s0, s2, s14
	s_add_i32 s0, s0, s22
	v_add_u32_e32 v4, v3, v1
	v_add3_u32 v1, s0, v8, v5
	v_ashrrev_i32_e32 v9, 31, v8
	v_subrev_u32_e32 v1, s12, v1
	v_lshlrev_b64 v[6:7], 2, v[8:9]
	v_mad_u64_u32 v[2:3], s[0:1], s2, v1, v[2:3]
	v_mov_b32_e32 v1, s17
	v_add_co_u32_e32 v6, vcc, s16, v6
	v_addc_co_u32_e32 v7, vcc, v1, v7, vcc
	s_mov_b64 s[4:5], 0
	v_mov_b32_e32 v1, s11
	v_mov_b32_e32 v9, s9
	;; [unrolled: 1-line block ×3, first 2 shown]
.LBB9_17:                               ; =>This Inner Loop Header: Depth=1
	v_ashrrev_i32_e32 v5, 31, v4
	global_load_dword v11, v[6:7], off
	v_lshlrev_b64 v[12:13], 2, v[4:5]
	v_add_co_u32_e32 v12, vcc, s8, v12
	v_addc_co_u32_e32 v13, vcc, v9, v13, vcc
	global_load_dword v5, v[12:13], off
	v_ashrrev_i32_e32 v3, 31, v2
	v_lshlrev_b64 v[12:13], 2, v[2:3]
	v_add_co_u32_e32 v6, vcc, 4, v6
	v_add_co_u32_e64 v14, s[0:1], s10, v12
	v_add_u32_e32 v8, 1, v8
	v_addc_co_u32_e32 v7, vcc, 0, v7, vcc
	v_addc_co_u32_e64 v15, s[0:1], v1, v13, s[0:1]
	v_cmp_le_i32_e32 vcc, s24, v8
	v_add_co_u32_e64 v12, s[0:1], s6, v12
	v_add_u32_e32 v4, s23, v4
	v_add_u32_e32 v2, s2, v2
	v_addc_co_u32_e64 v13, s[0:1], v10, v13, s[0:1]
	s_or_b64 s[4:5], vcc, s[4:5]
	s_waitcnt vmcnt(1)
	v_subrev_u32_e32 v3, s22, v11
	v_mad_u64_u32 v[16:17], s[0:1], v3, s2, v[0:1]
	global_store_dword v[14:15], v16, off
	s_waitcnt vmcnt(1)
	global_store_dword v[12:13], v5, off
	s_andn2_b64 exec, exec, s[4:5]
	s_cbranch_execnz .LBB9_17
.LBB9_18:
	s_endpgm
	.section	.rodata,"a",@progbits
	.p2align	6, 0x0
	.amdhsa_kernel _ZN9rocsparseL33bsr2csr_block_per_row_8_32_kernelILj1024ELj32EiiiEEv20rocsparse_direction_T3_S2_21rocsparse_index_base_PKT1_PKT2_PKS2_S2_S3_PS4_PS7_PS2_
		.amdhsa_group_segment_fixed_size 0
		.amdhsa_private_segment_fixed_size 0
		.amdhsa_kernarg_size 72
		.amdhsa_user_sgpr_count 6
		.amdhsa_user_sgpr_private_segment_buffer 1
		.amdhsa_user_sgpr_dispatch_ptr 0
		.amdhsa_user_sgpr_queue_ptr 0
		.amdhsa_user_sgpr_kernarg_segment_ptr 1
		.amdhsa_user_sgpr_dispatch_id 0
		.amdhsa_user_sgpr_flat_scratch_init 0
		.amdhsa_user_sgpr_kernarg_preload_length 0
		.amdhsa_user_sgpr_kernarg_preload_offset 0
		.amdhsa_user_sgpr_private_segment_size 0
		.amdhsa_uses_dynamic_stack 0
		.amdhsa_system_sgpr_private_segment_wavefront_offset 0
		.amdhsa_system_sgpr_workgroup_id_x 1
		.amdhsa_system_sgpr_workgroup_id_y 0
		.amdhsa_system_sgpr_workgroup_id_z 0
		.amdhsa_system_sgpr_workgroup_info 0
		.amdhsa_system_vgpr_workitem_id 0
		.amdhsa_next_free_vgpr 22
		.amdhsa_next_free_sgpr 32
		.amdhsa_accum_offset 24
		.amdhsa_reserve_vcc 1
		.amdhsa_reserve_flat_scratch 0
		.amdhsa_float_round_mode_32 0
		.amdhsa_float_round_mode_16_64 0
		.amdhsa_float_denorm_mode_32 3
		.amdhsa_float_denorm_mode_16_64 3
		.amdhsa_dx10_clamp 1
		.amdhsa_ieee_mode 1
		.amdhsa_fp16_overflow 0
		.amdhsa_tg_split 0
		.amdhsa_exception_fp_ieee_invalid_op 0
		.amdhsa_exception_fp_denorm_src 0
		.amdhsa_exception_fp_ieee_div_zero 0
		.amdhsa_exception_fp_ieee_overflow 0
		.amdhsa_exception_fp_ieee_underflow 0
		.amdhsa_exception_fp_ieee_inexact 0
		.amdhsa_exception_int_div_zero 0
	.end_amdhsa_kernel
	.section	.text._ZN9rocsparseL33bsr2csr_block_per_row_8_32_kernelILj1024ELj32EiiiEEv20rocsparse_direction_T3_S2_21rocsparse_index_base_PKT1_PKT2_PKS2_S2_S3_PS4_PS7_PS2_,"axG",@progbits,_ZN9rocsparseL33bsr2csr_block_per_row_8_32_kernelILj1024ELj32EiiiEEv20rocsparse_direction_T3_S2_21rocsparse_index_base_PKT1_PKT2_PKS2_S2_S3_PS4_PS7_PS2_,comdat
.Lfunc_end9:
	.size	_ZN9rocsparseL33bsr2csr_block_per_row_8_32_kernelILj1024ELj32EiiiEEv20rocsparse_direction_T3_S2_21rocsparse_index_base_PKT1_PKT2_PKS2_S2_S3_PS4_PS7_PS2_, .Lfunc_end9-_ZN9rocsparseL33bsr2csr_block_per_row_8_32_kernelILj1024ELj32EiiiEEv20rocsparse_direction_T3_S2_21rocsparse_index_base_PKT1_PKT2_PKS2_S2_S3_PS4_PS7_PS2_
                                        ; -- End function
	.section	.AMDGPU.csdata,"",@progbits
; Kernel info:
; codeLenInByte = 976
; NumSgprs: 36
; NumVgprs: 22
; NumAgprs: 0
; TotalNumVgprs: 22
; ScratchSize: 0
; MemoryBound: 0
; FloatMode: 240
; IeeeMode: 1
; LDSByteSize: 0 bytes/workgroup (compile time only)
; SGPRBlocks: 4
; VGPRBlocks: 2
; NumSGPRsForWavesPerEU: 36
; NumVGPRsForWavesPerEU: 22
; AccumOffset: 24
; Occupancy: 8
; WaveLimiterHint : 0
; COMPUTE_PGM_RSRC2:SCRATCH_EN: 0
; COMPUTE_PGM_RSRC2:USER_SGPR: 6
; COMPUTE_PGM_RSRC2:TRAP_HANDLER: 0
; COMPUTE_PGM_RSRC2:TGID_X_EN: 1
; COMPUTE_PGM_RSRC2:TGID_Y_EN: 0
; COMPUTE_PGM_RSRC2:TGID_Z_EN: 0
; COMPUTE_PGM_RSRC2:TIDIG_COMP_CNT: 0
; COMPUTE_PGM_RSRC3_GFX90A:ACCUM_OFFSET: 5
; COMPUTE_PGM_RSRC3_GFX90A:TG_SPLIT: 0
	.section	.text._ZN9rocsparseL35bsr2csr_block_per_row_33_256_kernelILj1024ELj64ELj32EiiiEEv20rocsparse_direction_T4_S2_21rocsparse_index_base_PKT2_PKT3_PKS2_S2_S3_PS4_PS7_PS2_,"axG",@progbits,_ZN9rocsparseL35bsr2csr_block_per_row_33_256_kernelILj1024ELj64ELj32EiiiEEv20rocsparse_direction_T4_S2_21rocsparse_index_base_PKT2_PKT3_PKS2_S2_S3_PS4_PS7_PS2_,comdat
	.globl	_ZN9rocsparseL35bsr2csr_block_per_row_33_256_kernelILj1024ELj64ELj32EiiiEEv20rocsparse_direction_T4_S2_21rocsparse_index_base_PKT2_PKT3_PKS2_S2_S3_PS4_PS7_PS2_ ; -- Begin function _ZN9rocsparseL35bsr2csr_block_per_row_33_256_kernelILj1024ELj64ELj32EiiiEEv20rocsparse_direction_T4_S2_21rocsparse_index_base_PKT2_PKT3_PKS2_S2_S3_PS4_PS7_PS2_
	.p2align	8
	.type	_ZN9rocsparseL35bsr2csr_block_per_row_33_256_kernelILj1024ELj64ELj32EiiiEEv20rocsparse_direction_T4_S2_21rocsparse_index_base_PKT2_PKT3_PKS2_S2_S3_PS4_PS7_PS2_,@function
_ZN9rocsparseL35bsr2csr_block_per_row_33_256_kernelILj1024ELj64ELj32EiiiEEv20rocsparse_direction_T4_S2_21rocsparse_index_base_PKT2_PKT3_PKS2_S2_S3_PS4_PS7_PS2_: ; @_ZN9rocsparseL35bsr2csr_block_per_row_33_256_kernelILj1024ELj64ELj32EiiiEEv20rocsparse_direction_T4_S2_21rocsparse_index_base_PKT2_PKT3_PKS2_S2_S3_PS4_PS7_PS2_
; %bb.0:
	s_load_dwordx2 s[0:1], s[4:5], 0x18
	s_load_dwordx2 s[8:9], s[4:5], 0x28
	;; [unrolled: 1-line block ×3, first 2 shown]
	s_ashr_i32 s7, s6, 31
	s_lshl_b64 s[2:3], s[6:7], 2
	s_waitcnt lgkmcnt(0)
	s_add_u32 s0, s0, s2
	s_addc_u32 s1, s1, s3
	s_load_dwordx2 s[22:23], s[0:1], 0x0
	v_or_b32_e32 v1, s6, v0
	v_cmp_eq_u32_e32 vcc, 0, v1
	s_and_saveexec_b64 s[0:1], vcc
	s_cbranch_execz .LBB10_2
; %bb.1:
	v_mov_b32_e32 v1, 0
	v_mov_b32_e32 v2, s9
	global_store_dword v1, v2, s[12:13]
.LBB10_2:
	s_or_b64 exec, exec, s[0:1]
	s_load_dword s24, s[4:5], 0xc
	v_lshrrev_b32_e32 v1, 5, v0
	s_mul_i32 s14, s6, s8
	s_waitcnt lgkmcnt(0)
	s_sub_i32 s10, s22, s24
	s_sub_i32 s25, s23, s24
	s_mul_i32 s11, s10, s8
	s_sub_i32 s18, s25, s10
	s_mul_i32 s0, s11, s8
	s_mul_i32 s15, s18, s8
	s_add_i32 s16, s0, s9
	s_add_i32 s16, s16, s15
	v_cmp_gt_i32_e64 s[0:1], s8, v1
	s_and_saveexec_b64 s[2:3], s[0:1]
	s_cbranch_execz .LBB10_4
; %bb.3:
	v_mul_lo_u32 v2, v1, s15
	v_add_u32_e32 v4, s16, v2
	v_add_u32_e32 v2, s14, v1
	v_ashrrev_i32_e32 v3, 31, v2
	v_lshlrev_b64 v[2:3], 2, v[2:3]
	v_mov_b32_e32 v5, s13
	v_add_co_u32_e32 v2, vcc, s12, v2
	v_addc_co_u32_e32 v3, vcc, v5, v3, vcc
	global_store_dword v[2:3], v4, off offset:4
.LBB10_4:
	s_or_b64 exec, exec, s[2:3]
	v_or_b32_e32 v2, 32, v1
	v_cmp_gt_i32_e64 s[2:3], s8, v2
	s_and_saveexec_b64 s[6:7], s[2:3]
	s_cbranch_execz .LBB10_6
; %bb.5:
	s_add_u32 s12, s12, 4
	s_addc_u32 s13, s13, 0
	v_mul_lo_u32 v2, v2, s15
	s_ashr_i32 s15, s14, 31
	v_add_u32_e32 v4, s16, v2
	v_mov_b32_e32 v3, s15
	v_add_co_u32_e32 v2, vcc, s14, v1
	v_addc_co_u32_e32 v3, vcc, 0, v3, vcc
	v_lshlrev_b64 v[2:3], 2, v[2:3]
	v_mov_b32_e32 v5, s13
	v_add_co_u32_e32 v2, vcc, s12, v2
	v_addc_co_u32_e32 v3, vcc, v5, v3, vcc
	global_store_dword v[2:3], v4, off offset:128
.LBB10_6:
	s_or_b64 exec, exec, s[6:7]
	s_cmp_lt_i32 s22, s23
	s_cbranch_scc0 .LBB10_17
; %bb.7:
	s_load_dwordx2 s[28:29], s[4:5], 0x20
	s_load_dwordx2 s[12:13], s[4:5], 0x30
	s_load_dword s6, s[4:5], 0x0
	s_load_dwordx2 s[14:15], s[4:5], 0x10
	s_load_dwordx2 s[16:17], s[4:5], 0x40
	v_and_b32_e32 v0, 31, v0
	v_mul_lo_u32 v7, v1, s18
	v_or_b32_e32 v2, 32, v0
	s_waitcnt lgkmcnt(0)
	s_cmp_eq_u32 s6, 0
	v_cmp_gt_i32_e64 s[4:5], s8, v0
	v_cmp_gt_i32_e64 s[6:7], s8, v2
	v_add_u32_e32 v8, s11, v7
	s_cselect_b64 vcc, -1, 0
	s_and_b64 s[18:19], s[0:1], s[4:5]
	s_and_b64 s[20:21], s[0:1], s[6:7]
	v_add_u32_e32 v4, s11, v1
	v_add_u32_e32 v6, s11, v0
	v_lshl_add_u32 v7, s23, 5, v8
	s_lshl_b32 s0, s22, 5
	s_ashr_i32 s11, s10, 31
	s_and_b64 s[4:5], s[2:3], s[4:5]
	s_and_b64 s[2:3], s[2:3], s[6:7]
	v_subrev_u32_e32 v7, s0, v7
	s_lshl_b64 s[0:1], s[10:11], 2
	v_add_u32_e32 v3, 32, v4
	v_add_u32_e32 v5, 32, v6
	s_add_u32 s6, s28, s0
	s_mul_i32 s26, s8, s8
	v_mul_lo_u32 v3, s8, v3
	v_mul_lo_u32 v4, s8, v4
	;; [unrolled: 1-line block ×6, first 2 shown]
	s_addc_u32 s7, s29, s1
	s_branch .LBB10_9
.LBB10_8:                               ;   in Loop: Header=BB10_9 Depth=1
	s_or_b64 exec, exec, s[22:23]
	s_add_i32 s10, s10, 1
	s_add_u32 s6, s6, 4
	s_addc_u32 s7, s7, 0
	v_add_u32_e32 v3, s26, v3
	v_add_u32_e32 v4, s26, v4
	;; [unrolled: 1-line block ×4, first 2 shown]
	s_cmp_ge_i32 s10, s25
	v_add_u32_e32 v8, s8, v8
	s_cbranch_scc1 .LBB10_17
.LBB10_9:                               ; =>This Inner Loop Header: Depth=1
	s_load_dword s0, s[6:7], 0x0
	s_waitcnt lgkmcnt(0)
	s_sub_i32 s0, s0, s24
	s_mul_i32 s11, s0, s8
	s_add_i32 s11, s11, s9
	v_add_u32_e32 v9, s11, v0
	s_and_saveexec_b64 s[22:23], s[18:19]
	s_cbranch_execz .LBB10_11
; %bb.10:                               ;   in Loop: Header=BB10_9 Depth=1
	v_add_u32_e32 v10, v0, v4
	v_add_u32_e32 v11, v6, v1
	v_cndmask_b32_e32 v10, v11, v10, vcc
	v_ashrrev_i32_e32 v11, 31, v10
	v_lshlrev_b64 v[10:11], 2, v[10:11]
	v_mov_b32_e32 v12, s15
	v_add_co_u32_e64 v10, s[0:1], s14, v10
	v_addc_co_u32_e64 v11, s[0:1], v12, v11, s[0:1]
	global_load_dword v14, v[10:11], off
	v_add_u32_e32 v10, v0, v8
	v_ashrrev_i32_e32 v11, 31, v10
	v_lshlrev_b64 v[10:11], 2, v[10:11]
	v_mov_b32_e32 v13, s17
	v_add_co_u32_e64 v12, s[0:1], s16, v10
	v_addc_co_u32_e64 v13, s[0:1], v13, v11, s[0:1]
	global_store_dword v[12:13], v9, off
	v_mov_b32_e32 v12, s13
	v_add_co_u32_e64 v10, s[0:1], s12, v10
	v_addc_co_u32_e64 v11, s[0:1], v12, v11, s[0:1]
	s_waitcnt vmcnt(1)
	global_store_dword v[10:11], v14, off
.LBB10_11:                              ;   in Loop: Header=BB10_9 Depth=1
	s_or_b64 exec, exec, s[22:23]
	v_add_u32_e32 v10, s11, v2
	v_add_u32_e32 v11, v5, v1
	s_and_saveexec_b64 s[22:23], s[20:21]
	s_cbranch_execnz .LBB10_14
; %bb.12:                               ;   in Loop: Header=BB10_9 Depth=1
	s_or_b64 exec, exec, s[22:23]
	v_add_u32_e32 v12, v0, v3
	s_and_saveexec_b64 s[22:23], s[4:5]
	s_cbranch_execnz .LBB10_15
.LBB10_13:                              ;   in Loop: Header=BB10_9 Depth=1
	s_or_b64 exec, exec, s[22:23]
	s_and_saveexec_b64 s[22:23], s[2:3]
	s_cbranch_execz .LBB10_8
	s_branch .LBB10_16
.LBB10_14:                              ;   in Loop: Header=BB10_9 Depth=1
	v_add3_u32 v12, v0, v4, 32
	v_cndmask_b32_e32 v12, v11, v12, vcc
	v_ashrrev_i32_e32 v13, 31, v12
	v_lshlrev_b64 v[12:13], 2, v[12:13]
	v_mov_b32_e32 v14, s15
	v_add_co_u32_e64 v12, s[0:1], s14, v12
	v_addc_co_u32_e64 v13, s[0:1], v14, v13, s[0:1]
	global_load_dword v16, v[12:13], off
	v_add3_u32 v12, v0, v8, 32
	v_ashrrev_i32_e32 v13, 31, v12
	v_lshlrev_b64 v[12:13], 2, v[12:13]
	v_mov_b32_e32 v15, s17
	v_add_co_u32_e64 v14, s[0:1], s16, v12
	v_addc_co_u32_e64 v15, s[0:1], v15, v13, s[0:1]
	global_store_dword v[14:15], v10, off
	v_mov_b32_e32 v14, s13
	v_add_co_u32_e64 v12, s[0:1], s12, v12
	v_addc_co_u32_e64 v13, s[0:1], v14, v13, s[0:1]
	s_waitcnt vmcnt(1)
	global_store_dword v[12:13], v16, off
	s_or_b64 exec, exec, s[22:23]
	v_add_u32_e32 v12, v0, v3
	s_and_saveexec_b64 s[22:23], s[4:5]
	s_cbranch_execz .LBB10_13
.LBB10_15:                              ;   in Loop: Header=BB10_9 Depth=1
	v_add3_u32 v13, v6, v1, 32
	v_cndmask_b32_e32 v14, v13, v12, vcc
	v_ashrrev_i32_e32 v15, 31, v14
	v_lshlrev_b64 v[14:15], 2, v[14:15]
	v_mov_b32_e32 v13, s15
	v_add_co_u32_e64 v14, s[0:1], s14, v14
	v_addc_co_u32_e64 v15, s[0:1], v13, v15, s[0:1]
	global_load_dword v13, v[14:15], off
	v_add_u32_e32 v14, v0, v7
	v_ashrrev_i32_e32 v15, 31, v14
	v_lshlrev_b64 v[14:15], 2, v[14:15]
	v_mov_b32_e32 v17, s17
	v_add_co_u32_e64 v16, s[0:1], s16, v14
	v_addc_co_u32_e64 v17, s[0:1], v17, v15, s[0:1]
	global_store_dword v[16:17], v9, off
	v_mov_b32_e32 v9, s13
	v_add_co_u32_e64 v14, s[0:1], s12, v14
	v_addc_co_u32_e64 v15, s[0:1], v9, v15, s[0:1]
	s_waitcnt vmcnt(1)
	global_store_dword v[14:15], v13, off
	s_or_b64 exec, exec, s[22:23]
	s_and_saveexec_b64 s[22:23], s[2:3]
	s_cbranch_execz .LBB10_8
.LBB10_16:                              ;   in Loop: Header=BB10_9 Depth=1
	v_cndmask_b32_e32 v9, v11, v12, vcc
	v_add_u32_e32 v12, 32, v9
	v_ashrrev_i32_e32 v13, 31, v12
	v_lshlrev_b64 v[12:13], 2, v[12:13]
	v_mov_b32_e32 v9, s15
	v_add_co_u32_e64 v12, s[0:1], s14, v12
	v_addc_co_u32_e64 v13, s[0:1], v9, v13, s[0:1]
	global_load_dword v9, v[12:13], off
	v_add3_u32 v12, v0, v7, 32
	v_ashrrev_i32_e32 v13, 31, v12
	v_lshlrev_b64 v[12:13], 2, v[12:13]
	v_mov_b32_e32 v11, s17
	v_add_co_u32_e64 v14, s[0:1], s16, v12
	v_addc_co_u32_e64 v15, s[0:1], v11, v13, s[0:1]
	global_store_dword v[14:15], v10, off
	v_mov_b32_e32 v11, s13
	v_add_co_u32_e64 v10, s[0:1], s12, v12
	v_addc_co_u32_e64 v11, s[0:1], v11, v13, s[0:1]
	s_waitcnt vmcnt(1)
	global_store_dword v[10:11], v9, off
	s_branch .LBB10_8
.LBB10_17:
	s_endpgm
	.section	.rodata,"a",@progbits
	.p2align	6, 0x0
	.amdhsa_kernel _ZN9rocsparseL35bsr2csr_block_per_row_33_256_kernelILj1024ELj64ELj32EiiiEEv20rocsparse_direction_T4_S2_21rocsparse_index_base_PKT2_PKT3_PKS2_S2_S3_PS4_PS7_PS2_
		.amdhsa_group_segment_fixed_size 0
		.amdhsa_private_segment_fixed_size 0
		.amdhsa_kernarg_size 72
		.amdhsa_user_sgpr_count 6
		.amdhsa_user_sgpr_private_segment_buffer 1
		.amdhsa_user_sgpr_dispatch_ptr 0
		.amdhsa_user_sgpr_queue_ptr 0
		.amdhsa_user_sgpr_kernarg_segment_ptr 1
		.amdhsa_user_sgpr_dispatch_id 0
		.amdhsa_user_sgpr_flat_scratch_init 0
		.amdhsa_user_sgpr_kernarg_preload_length 0
		.amdhsa_user_sgpr_kernarg_preload_offset 0
		.amdhsa_user_sgpr_private_segment_size 0
		.amdhsa_uses_dynamic_stack 0
		.amdhsa_system_sgpr_private_segment_wavefront_offset 0
		.amdhsa_system_sgpr_workgroup_id_x 1
		.amdhsa_system_sgpr_workgroup_id_y 0
		.amdhsa_system_sgpr_workgroup_id_z 0
		.amdhsa_system_sgpr_workgroup_info 0
		.amdhsa_system_vgpr_workitem_id 0
		.amdhsa_next_free_vgpr 18
		.amdhsa_next_free_sgpr 30
		.amdhsa_accum_offset 20
		.amdhsa_reserve_vcc 1
		.amdhsa_reserve_flat_scratch 0
		.amdhsa_float_round_mode_32 0
		.amdhsa_float_round_mode_16_64 0
		.amdhsa_float_denorm_mode_32 3
		.amdhsa_float_denorm_mode_16_64 3
		.amdhsa_dx10_clamp 1
		.amdhsa_ieee_mode 1
		.amdhsa_fp16_overflow 0
		.amdhsa_tg_split 0
		.amdhsa_exception_fp_ieee_invalid_op 0
		.amdhsa_exception_fp_denorm_src 0
		.amdhsa_exception_fp_ieee_div_zero 0
		.amdhsa_exception_fp_ieee_overflow 0
		.amdhsa_exception_fp_ieee_underflow 0
		.amdhsa_exception_fp_ieee_inexact 0
		.amdhsa_exception_int_div_zero 0
	.end_amdhsa_kernel
	.section	.text._ZN9rocsparseL35bsr2csr_block_per_row_33_256_kernelILj1024ELj64ELj32EiiiEEv20rocsparse_direction_T4_S2_21rocsparse_index_base_PKT2_PKT3_PKS2_S2_S3_PS4_PS7_PS2_,"axG",@progbits,_ZN9rocsparseL35bsr2csr_block_per_row_33_256_kernelILj1024ELj64ELj32EiiiEEv20rocsparse_direction_T4_S2_21rocsparse_index_base_PKT2_PKT3_PKS2_S2_S3_PS4_PS7_PS2_,comdat
.Lfunc_end10:
	.size	_ZN9rocsparseL35bsr2csr_block_per_row_33_256_kernelILj1024ELj64ELj32EiiiEEv20rocsparse_direction_T4_S2_21rocsparse_index_base_PKT2_PKT3_PKS2_S2_S3_PS4_PS7_PS2_, .Lfunc_end10-_ZN9rocsparseL35bsr2csr_block_per_row_33_256_kernelILj1024ELj64ELj32EiiiEEv20rocsparse_direction_T4_S2_21rocsparse_index_base_PKT2_PKT3_PKS2_S2_S3_PS4_PS7_PS2_
                                        ; -- End function
	.section	.AMDGPU.csdata,"",@progbits
; Kernel info:
; codeLenInByte = 1196
; NumSgprs: 34
; NumVgprs: 18
; NumAgprs: 0
; TotalNumVgprs: 18
; ScratchSize: 0
; MemoryBound: 0
; FloatMode: 240
; IeeeMode: 1
; LDSByteSize: 0 bytes/workgroup (compile time only)
; SGPRBlocks: 4
; VGPRBlocks: 2
; NumSGPRsForWavesPerEU: 34
; NumVGPRsForWavesPerEU: 18
; AccumOffset: 20
; Occupancy: 8
; WaveLimiterHint : 1
; COMPUTE_PGM_RSRC2:SCRATCH_EN: 0
; COMPUTE_PGM_RSRC2:USER_SGPR: 6
; COMPUTE_PGM_RSRC2:TRAP_HANDLER: 0
; COMPUTE_PGM_RSRC2:TGID_X_EN: 1
; COMPUTE_PGM_RSRC2:TGID_Y_EN: 0
; COMPUTE_PGM_RSRC2:TGID_Z_EN: 0
; COMPUTE_PGM_RSRC2:TIDIG_COMP_CNT: 0
; COMPUTE_PGM_RSRC3_GFX90A:ACCUM_OFFSET: 4
; COMPUTE_PGM_RSRC3_GFX90A:TG_SPLIT: 0
	.section	.text._ZN9rocsparseL35bsr2csr_block_per_row_33_256_kernelILj1024ELj128ELj32EiiiEEv20rocsparse_direction_T4_S2_21rocsparse_index_base_PKT2_PKT3_PKS2_S2_S3_PS4_PS7_PS2_,"axG",@progbits,_ZN9rocsparseL35bsr2csr_block_per_row_33_256_kernelILj1024ELj128ELj32EiiiEEv20rocsparse_direction_T4_S2_21rocsparse_index_base_PKT2_PKT3_PKS2_S2_S3_PS4_PS7_PS2_,comdat
	.globl	_ZN9rocsparseL35bsr2csr_block_per_row_33_256_kernelILj1024ELj128ELj32EiiiEEv20rocsparse_direction_T4_S2_21rocsparse_index_base_PKT2_PKT3_PKS2_S2_S3_PS4_PS7_PS2_ ; -- Begin function _ZN9rocsparseL35bsr2csr_block_per_row_33_256_kernelILj1024ELj128ELj32EiiiEEv20rocsparse_direction_T4_S2_21rocsparse_index_base_PKT2_PKT3_PKS2_S2_S3_PS4_PS7_PS2_
	.p2align	8
	.type	_ZN9rocsparseL35bsr2csr_block_per_row_33_256_kernelILj1024ELj128ELj32EiiiEEv20rocsparse_direction_T4_S2_21rocsparse_index_base_PKT2_PKT3_PKS2_S2_S3_PS4_PS7_PS2_,@function
_ZN9rocsparseL35bsr2csr_block_per_row_33_256_kernelILj1024ELj128ELj32EiiiEEv20rocsparse_direction_T4_S2_21rocsparse_index_base_PKT2_PKT3_PKS2_S2_S3_PS4_PS7_PS2_: ; @_ZN9rocsparseL35bsr2csr_block_per_row_33_256_kernelILj1024ELj128ELj32EiiiEEv20rocsparse_direction_T4_S2_21rocsparse_index_base_PKT2_PKT3_PKS2_S2_S3_PS4_PS7_PS2_
; %bb.0:
	s_load_dwordx2 s[0:1], s[4:5], 0x18
	s_load_dwordx2 s[16:17], s[4:5], 0x28
	;; [unrolled: 1-line block ×3, first 2 shown]
	s_ashr_i32 s7, s6, 31
	s_lshl_b64 s[8:9], s[6:7], 2
	s_waitcnt lgkmcnt(0)
	s_add_u32 s0, s0, s8
	s_addc_u32 s1, s1, s9
	s_load_dwordx2 s[48:49], s[0:1], 0x0
	v_or_b32_e32 v1, s6, v0
	v_cmp_eq_u32_e32 vcc, 0, v1
	s_and_saveexec_b64 s[0:1], vcc
	s_cbranch_execz .LBB11_2
; %bb.1:
	v_mov_b32_e32 v1, 0
	v_mov_b32_e32 v2, s17
	global_store_dword v1, v2, s[2:3]
.LBB11_2:
	s_or_b64 exec, exec, s[0:1]
	s_load_dword s33, s[4:5], 0xc
	v_lshrrev_b32_e32 v6, 5, v0
	s_mul_i32 s13, s6, s16
	s_waitcnt lgkmcnt(0)
	s_sub_i32 s18, s48, s33
	s_sub_i32 s50, s49, s33
	s_mul_i32 s19, s18, s16
	s_sub_i32 s12, s50, s18
	s_mul_i32 s0, s19, s16
	s_mul_i32 s14, s12, s16
	s_add_i32 s15, s0, s17
	s_add_i32 s15, s15, s14
	v_cmp_gt_i32_e64 s[0:1], s16, v6
	s_and_saveexec_b64 s[6:7], s[0:1]
	s_cbranch_execz .LBB11_4
; %bb.3:
	v_add_u32_e32 v2, s13, v6
	v_ashrrev_i32_e32 v3, 31, v2
	v_lshlrev_b64 v[2:3], 2, v[2:3]
	v_mul_lo_u32 v1, v6, s14
	v_mov_b32_e32 v4, s3
	v_add_co_u32_e32 v2, vcc, s2, v2
	v_add_u32_e32 v1, s15, v1
	v_addc_co_u32_e32 v3, vcc, v4, v3, vcc
	global_store_dword v[2:3], v1, off offset:4
.LBB11_4:
	s_or_b64 exec, exec, s[6:7]
	s_add_u32 s20, s2, 4
	v_or_b32_e32 v1, 32, v6
	s_addc_u32 s21, s3, 0
	v_cmp_gt_i32_e64 s[2:3], s16, v1
	s_and_saveexec_b64 s[6:7], s[2:3]
	s_cbranch_execz .LBB11_6
; %bb.5:
	s_ashr_i32 s8, s13, 31
	v_mov_b32_e32 v3, s8
	v_add_co_u32_e32 v2, vcc, s13, v6
	v_addc_co_u32_e32 v3, vcc, 0, v3, vcc
	v_lshlrev_b64 v[2:3], 2, v[2:3]
	v_mul_lo_u32 v1, v1, s14
	v_mov_b32_e32 v4, s21
	v_add_co_u32_e32 v2, vcc, s20, v2
	v_add_u32_e32 v1, s15, v1
	v_addc_co_u32_e32 v3, vcc, v4, v3, vcc
	global_store_dword v[2:3], v1, off offset:128
.LBB11_6:
	s_or_b64 exec, exec, s[6:7]
	v_or_b32_e32 v1, 64, v6
	v_cmp_gt_i32_e64 s[6:7], s16, v1
	s_and_saveexec_b64 s[8:9], s[6:7]
	s_cbranch_execz .LBB11_8
; %bb.7:
	s_ashr_i32 s10, s13, 31
	v_mov_b32_e32 v3, s10
	v_add_co_u32_e32 v2, vcc, s13, v6
	v_addc_co_u32_e32 v3, vcc, 0, v3, vcc
	v_lshlrev_b64 v[2:3], 2, v[2:3]
	v_mul_lo_u32 v1, v1, s14
	v_mov_b32_e32 v4, s21
	v_add_co_u32_e32 v2, vcc, s20, v2
	v_add_u32_e32 v1, s15, v1
	v_addc_co_u32_e32 v3, vcc, v4, v3, vcc
	global_store_dword v[2:3], v1, off offset:256
.LBB11_8:
	s_or_b64 exec, exec, s[8:9]
	v_or_b32_e32 v1, 0x60, v6
	v_cmp_gt_i32_e64 s[8:9], s16, v1
	s_and_saveexec_b64 s[10:11], s[8:9]
	s_cbranch_execz .LBB11_10
; %bb.9:
	v_mul_lo_u32 v1, v1, s14
	s_ashr_i32 s14, s13, 31
	v_mov_b32_e32 v3, s14
	v_add_co_u32_e32 v2, vcc, s13, v6
	v_addc_co_u32_e32 v3, vcc, 0, v3, vcc
	v_lshlrev_b64 v[2:3], 2, v[2:3]
	v_mov_b32_e32 v4, s21
	v_add_co_u32_e32 v2, vcc, s20, v2
	v_add_u32_e32 v1, s15, v1
	v_addc_co_u32_e32 v3, vcc, v4, v3, vcc
	global_store_dword v[2:3], v1, off offset:384
.LBB11_10:
	s_or_b64 exec, exec, s[10:11]
	s_cmp_lt_i32 s48, s49
	s_cbranch_scc0 .LBB11_45
; %bb.11:
	s_load_dwordx2 s[54:55], s[4:5], 0x20
	s_load_dwordx2 s[20:21], s[4:5], 0x30
	;; [unrolled: 1-line block ×3, first 2 shown]
	s_load_dword s10, s[4:5], 0x0
	s_load_dwordx2 s[24:25], s[4:5], 0x40
	v_and_b32_e32 v8, 31, v0
	v_add_u32_e32 v0, s19, v6
	v_add_u32_e32 v1, 32, v0
	v_or_b32_e32 v9, 32, v8
	v_or_b32_e32 v10, 64, v8
	;; [unrolled: 1-line block ×3, first 2 shown]
	v_mul_lo_u32 v12, s16, v1
	v_add_u32_e32 v1, 64, v0
	v_add_u32_e32 v7, s19, v8
	s_waitcnt lgkmcnt(0)
	s_cmp_eq_u32 s10, 0
	v_mul_lo_u32 v16, v6, s12
	v_cmp_gt_i32_e64 s[4:5], s16, v8
	v_cmp_gt_i32_e64 s[10:11], s16, v9
	;; [unrolled: 1-line block ×4, first 2 shown]
	v_mul_lo_u32 v13, s16, v1
	v_add_u32_e32 v1, 0x60, v0
	v_mul_lo_u32 v15, s16, v0
	v_add_u32_e32 v0, 0x60, v7
	s_cselect_b64 vcc, -1, 0
	s_and_b64 s[26:27], s[0:1], s[4:5]
	s_and_b64 s[28:29], s[0:1], s[10:11]
	;; [unrolled: 1-line block ×4, first 2 shown]
	v_mul_lo_u32 v14, s16, v1
	v_mad_u64_u32 v[0:1], s[0:1], s16, v0, v[6:7]
	v_add_u32_e32 v1, 64, v7
	v_mad_u64_u32 v[2:3], s[0:1], s16, v1, v[6:7]
	v_add_u32_e32 v1, 32, v7
	v_mad_u64_u32 v[4:5], s[0:1], s16, v1, v[6:7]
	v_mad_u64_u32 v[6:7], s[0:1], s16, v7, v[6:7]
	v_add_u32_e32 v7, s19, v16
	v_lshl_add_u32 v1, s49, 5, v7
	s_lshl_b32 s0, s48, 5
	v_subrev_u32_e32 v1, s0, v1
	v_lshl_add_u32 v3, s49, 6, v7
	s_lshl_b32 s0, s48, 6
	v_subrev_u32_e32 v3, s0, v3
	s_mul_i32 s0, s49, 0x60
	v_add_u32_e32 v5, s0, v7
	s_mul_i32 s0, s48, 0x60
	s_ashr_i32 s19, s18, 31
	s_and_b64 s[36:37], s[2:3], s[4:5]
	s_and_b64 s[38:39], s[2:3], s[10:11]
	;; [unrolled: 1-line block ×12, first 2 shown]
	v_subrev_u32_e32 v5, s0, v5
	s_lshl_b64 s[0:1], s[18:19], 2
	s_add_u32 s14, s54, s0
	s_mul_i32 s51, s16, s16
	s_mov_b32 s52, 0
	s_movk_i32 s53, 0x60
	v_mul_lo_u32 v1, s16, v1
	v_mul_lo_u32 v3, s16, v3
	;; [unrolled: 1-line block ×4, first 2 shown]
	s_addc_u32 s15, s55, s1
	s_branch .LBB11_13
.LBB11_12:                              ;   in Loop: Header=BB11_13 Depth=1
	s_or_b64 exec, exec, s[48:49]
	s_add_i32 s18, s18, 1
	s_add_i32 s52, s52, s51
	s_add_u32 s14, s14, 4
	s_addc_u32 s15, s15, 0
	v_add_u32_e32 v12, s51, v12
	v_add_u32_e32 v13, s51, v13
	;; [unrolled: 1-line block ×7, first 2 shown]
	s_cmp_ge_i32 s18, s50
	v_add_u32_e32 v7, s16, v7
	s_cbranch_scc1 .LBB11_45
.LBB11_13:                              ; =>This Inner Loop Header: Depth=1
	s_load_dword s0, s[14:15], 0x0
	v_add_u32_e32 v20, s52, v6
	s_waitcnt lgkmcnt(0)
	s_sub_i32 s0, s0, s33
	s_mul_i32 s19, s0, s16
	s_add_i32 s19, s19, s17
	v_add_u32_e32 v16, s19, v8
	s_and_saveexec_b64 s[48:49], s[26:27]
	s_cbranch_execz .LBB11_15
; %bb.14:                               ;   in Loop: Header=BB11_13 Depth=1
	v_add_u32_e32 v17, v8, v15
	v_cndmask_b32_e32 v18, v20, v17, vcc
	v_ashrrev_i32_e32 v19, 31, v18
	v_lshlrev_b64 v[18:19], 2, v[18:19]
	v_mov_b32_e32 v17, s23
	v_add_co_u32_e64 v18, s[0:1], s22, v18
	v_addc_co_u32_e64 v19, s[0:1], v17, v19, s[0:1]
	global_load_dword v17, v[18:19], off
	v_add_u32_e32 v18, v8, v7
	v_ashrrev_i32_e32 v19, 31, v18
	v_lshlrev_b64 v[18:19], 2, v[18:19]
	v_mov_b32_e32 v21, s25
	v_add_co_u32_e64 v22, s[0:1], s24, v18
	v_addc_co_u32_e64 v23, s[0:1], v21, v19, s[0:1]
	v_mov_b32_e32 v21, s21
	v_add_co_u32_e64 v18, s[0:1], s20, v18
	v_addc_co_u32_e64 v19, s[0:1], v21, v19, s[0:1]
	global_store_dword v[22:23], v16, off
	s_waitcnt vmcnt(1)
	global_store_dword v[18:19], v17, off
.LBB11_15:                              ;   in Loop: Header=BB11_13 Depth=1
	s_or_b64 exec, exec, s[48:49]
	v_add_u32_e32 v17, s19, v9
	v_add_u32_e32 v21, s52, v4
	s_and_saveexec_b64 s[48:49], s[28:29]
	s_cbranch_execz .LBB11_17
; %bb.16:                               ;   in Loop: Header=BB11_13 Depth=1
	v_add3_u32 v18, v8, v15, 32
	v_cndmask_b32_e32 v18, v21, v18, vcc
	v_ashrrev_i32_e32 v19, 31, v18
	v_lshlrev_b64 v[18:19], 2, v[18:19]
	v_mov_b32_e32 v22, s23
	v_add_co_u32_e64 v18, s[0:1], s22, v18
	v_addc_co_u32_e64 v19, s[0:1], v22, v19, s[0:1]
	global_load_dword v24, v[18:19], off
	v_add3_u32 v18, v8, v7, 32
	v_ashrrev_i32_e32 v19, 31, v18
	v_lshlrev_b64 v[18:19], 2, v[18:19]
	v_mov_b32_e32 v23, s25
	v_add_co_u32_e64 v22, s[0:1], s24, v18
	v_addc_co_u32_e64 v23, s[0:1], v23, v19, s[0:1]
	global_store_dword v[22:23], v17, off
	v_mov_b32_e32 v22, s21
	v_add_co_u32_e64 v18, s[0:1], s20, v18
	v_addc_co_u32_e64 v19, s[0:1], v22, v19, s[0:1]
	s_waitcnt vmcnt(1)
	global_store_dword v[18:19], v24, off
.LBB11_17:                              ;   in Loop: Header=BB11_13 Depth=1
	s_or_b64 exec, exec, s[48:49]
	v_add_u32_e32 v18, s19, v10
	v_add_u32_e32 v22, s52, v2
	s_and_saveexec_b64 s[48:49], s[30:31]
	s_cbranch_execz .LBB11_19
; %bb.18:                               ;   in Loop: Header=BB11_13 Depth=1
	v_add3_u32 v19, v8, v15, 64
	v_cndmask_b32_e32 v24, v22, v19, vcc
	v_ashrrev_i32_e32 v25, 31, v24
	v_lshlrev_b64 v[24:25], 2, v[24:25]
	v_mov_b32_e32 v19, s23
	v_add_co_u32_e64 v24, s[0:1], s22, v24
	v_addc_co_u32_e64 v25, s[0:1], v19, v25, s[0:1]
	global_load_dword v19, v[24:25], off
	v_add3_u32 v24, v8, v7, 64
	v_ashrrev_i32_e32 v25, 31, v24
	v_lshlrev_b64 v[24:25], 2, v[24:25]
	v_mov_b32_e32 v23, s25
	v_add_co_u32_e64 v26, s[0:1], s24, v24
	v_addc_co_u32_e64 v27, s[0:1], v23, v25, s[0:1]
	v_mov_b32_e32 v23, s21
	v_add_co_u32_e64 v24, s[0:1], s20, v24
	v_addc_co_u32_e64 v25, s[0:1], v23, v25, s[0:1]
	global_store_dword v[26:27], v18, off
	s_waitcnt vmcnt(1)
	global_store_dword v[24:25], v19, off
.LBB11_19:                              ;   in Loop: Header=BB11_13 Depth=1
	s_or_b64 exec, exec, s[48:49]
	v_add_u32_e32 v19, s19, v11
	v_add_u32_e32 v23, s52, v0
	s_and_saveexec_b64 s[48:49], s[34:35]
	s_cbranch_execnz .LBB11_32
; %bb.20:                               ;   in Loop: Header=BB11_13 Depth=1
	s_or_b64 exec, exec, s[48:49]
	v_add_u32_e32 v24, v8, v12
	s_and_saveexec_b64 s[48:49], s[36:37]
	s_cbranch_execnz .LBB11_33
.LBB11_21:                              ;   in Loop: Header=BB11_13 Depth=1
	s_or_b64 exec, exec, s[48:49]
	s_and_saveexec_b64 s[48:49], s[38:39]
	s_cbranch_execnz .LBB11_34
.LBB11_22:                              ;   in Loop: Header=BB11_13 Depth=1
	s_or_b64 exec, exec, s[48:49]
	s_and_saveexec_b64 s[48:49], s[40:41]
	s_cbranch_execnz .LBB11_35
.LBB11_23:                              ;   in Loop: Header=BB11_13 Depth=1
	s_or_b64 exec, exec, s[48:49]
	s_and_saveexec_b64 s[48:49], s[2:3]
	s_cbranch_execnz .LBB11_36
.LBB11_24:                              ;   in Loop: Header=BB11_13 Depth=1
	s_or_b64 exec, exec, s[48:49]
	v_add_u32_e32 v24, v8, v13
	s_and_saveexec_b64 s[48:49], s[42:43]
	s_cbranch_execnz .LBB11_37
.LBB11_25:                              ;   in Loop: Header=BB11_13 Depth=1
	s_or_b64 exec, exec, s[48:49]
	s_and_saveexec_b64 s[48:49], s[44:45]
	s_cbranch_execnz .LBB11_38
.LBB11_26:                              ;   in Loop: Header=BB11_13 Depth=1
	s_or_b64 exec, exec, s[48:49]
	s_and_saveexec_b64 s[48:49], s[46:47]
	s_cbranch_execnz .LBB11_39
.LBB11_27:                              ;   in Loop: Header=BB11_13 Depth=1
	s_or_b64 exec, exec, s[48:49]
	s_and_saveexec_b64 s[48:49], s[6:7]
	s_cbranch_execnz .LBB11_40
.LBB11_28:                              ;   in Loop: Header=BB11_13 Depth=1
	s_or_b64 exec, exec, s[48:49]
	v_add_u32_e32 v24, v8, v14
	s_and_saveexec_b64 s[48:49], s[4:5]
	s_cbranch_execnz .LBB11_41
.LBB11_29:                              ;   in Loop: Header=BB11_13 Depth=1
	s_or_b64 exec, exec, s[48:49]
	s_and_saveexec_b64 s[48:49], s[10:11]
	s_cbranch_execnz .LBB11_42
.LBB11_30:                              ;   in Loop: Header=BB11_13 Depth=1
	s_or_b64 exec, exec, s[48:49]
	s_and_saveexec_b64 s[48:49], s[12:13]
	s_cbranch_execnz .LBB11_43
.LBB11_31:                              ;   in Loop: Header=BB11_13 Depth=1
	s_or_b64 exec, exec, s[48:49]
	s_and_saveexec_b64 s[48:49], s[8:9]
	s_cbranch_execz .LBB11_12
	s_branch .LBB11_44
.LBB11_32:                              ;   in Loop: Header=BB11_13 Depth=1
	v_add3_u32 v24, v8, v15, s53
	v_cndmask_b32_e32 v24, v23, v24, vcc
	v_ashrrev_i32_e32 v25, 31, v24
	v_lshlrev_b64 v[24:25], 2, v[24:25]
	v_mov_b32_e32 v26, s23
	v_add_co_u32_e64 v24, s[0:1], s22, v24
	v_addc_co_u32_e64 v25, s[0:1], v26, v25, s[0:1]
	global_load_dword v28, v[24:25], off
	v_add3_u32 v24, v8, v7, s53
	v_ashrrev_i32_e32 v25, 31, v24
	v_lshlrev_b64 v[24:25], 2, v[24:25]
	v_mov_b32_e32 v27, s25
	v_add_co_u32_e64 v26, s[0:1], s24, v24
	v_addc_co_u32_e64 v27, s[0:1], v27, v25, s[0:1]
	global_store_dword v[26:27], v19, off
	v_mov_b32_e32 v26, s21
	v_add_co_u32_e64 v24, s[0:1], s20, v24
	v_addc_co_u32_e64 v25, s[0:1], v26, v25, s[0:1]
	s_waitcnt vmcnt(1)
	global_store_dword v[24:25], v28, off
	s_or_b64 exec, exec, s[48:49]
	v_add_u32_e32 v24, v8, v12
	s_and_saveexec_b64 s[48:49], s[36:37]
	s_cbranch_execz .LBB11_21
.LBB11_33:                              ;   in Loop: Header=BB11_13 Depth=1
	v_add3_u32 v25, v6, s52, 32
	v_cndmask_b32_e32 v26, v25, v24, vcc
	v_ashrrev_i32_e32 v27, 31, v26
	v_lshlrev_b64 v[26:27], 2, v[26:27]
	v_mov_b32_e32 v25, s23
	v_add_co_u32_e64 v26, s[0:1], s22, v26
	v_addc_co_u32_e64 v27, s[0:1], v25, v27, s[0:1]
	global_load_dword v25, v[26:27], off
	v_add_u32_e32 v26, v8, v1
	v_ashrrev_i32_e32 v27, 31, v26
	v_lshlrev_b64 v[26:27], 2, v[26:27]
	v_mov_b32_e32 v29, s25
	v_add_co_u32_e64 v28, s[0:1], s24, v26
	v_addc_co_u32_e64 v29, s[0:1], v29, v27, s[0:1]
	global_store_dword v[28:29], v16, off
	v_mov_b32_e32 v28, s21
	v_add_co_u32_e64 v26, s[0:1], s20, v26
	v_addc_co_u32_e64 v27, s[0:1], v28, v27, s[0:1]
	s_waitcnt vmcnt(1)
	global_store_dword v[26:27], v25, off
	s_or_b64 exec, exec, s[48:49]
	s_and_saveexec_b64 s[48:49], s[38:39]
	s_cbranch_execz .LBB11_22
.LBB11_34:                              ;   in Loop: Header=BB11_13 Depth=1
	v_cndmask_b32_e32 v24, v21, v24, vcc
	v_add_u32_e32 v24, 32, v24
	v_ashrrev_i32_e32 v25, 31, v24
	v_lshlrev_b64 v[24:25], 2, v[24:25]
	v_mov_b32_e32 v26, s23
	v_add_co_u32_e64 v24, s[0:1], s22, v24
	v_addc_co_u32_e64 v25, s[0:1], v26, v25, s[0:1]
	global_load_dword v28, v[24:25], off
	v_add3_u32 v24, v8, v1, 32
	v_ashrrev_i32_e32 v25, 31, v24
	v_lshlrev_b64 v[24:25], 2, v[24:25]
	v_mov_b32_e32 v27, s25
	v_add_co_u32_e64 v26, s[0:1], s24, v24
	v_addc_co_u32_e64 v27, s[0:1], v27, v25, s[0:1]
	global_store_dword v[26:27], v17, off
	v_mov_b32_e32 v26, s21
	v_add_co_u32_e64 v24, s[0:1], s20, v24
	v_addc_co_u32_e64 v25, s[0:1], v26, v25, s[0:1]
	s_waitcnt vmcnt(1)
	global_store_dword v[24:25], v28, off
	s_or_b64 exec, exec, s[48:49]
	s_and_saveexec_b64 s[48:49], s[40:41]
	s_cbranch_execz .LBB11_23
.LBB11_35:                              ;   in Loop: Header=BB11_13 Depth=1
	v_add3_u32 v24, v8, v12, 64
	v_add3_u32 v25, v2, s52, 32
	v_cndmask_b32_e32 v24, v25, v24, vcc
	v_ashrrev_i32_e32 v25, 31, v24
	v_lshlrev_b64 v[24:25], 2, v[24:25]
	v_mov_b32_e32 v26, s23
	v_add_co_u32_e64 v24, s[0:1], s22, v24
	v_addc_co_u32_e64 v25, s[0:1], v26, v25, s[0:1]
	global_load_dword v28, v[24:25], off
	v_add3_u32 v24, v8, v1, 64
	v_ashrrev_i32_e32 v25, 31, v24
	v_lshlrev_b64 v[24:25], 2, v[24:25]
	v_mov_b32_e32 v27, s25
	v_add_co_u32_e64 v26, s[0:1], s24, v24
	v_addc_co_u32_e64 v27, s[0:1], v27, v25, s[0:1]
	global_store_dword v[26:27], v18, off
	v_mov_b32_e32 v26, s21
	v_add_co_u32_e64 v24, s[0:1], s20, v24
	v_addc_co_u32_e64 v25, s[0:1], v26, v25, s[0:1]
	s_waitcnt vmcnt(1)
	global_store_dword v[24:25], v28, off
	s_or_b64 exec, exec, s[48:49]
	s_and_saveexec_b64 s[48:49], s[2:3]
	s_cbranch_execz .LBB11_24
.LBB11_36:                              ;   in Loop: Header=BB11_13 Depth=1
	v_add3_u32 v24, v8, v12, s53
	v_add3_u32 v25, v0, s52, 32
	v_cndmask_b32_e32 v24, v25, v24, vcc
	v_ashrrev_i32_e32 v25, 31, v24
	v_lshlrev_b64 v[24:25], 2, v[24:25]
	v_mov_b32_e32 v26, s23
	v_add_co_u32_e64 v24, s[0:1], s22, v24
	v_addc_co_u32_e64 v25, s[0:1], v26, v25, s[0:1]
	global_load_dword v28, v[24:25], off
	v_add3_u32 v24, v8, v1, s53
	v_ashrrev_i32_e32 v25, 31, v24
	v_lshlrev_b64 v[24:25], 2, v[24:25]
	v_mov_b32_e32 v27, s25
	v_add_co_u32_e64 v26, s[0:1], s24, v24
	v_addc_co_u32_e64 v27, s[0:1], v27, v25, s[0:1]
	global_store_dword v[26:27], v19, off
	v_mov_b32_e32 v26, s21
	v_add_co_u32_e64 v24, s[0:1], s20, v24
	v_addc_co_u32_e64 v25, s[0:1], v26, v25, s[0:1]
	s_waitcnt vmcnt(1)
	global_store_dword v[24:25], v28, off
	s_or_b64 exec, exec, s[48:49]
	v_add_u32_e32 v24, v8, v13
	s_and_saveexec_b64 s[48:49], s[42:43]
	s_cbranch_execz .LBB11_25
.LBB11_37:                              ;   in Loop: Header=BB11_13 Depth=1
	v_add3_u32 v25, v6, s52, 64
	v_cndmask_b32_e32 v26, v25, v24, vcc
	v_ashrrev_i32_e32 v27, 31, v26
	v_lshlrev_b64 v[26:27], 2, v[26:27]
	v_mov_b32_e32 v25, s23
	v_add_co_u32_e64 v26, s[0:1], s22, v26
	v_addc_co_u32_e64 v27, s[0:1], v25, v27, s[0:1]
	global_load_dword v25, v[26:27], off
	v_add_u32_e32 v26, v8, v3
	v_ashrrev_i32_e32 v27, 31, v26
	v_lshlrev_b64 v[26:27], 2, v[26:27]
	v_mov_b32_e32 v29, s25
	v_add_co_u32_e64 v28, s[0:1], s24, v26
	v_addc_co_u32_e64 v29, s[0:1], v29, v27, s[0:1]
	global_store_dword v[28:29], v16, off
	v_mov_b32_e32 v28, s21
	v_add_co_u32_e64 v26, s[0:1], s20, v26
	v_addc_co_u32_e64 v27, s[0:1], v28, v27, s[0:1]
	s_waitcnt vmcnt(1)
	global_store_dword v[26:27], v25, off
	s_or_b64 exec, exec, s[48:49]
	s_and_saveexec_b64 s[48:49], s[44:45]
	s_cbranch_execz .LBB11_26
.LBB11_38:                              ;   in Loop: Header=BB11_13 Depth=1
	v_add3_u32 v25, v8, v13, 32
	v_add3_u32 v26, v4, s52, 64
	v_cndmask_b32_e32 v26, v26, v25, vcc
	v_ashrrev_i32_e32 v27, 31, v26
	v_lshlrev_b64 v[26:27], 2, v[26:27]
	v_mov_b32_e32 v25, s23
	v_add_co_u32_e64 v26, s[0:1], s22, v26
	v_addc_co_u32_e64 v27, s[0:1], v25, v27, s[0:1]
	global_load_dword v25, v[26:27], off
	v_add3_u32 v26, v8, v3, 32
	v_ashrrev_i32_e32 v27, 31, v26
	v_lshlrev_b64 v[26:27], 2, v[26:27]
	v_mov_b32_e32 v29, s25
	v_add_co_u32_e64 v28, s[0:1], s24, v26
	v_addc_co_u32_e64 v29, s[0:1], v29, v27, s[0:1]
	global_store_dword v[28:29], v17, off
	v_mov_b32_e32 v28, s21
	v_add_co_u32_e64 v26, s[0:1], s20, v26
	v_addc_co_u32_e64 v27, s[0:1], v28, v27, s[0:1]
	s_waitcnt vmcnt(1)
	global_store_dword v[26:27], v25, off
	s_or_b64 exec, exec, s[48:49]
	s_and_saveexec_b64 s[48:49], s[46:47]
	s_cbranch_execz .LBB11_27
.LBB11_39:                              ;   in Loop: Header=BB11_13 Depth=1
	v_cndmask_b32_e32 v24, v22, v24, vcc
	v_add_u32_e32 v24, 64, v24
	v_ashrrev_i32_e32 v25, 31, v24
	v_lshlrev_b64 v[24:25], 2, v[24:25]
	v_mov_b32_e32 v26, s23
	v_add_co_u32_e64 v24, s[0:1], s22, v24
	v_addc_co_u32_e64 v25, s[0:1], v26, v25, s[0:1]
	global_load_dword v28, v[24:25], off
	v_add3_u32 v24, v8, v3, 64
	v_ashrrev_i32_e32 v25, 31, v24
	v_lshlrev_b64 v[24:25], 2, v[24:25]
	v_mov_b32_e32 v27, s25
	v_add_co_u32_e64 v26, s[0:1], s24, v24
	v_addc_co_u32_e64 v27, s[0:1], v27, v25, s[0:1]
	global_store_dword v[26:27], v18, off
	v_mov_b32_e32 v26, s21
	v_add_co_u32_e64 v24, s[0:1], s20, v24
	v_addc_co_u32_e64 v25, s[0:1], v26, v25, s[0:1]
	s_waitcnt vmcnt(1)
	global_store_dword v[24:25], v28, off
	s_or_b64 exec, exec, s[48:49]
	s_and_saveexec_b64 s[48:49], s[6:7]
	s_cbranch_execz .LBB11_28
.LBB11_40:                              ;   in Loop: Header=BB11_13 Depth=1
	v_add3_u32 v24, v8, v13, s53
	v_add3_u32 v25, v0, s52, 64
	v_cndmask_b32_e32 v24, v25, v24, vcc
	v_ashrrev_i32_e32 v25, 31, v24
	v_lshlrev_b64 v[24:25], 2, v[24:25]
	v_mov_b32_e32 v26, s23
	v_add_co_u32_e64 v24, s[0:1], s22, v24
	v_addc_co_u32_e64 v25, s[0:1], v26, v25, s[0:1]
	global_load_dword v28, v[24:25], off
	v_add3_u32 v24, v8, v3, s53
	v_ashrrev_i32_e32 v25, 31, v24
	v_lshlrev_b64 v[24:25], 2, v[24:25]
	v_mov_b32_e32 v27, s25
	v_add_co_u32_e64 v26, s[0:1], s24, v24
	v_addc_co_u32_e64 v27, s[0:1], v27, v25, s[0:1]
	global_store_dword v[26:27], v19, off
	v_mov_b32_e32 v26, s21
	v_add_co_u32_e64 v24, s[0:1], s20, v24
	v_addc_co_u32_e64 v25, s[0:1], v26, v25, s[0:1]
	s_waitcnt vmcnt(1)
	global_store_dword v[24:25], v28, off
	s_or_b64 exec, exec, s[48:49]
	v_add_u32_e32 v24, v8, v14
	s_and_saveexec_b64 s[48:49], s[4:5]
	s_cbranch_execz .LBB11_29
.LBB11_41:                              ;   in Loop: Header=BB11_13 Depth=1
	v_add_u32_e32 v20, 0x60, v20
	v_cndmask_b32_e32 v26, v20, v24, vcc
	v_ashrrev_i32_e32 v27, 31, v26
	v_lshlrev_b64 v[26:27], 2, v[26:27]
	v_mov_b32_e32 v20, s23
	v_add_co_u32_e64 v26, s[0:1], s22, v26
	v_addc_co_u32_e64 v27, s[0:1], v20, v27, s[0:1]
	global_load_dword v20, v[26:27], off
	v_add_u32_e32 v26, v8, v5
	v_ashrrev_i32_e32 v27, 31, v26
	v_lshlrev_b64 v[26:27], 2, v[26:27]
	v_mov_b32_e32 v25, s25
	v_add_co_u32_e64 v28, s[0:1], s24, v26
	v_addc_co_u32_e64 v29, s[0:1], v25, v27, s[0:1]
	global_store_dword v[28:29], v16, off
	v_mov_b32_e32 v16, s21
	v_add_co_u32_e64 v26, s[0:1], s20, v26
	v_addc_co_u32_e64 v27, s[0:1], v16, v27, s[0:1]
	s_waitcnt vmcnt(1)
	global_store_dword v[26:27], v20, off
	s_or_b64 exec, exec, s[48:49]
	s_and_saveexec_b64 s[48:49], s[10:11]
	s_cbranch_execz .LBB11_30
.LBB11_42:                              ;   in Loop: Header=BB11_13 Depth=1
	v_add3_u32 v16, v8, v14, 32
	v_add_u32_e32 v20, 0x60, v21
	v_cndmask_b32_e32 v20, v20, v16, vcc
	v_ashrrev_i32_e32 v21, 31, v20
	v_lshlrev_b64 v[20:21], 2, v[20:21]
	v_mov_b32_e32 v16, s23
	v_add_co_u32_e64 v20, s[0:1], s22, v20
	v_addc_co_u32_e64 v21, s[0:1], v16, v21, s[0:1]
	global_load_dword v25, v[20:21], off
	v_add3_u32 v20, v8, v5, 32
	v_ashrrev_i32_e32 v21, 31, v20
	v_lshlrev_b64 v[20:21], 2, v[20:21]
	v_mov_b32_e32 v16, s25
	v_add_co_u32_e64 v26, s[0:1], s24, v20
	v_addc_co_u32_e64 v27, s[0:1], v16, v21, s[0:1]
	global_store_dword v[26:27], v17, off
	v_mov_b32_e32 v17, s21
	v_add_co_u32_e64 v16, s[0:1], s20, v20
	v_addc_co_u32_e64 v17, s[0:1], v17, v21, s[0:1]
	s_waitcnt vmcnt(1)
	global_store_dword v[16:17], v25, off
	s_or_b64 exec, exec, s[48:49]
	s_and_saveexec_b64 s[48:49], s[12:13]
	s_cbranch_execz .LBB11_31
.LBB11_43:                              ;   in Loop: Header=BB11_13 Depth=1
	v_add3_u32 v16, v8, v14, 64
	v_add_u32_e32 v17, 0x60, v22
	v_cndmask_b32_e32 v16, v17, v16, vcc
	v_ashrrev_i32_e32 v17, 31, v16
	v_lshlrev_b64 v[16:17], 2, v[16:17]
	v_mov_b32_e32 v20, s23
	v_add_co_u32_e64 v16, s[0:1], s22, v16
	v_addc_co_u32_e64 v17, s[0:1], v20, v17, s[0:1]
	global_load_dword v22, v[16:17], off
	v_add3_u32 v16, v8, v5, 64
	v_ashrrev_i32_e32 v17, 31, v16
	v_lshlrev_b64 v[16:17], 2, v[16:17]
	v_mov_b32_e32 v21, s25
	v_add_co_u32_e64 v20, s[0:1], s24, v16
	v_addc_co_u32_e64 v21, s[0:1], v21, v17, s[0:1]
	global_store_dword v[20:21], v18, off
	v_mov_b32_e32 v18, s21
	v_add_co_u32_e64 v16, s[0:1], s20, v16
	v_addc_co_u32_e64 v17, s[0:1], v18, v17, s[0:1]
	s_waitcnt vmcnt(1)
	global_store_dword v[16:17], v22, off
	s_or_b64 exec, exec, s[48:49]
	s_and_saveexec_b64 s[48:49], s[8:9]
	s_cbranch_execz .LBB11_12
.LBB11_44:                              ;   in Loop: Header=BB11_13 Depth=1
	v_cndmask_b32_e32 v16, v23, v24, vcc
	v_add_u32_e32 v16, 0x60, v16
	v_ashrrev_i32_e32 v17, 31, v16
	v_lshlrev_b64 v[16:17], 2, v[16:17]
	v_mov_b32_e32 v18, s23
	v_add_co_u32_e64 v16, s[0:1], s22, v16
	v_addc_co_u32_e64 v17, s[0:1], v18, v17, s[0:1]
	global_load_dword v18, v[16:17], off
	v_add3_u32 v16, v8, v5, s53
	v_ashrrev_i32_e32 v17, 31, v16
	v_lshlrev_b64 v[16:17], 2, v[16:17]
	v_mov_b32_e32 v21, s25
	v_add_co_u32_e64 v20, s[0:1], s24, v16
	v_addc_co_u32_e64 v21, s[0:1], v21, v17, s[0:1]
	global_store_dword v[20:21], v19, off
	v_mov_b32_e32 v19, s21
	v_add_co_u32_e64 v16, s[0:1], s20, v16
	v_addc_co_u32_e64 v17, s[0:1], v19, v17, s[0:1]
	s_waitcnt vmcnt(1)
	global_store_dword v[16:17], v18, off
	s_branch .LBB11_12
.LBB11_45:
	s_endpgm
	.section	.rodata,"a",@progbits
	.p2align	6, 0x0
	.amdhsa_kernel _ZN9rocsparseL35bsr2csr_block_per_row_33_256_kernelILj1024ELj128ELj32EiiiEEv20rocsparse_direction_T4_S2_21rocsparse_index_base_PKT2_PKT3_PKS2_S2_S3_PS4_PS7_PS2_
		.amdhsa_group_segment_fixed_size 0
		.amdhsa_private_segment_fixed_size 0
		.amdhsa_kernarg_size 72
		.amdhsa_user_sgpr_count 6
		.amdhsa_user_sgpr_private_segment_buffer 1
		.amdhsa_user_sgpr_dispatch_ptr 0
		.amdhsa_user_sgpr_queue_ptr 0
		.amdhsa_user_sgpr_kernarg_segment_ptr 1
		.amdhsa_user_sgpr_dispatch_id 0
		.amdhsa_user_sgpr_flat_scratch_init 0
		.amdhsa_user_sgpr_kernarg_preload_length 0
		.amdhsa_user_sgpr_kernarg_preload_offset 0
		.amdhsa_user_sgpr_private_segment_size 0
		.amdhsa_uses_dynamic_stack 0
		.amdhsa_system_sgpr_private_segment_wavefront_offset 0
		.amdhsa_system_sgpr_workgroup_id_x 1
		.amdhsa_system_sgpr_workgroup_id_y 0
		.amdhsa_system_sgpr_workgroup_id_z 0
		.amdhsa_system_sgpr_workgroup_info 0
		.amdhsa_system_vgpr_workitem_id 0
		.amdhsa_next_free_vgpr 30
		.amdhsa_next_free_sgpr 56
		.amdhsa_accum_offset 32
		.amdhsa_reserve_vcc 1
		.amdhsa_reserve_flat_scratch 0
		.amdhsa_float_round_mode_32 0
		.amdhsa_float_round_mode_16_64 0
		.amdhsa_float_denorm_mode_32 3
		.amdhsa_float_denorm_mode_16_64 3
		.amdhsa_dx10_clamp 1
		.amdhsa_ieee_mode 1
		.amdhsa_fp16_overflow 0
		.amdhsa_tg_split 0
		.amdhsa_exception_fp_ieee_invalid_op 0
		.amdhsa_exception_fp_denorm_src 0
		.amdhsa_exception_fp_ieee_div_zero 0
		.amdhsa_exception_fp_ieee_overflow 0
		.amdhsa_exception_fp_ieee_underflow 0
		.amdhsa_exception_fp_ieee_inexact 0
		.amdhsa_exception_int_div_zero 0
	.end_amdhsa_kernel
	.section	.text._ZN9rocsparseL35bsr2csr_block_per_row_33_256_kernelILj1024ELj128ELj32EiiiEEv20rocsparse_direction_T4_S2_21rocsparse_index_base_PKT2_PKT3_PKS2_S2_S3_PS4_PS7_PS2_,"axG",@progbits,_ZN9rocsparseL35bsr2csr_block_per_row_33_256_kernelILj1024ELj128ELj32EiiiEEv20rocsparse_direction_T4_S2_21rocsparse_index_base_PKT2_PKT3_PKS2_S2_S3_PS4_PS7_PS2_,comdat
.Lfunc_end11:
	.size	_ZN9rocsparseL35bsr2csr_block_per_row_33_256_kernelILj1024ELj128ELj32EiiiEEv20rocsparse_direction_T4_S2_21rocsparse_index_base_PKT2_PKT3_PKS2_S2_S3_PS4_PS7_PS2_, .Lfunc_end11-_ZN9rocsparseL35bsr2csr_block_per_row_33_256_kernelILj1024ELj128ELj32EiiiEEv20rocsparse_direction_T4_S2_21rocsparse_index_base_PKT2_PKT3_PKS2_S2_S3_PS4_PS7_PS2_
                                        ; -- End function
	.section	.AMDGPU.csdata,"",@progbits
; Kernel info:
; codeLenInByte = 3488
; NumSgprs: 60
; NumVgprs: 30
; NumAgprs: 0
; TotalNumVgprs: 30
; ScratchSize: 0
; MemoryBound: 0
; FloatMode: 240
; IeeeMode: 1
; LDSByteSize: 0 bytes/workgroup (compile time only)
; SGPRBlocks: 7
; VGPRBlocks: 3
; NumSGPRsForWavesPerEU: 60
; NumVGPRsForWavesPerEU: 30
; AccumOffset: 32
; Occupancy: 8
; WaveLimiterHint : 1
; COMPUTE_PGM_RSRC2:SCRATCH_EN: 0
; COMPUTE_PGM_RSRC2:USER_SGPR: 6
; COMPUTE_PGM_RSRC2:TRAP_HANDLER: 0
; COMPUTE_PGM_RSRC2:TGID_X_EN: 1
; COMPUTE_PGM_RSRC2:TGID_Y_EN: 0
; COMPUTE_PGM_RSRC2:TGID_Z_EN: 0
; COMPUTE_PGM_RSRC2:TIDIG_COMP_CNT: 0
; COMPUTE_PGM_RSRC3_GFX90A:ACCUM_OFFSET: 7
; COMPUTE_PGM_RSRC3_GFX90A:TG_SPLIT: 0
	.section	.text._ZN9rocsparseL35bsr2csr_block_per_row_33_256_kernelILj1024ELj256ELj32EiiiEEv20rocsparse_direction_T4_S2_21rocsparse_index_base_PKT2_PKT3_PKS2_S2_S3_PS4_PS7_PS2_,"axG",@progbits,_ZN9rocsparseL35bsr2csr_block_per_row_33_256_kernelILj1024ELj256ELj32EiiiEEv20rocsparse_direction_T4_S2_21rocsparse_index_base_PKT2_PKT3_PKS2_S2_S3_PS4_PS7_PS2_,comdat
	.globl	_ZN9rocsparseL35bsr2csr_block_per_row_33_256_kernelILj1024ELj256ELj32EiiiEEv20rocsparse_direction_T4_S2_21rocsparse_index_base_PKT2_PKT3_PKS2_S2_S3_PS4_PS7_PS2_ ; -- Begin function _ZN9rocsparseL35bsr2csr_block_per_row_33_256_kernelILj1024ELj256ELj32EiiiEEv20rocsparse_direction_T4_S2_21rocsparse_index_base_PKT2_PKT3_PKS2_S2_S3_PS4_PS7_PS2_
	.p2align	8
	.type	_ZN9rocsparseL35bsr2csr_block_per_row_33_256_kernelILj1024ELj256ELj32EiiiEEv20rocsparse_direction_T4_S2_21rocsparse_index_base_PKT2_PKT3_PKS2_S2_S3_PS4_PS7_PS2_,@function
_ZN9rocsparseL35bsr2csr_block_per_row_33_256_kernelILj1024ELj256ELj32EiiiEEv20rocsparse_direction_T4_S2_21rocsparse_index_base_PKT2_PKT3_PKS2_S2_S3_PS4_PS7_PS2_: ; @_ZN9rocsparseL35bsr2csr_block_per_row_33_256_kernelILj1024ELj256ELj32EiiiEEv20rocsparse_direction_T4_S2_21rocsparse_index_base_PKT2_PKT3_PKS2_S2_S3_PS4_PS7_PS2_
; %bb.0:
	s_load_dwordx2 s[0:1], s[4:5], 0x18
	s_load_dwordx2 s[36:37], s[4:5], 0x28
	;; [unrolled: 1-line block ×3, first 2 shown]
	s_ashr_i32 s7, s6, 31
	s_lshl_b64 s[8:9], s[6:7], 2
	s_waitcnt lgkmcnt(0)
	s_add_u32 s0, s0, s8
	s_addc_u32 s1, s1, s9
	s_load_dwordx2 s[88:89], s[0:1], 0x0
	v_or_b32_e32 v1, s6, v0
	v_cmp_eq_u32_e32 vcc, 0, v1
	s_and_saveexec_b64 s[0:1], vcc
	s_cbranch_execz .LBB12_2
; %bb.1:
	v_mov_b32_e32 v1, 0
	v_mov_b32_e32 v2, s37
	global_store_dword v1, v2, s[2:3]
.LBB12_2:
	s_or_b64 exec, exec, s[0:1]
	s_load_dword s0, s[4:5], 0xc
                                        ; implicit-def: $vgpr55 : SGPR spill to VGPR lane
	v_lshrrev_b32_e32 v18, 5, v0
	s_mul_i32 s20, s6, s36
	s_waitcnt lgkmcnt(0)
	s_sub_i32 s38, s88, s0
	v_writelane_b32 v55, s0, 0
	s_sub_i32 s0, s89, s0
	s_mul_i32 s33, s38, s36
	s_mov_b32 s95, s0
	s_sub_i32 s90, s0, s38
	s_mul_i32 s0, s33, s36
	s_mul_i32 s21, s90, s36
	s_add_i32 s22, s0, s37
	s_add_i32 s22, s22, s21
	v_cmp_gt_i32_e64 s[0:1], s36, v18
	s_and_saveexec_b64 s[6:7], s[0:1]
	s_cbranch_execz .LBB12_4
; %bb.3:
	v_add_u32_e32 v2, s20, v18
	v_ashrrev_i32_e32 v3, 31, v2
	v_lshlrev_b64 v[2:3], 2, v[2:3]
	v_mul_lo_u32 v1, v18, s21
	v_mov_b32_e32 v4, s3
	v_add_co_u32_e32 v2, vcc, s2, v2
	v_add_u32_e32 v1, s22, v1
	v_addc_co_u32_e32 v3, vcc, v4, v3, vcc
	global_store_dword v[2:3], v1, off offset:4
.LBB12_4:
	s_or_b64 exec, exec, s[6:7]
	s_add_u32 s23, s2, 4
	v_or_b32_e32 v1, 32, v18
	s_addc_u32 s24, s3, 0
	v_cmp_gt_i32_e64 s[2:3], s36, v1
	s_and_saveexec_b64 s[6:7], s[2:3]
	s_cbranch_execz .LBB12_6
; %bb.5:
	s_ashr_i32 s8, s20, 31
	v_mov_b32_e32 v3, s8
	v_add_co_u32_e32 v2, vcc, s20, v18
	v_addc_co_u32_e32 v3, vcc, 0, v3, vcc
	v_lshlrev_b64 v[2:3], 2, v[2:3]
	v_mul_lo_u32 v1, v1, s21
	v_mov_b32_e32 v4, s24
	v_add_co_u32_e32 v2, vcc, s23, v2
	v_add_u32_e32 v1, s22, v1
	v_addc_co_u32_e32 v3, vcc, v4, v3, vcc
	global_store_dword v[2:3], v1, off offset:128
.LBB12_6:
	s_or_b64 exec, exec, s[6:7]
	v_or_b32_e32 v1, 64, v18
	v_cmp_gt_i32_e64 s[6:7], s36, v1
	s_and_saveexec_b64 s[8:9], s[6:7]
	s_cbranch_execz .LBB12_8
; %bb.7:
	s_ashr_i32 s10, s20, 31
	v_mov_b32_e32 v3, s10
	v_add_co_u32_e32 v2, vcc, s20, v18
	v_addc_co_u32_e32 v3, vcc, 0, v3, vcc
	v_lshlrev_b64 v[2:3], 2, v[2:3]
	v_mul_lo_u32 v1, v1, s21
	v_mov_b32_e32 v4, s24
	v_add_co_u32_e32 v2, vcc, s23, v2
	v_add_u32_e32 v1, s22, v1
	v_addc_co_u32_e32 v3, vcc, v4, v3, vcc
	global_store_dword v[2:3], v1, off offset:256
.LBB12_8:
	s_or_b64 exec, exec, s[8:9]
	v_or_b32_e32 v1, 0x60, v18
	;; [unrolled: 18-line block ×6, first 2 shown]
	v_cmp_gt_i32_e64 s[16:17], s36, v1
	s_and_saveexec_b64 s[18:19], s[16:17]
	s_cbranch_execz .LBB12_18
; %bb.17:
	v_mul_lo_u32 v1, v1, s21
	s_ashr_i32 s21, s20, 31
	v_mov_b32_e32 v3, s21
	v_add_co_u32_e32 v2, vcc, s20, v18
	v_addc_co_u32_e32 v3, vcc, 0, v3, vcc
	v_lshlrev_b64 v[2:3], 2, v[2:3]
	v_mov_b32_e32 v4, s24
	v_add_co_u32_e32 v2, vcc, s23, v2
	v_add_u32_e32 v1, s22, v1
	v_addc_co_u32_e32 v3, vcc, v4, v3, vcc
	global_store_dword v[2:3], v1, off offset:896
.LBB12_18:
	s_or_b64 exec, exec, s[18:19]
	s_cmp_lt_i32 s88, s89
	s_cbranch_scc0 .LBB12_149
; %bb.19:
	s_load_dword s22, s[4:5], 0x0
	v_and_b32_e32 v0, 31, v0
	v_or_b32_e32 v1, 32, v0
	v_add_u32_e32 v19, s33, v0
	v_add_u32_e32 v32, s33, v18
	v_cmp_gt_i32_e64 s[18:19], s36, v0
	s_waitcnt lgkmcnt(0)
	s_cmp_eq_u32 s22, 0
	v_mad_u64_u32 v[2:3], s[44:45], s36, v19, v[18:19]
	v_mad_u64_u32 v[4:5], s[44:45], s36, v32, v[0:1]
	s_cselect_b64 vcc, -1, 0
	s_and_b64 s[44:45], s[0:1], s[18:19]
	v_cmp_gt_i32_e64 s[20:21], s36, v1
	v_writelane_b32 v55, s44, 1
	v_or_b32_e32 v34, 64, v0
	v_writelane_b32 v55, s45, 2
	s_and_b64 s[44:45], s[0:1], s[20:21]
	v_cmp_gt_i32_e64 s[22:23], s36, v34
	v_writelane_b32 v55, s44, 3
	v_or_b32_e32 v35, 0x60, v0
	v_writelane_b32 v55, s45, 4
	;; [unrolled: 5-line block ×6, first 2 shown]
	s_and_b64 s[44:45], s[0:1], s[30:31]
	v_cmp_gt_i32_e64 s[34:35], s36, v39
	v_writelane_b32 v55, s44, 13
	v_writelane_b32 v55, s45, 14
	s_and_b64 s[0:1], s[0:1], s[34:35]
	v_writelane_b32 v55, s0, 15
	v_writelane_b32 v55, s1, 16
	s_and_b64 s[0:1], s[2:3], s[18:19]
	;; [unrolled: 3-line block ×21, first 2 shown]
	v_writelane_b32 v55, s0, 55
	v_writelane_b32 v55, s1, 56
	s_load_dwordx2 s[0:1], s[4:5], 0x20
	s_ashr_i32 s39, s38, 31
	s_and_b64 s[44:45], s[8:9], s[26:27]
	s_and_b64 s[46:47], s[8:9], s[28:29]
	;; [unrolled: 1-line block ×36, first 2 shown]
	s_lshl_b32 s91, s88, 7
	s_lshl_b32 s92, s88, 6
	;; [unrolled: 1-line block ×3, first 2 shown]
	s_lshl_b64 s[34:35], s[38:39], 2
	v_mul_lo_u32 v3, v18, s90
	s_waitcnt lgkmcnt(0)
	s_add_u32 s34, s0, s34
	v_add_u32_e32 v40, s33, v3
	s_mul_i32 s0, s89, 0xe0
	v_add_u32_e32 v3, s0, v40
	s_mul_i32 s0, s88, 0xe0
	v_subrev_u32_e32 v3, s0, v3
	s_mul_i32 s0, s89, 0xc0
	v_add_u32_e32 v5, s0, v40
	s_mul_i32 s0, s88, 0xc0
	v_subrev_u32_e32 v5, s0, v5
	;; [unrolled: 4-line block ×3, first 2 shown]
	v_lshl_add_u32 v6, s89, 7, v40
	s_mul_i32 s0, s89, 0x60
	v_subrev_u32_e32 v42, s91, v6
	v_add_u32_e32 v6, s0, v40
	s_mul_i32 s0, s88, 0x60
	v_lshl_add_u32 v7, s89, 6, v40
	v_subrev_u32_e32 v43, s0, v6
	v_add_u32_e32 v6, 0xe0, v19
	s_addc_u32 s35, s1, s35
	v_subrev_u32_e32 v44, s92, v7
	v_mad_u64_u32 v[6:7], s[0:1], s36, v6, v[18:19]
	v_lshl_add_u32 v8, s89, 5, v40
	v_add_u32_e32 v7, 0xc0, v19
	v_subrev_u32_e32 v45, s93, v8
	v_mad_u64_u32 v[8:9], s[0:1], s36, v7, v[18:19]
	v_add_u32_e32 v7, 0xa0, v19
	v_mad_u64_u32 v[10:11], s[0:1], s36, v7, v[18:19]
	v_add_u32_e32 v7, 0x80, v19
	;; [unrolled: 2-line block ×8, first 2 shown]
	s_load_dwordx2 s[40:41], s[4:5], 0x30
	s_load_dwordx2 s[42:43], s[4:5], 0x10
	v_mad_u64_u32 v[24:25], s[0:1], s36, v7, v[0:1]
	s_load_dwordx2 s[4:5], s[4:5], 0x40
	v_add_u32_e32 v7, 0x80, v32
	v_mad_u64_u32 v[26:27], s[0:1], s36, v7, v[0:1]
	v_add_u32_e32 v7, 0xa0, v32
	v_mad_u64_u32 v[28:29], s[0:1], s36, v7, v[0:1]
	;; [unrolled: 2-line block ×4, first 2 shown]
	v_mul_lo_u32 v3, s36, v3
	v_mul_lo_u32 v5, s36, v5
	;; [unrolled: 1-line block ×8, first 2 shown]
	v_cndmask_b32_e32 v19, v2, v4, vcc
	s_mov_b32 s39, 0
	s_movk_i32 s33, 0x60
	s_movk_i32 s90, 0x80
	;; [unrolled: 1-line block ×5, first 2 shown]
	s_branch .LBB12_21
.LBB12_20:                              ;   in Loop: Header=BB12_21 Depth=1
	s_or_b64 exec, exec, s[88:89]
	s_mul_i32 s0, s36, s36
	s_add_i32 s38, s38, 1
	s_add_i32 s39, s39, s0
	s_add_u32 s34, s34, 4
	s_addc_u32 s35, s35, 0
	v_add_u32_e32 v3, s36, v3
	v_add_u32_e32 v5, s36, v5
	;; [unrolled: 1-line block ×7, first 2 shown]
	s_cmp_ge_i32 s38, s95
	v_add_u32_e32 v17, s36, v17
	s_cbranch_scc1 .LBB12_149
.LBB12_21:                              ; =>This Inner Loop Header: Depth=1
	s_load_dword s0, s[34:35], 0x0
	v_readlane_b32 s1, v55, 0
	s_waitcnt lgkmcnt(0)
	s_sub_i32 s0, s0, s1
	s_mul_i32 s94, s0, s36
	s_add_i32 s94, s94, s37
	v_add_u32_e32 v21, s94, v0
	s_mov_b64 s[88:89], exec
	v_readlane_b32 s0, v55, 1
	v_readlane_b32 s1, v55, 2
	s_and_b64 s[0:1], s[88:89], s[0:1]
	s_mov_b64 exec, s[0:1]
	s_cbranch_execz .LBB12_23
; %bb.22:                               ;   in Loop: Header=BB12_21 Depth=1
	v_add_u32_e32 v40, s39, v19
	v_ashrrev_i32_e32 v41, 31, v40
	v_lshlrev_b64 v[40:41], 2, v[40:41]
	v_mov_b32_e32 v23, s43
	v_add_co_u32_e64 v40, s[0:1], s42, v40
	v_addc_co_u32_e64 v41, s[0:1], v23, v41, s[0:1]
	global_load_dword v23, v[40:41], off
	v_add_u32_e32 v40, v0, v17
	v_ashrrev_i32_e32 v41, 31, v40
	v_lshlrev_b64 v[40:41], 2, v[40:41]
	v_mov_b32_e32 v25, s5
	v_add_co_u32_e64 v42, s[0:1], s4, v40
	v_addc_co_u32_e64 v43, s[0:1], v25, v41, s[0:1]
	v_mov_b32_e32 v25, s41
	v_add_co_u32_e64 v40, s[0:1], s40, v40
	v_addc_co_u32_e64 v41, s[0:1], v25, v41, s[0:1]
	global_store_dword v[42:43], v21, off
	s_waitcnt vmcnt(1)
	global_store_dword v[40:41], v23, off
.LBB12_23:                              ;   in Loop: Header=BB12_21 Depth=1
	s_or_b64 exec, exec, s[88:89]
	v_add_u32_e32 v23, s94, v1
	v_add_u32_e32 v41, s39, v18
	s_mov_b64 s[88:89], exec
	v_readlane_b32 s0, v55, 3
	v_readlane_b32 s1, v55, 4
	s_and_b64 s[0:1], s[88:89], s[0:1]
	s_mov_b64 exec, s[0:1]
	s_cbranch_execz .LBB12_25
; %bb.24:                               ;   in Loop: Header=BB12_21 Depth=1
	v_add3_u32 v25, v4, s39, 32
	v_cndmask_b32_e32 v42, v41, v25, vcc
	v_ashrrev_i32_e32 v43, 31, v42
	v_lshlrev_b64 v[42:43], 2, v[42:43]
	v_mov_b32_e32 v25, s43
	v_add_co_u32_e64 v42, s[0:1], s42, v42
	v_addc_co_u32_e64 v43, s[0:1], v25, v43, s[0:1]
	global_load_dword v25, v[42:43], off
	v_add3_u32 v42, v0, v17, 32
	v_ashrrev_i32_e32 v43, 31, v42
	v_lshlrev_b64 v[42:43], 2, v[42:43]
	v_mov_b32_e32 v27, s5
	v_add_co_u32_e64 v44, s[0:1], s4, v42
	v_addc_co_u32_e64 v45, s[0:1], v27, v43, s[0:1]
	v_mov_b32_e32 v27, s41
	v_add_co_u32_e64 v42, s[0:1], s40, v42
	v_addc_co_u32_e64 v43, s[0:1], v27, v43, s[0:1]
	global_store_dword v[44:45], v23, off
	s_waitcnt vmcnt(1)
	global_store_dword v[42:43], v25, off
.LBB12_25:                              ;   in Loop: Header=BB12_21 Depth=1
	s_or_b64 exec, exec, s[88:89]
	v_add_u32_e32 v25, s94, v34
	v_add_u32_e32 v42, s39, v16
	s_mov_b64 s[88:89], exec
	v_readlane_b32 s0, v55, 5
	v_readlane_b32 s1, v55, 6
	s_and_b64 s[0:1], s[88:89], s[0:1]
	s_mov_b64 exec, s[0:1]
	s_cbranch_execz .LBB12_27
; %bb.26:                               ;   in Loop: Header=BB12_21 Depth=1
	v_add3_u32 v27, v4, s39, 64
	v_cndmask_b32_e32 v44, v42, v27, vcc
	v_ashrrev_i32_e32 v45, 31, v44
	v_lshlrev_b64 v[44:45], 2, v[44:45]
	v_mov_b32_e32 v27, s43
	v_add_co_u32_e64 v44, s[0:1], s42, v44
	v_addc_co_u32_e64 v45, s[0:1], v27, v45, s[0:1]
	global_load_dword v27, v[44:45], off
	v_add3_u32 v44, v0, v17, 64
	v_ashrrev_i32_e32 v45, 31, v44
	v_lshlrev_b64 v[44:45], 2, v[44:45]
	v_mov_b32_e32 v29, s5
	v_add_co_u32_e64 v46, s[0:1], s4, v44
	v_addc_co_u32_e64 v47, s[0:1], v29, v45, s[0:1]
	v_mov_b32_e32 v29, s41
	v_add_co_u32_e64 v44, s[0:1], s40, v44
	v_addc_co_u32_e64 v45, s[0:1], v29, v45, s[0:1]
	global_store_dword v[46:47], v25, off
	s_waitcnt vmcnt(1)
	global_store_dword v[44:45], v27, off
.LBB12_27:                              ;   in Loop: Header=BB12_21 Depth=1
	s_or_b64 exec, exec, s[88:89]
	v_add_u32_e32 v27, s94, v35
	v_add_u32_e32 v48, s39, v4
	;; [unrolled: 1-line block ×3, first 2 shown]
	s_mov_b64 s[88:89], exec
	v_readlane_b32 s0, v55, 7
	v_readlane_b32 s1, v55, 8
	s_and_b64 s[0:1], s[88:89], s[0:1]
	s_mov_b64 exec, s[0:1]
	s_cbranch_execz .LBB12_29
; %bb.28:                               ;   in Loop: Header=BB12_21 Depth=1
	v_add_u32_e32 v29, 0x60, v48
	v_cndmask_b32_e32 v44, v43, v29, vcc
	v_ashrrev_i32_e32 v45, 31, v44
	v_lshlrev_b64 v[44:45], 2, v[44:45]
	v_mov_b32_e32 v29, s43
	v_add_co_u32_e64 v44, s[0:1], s42, v44
	v_addc_co_u32_e64 v45, s[0:1], v29, v45, s[0:1]
	global_load_dword v29, v[44:45], off
	v_add3_u32 v44, v0, v17, s33
	v_ashrrev_i32_e32 v45, 31, v44
	v_lshlrev_b64 v[44:45], 2, v[44:45]
	v_mov_b32_e32 v31, s5
	v_add_co_u32_e64 v46, s[0:1], s4, v44
	v_addc_co_u32_e64 v47, s[0:1], v31, v45, s[0:1]
	v_mov_b32_e32 v31, s41
	v_add_co_u32_e64 v44, s[0:1], s40, v44
	v_addc_co_u32_e64 v45, s[0:1], v31, v45, s[0:1]
	global_store_dword v[46:47], v27, off
	s_waitcnt vmcnt(1)
	global_store_dword v[44:45], v29, off
.LBB12_29:                              ;   in Loop: Header=BB12_21 Depth=1
	s_or_b64 exec, exec, s[88:89]
	v_add_u32_e32 v29, s94, v36
	v_add_u32_e32 v44, s39, v12
	s_mov_b64 s[88:89], exec
	v_readlane_b32 s0, v55, 9
	v_readlane_b32 s1, v55, 10
	s_and_b64 s[0:1], s[88:89], s[0:1]
	s_mov_b64 exec, s[0:1]
	s_cbranch_execz .LBB12_31
; %bb.30:                               ;   in Loop: Header=BB12_21 Depth=1
	v_add_u32_e32 v31, 0x80, v48
	v_cndmask_b32_e32 v46, v44, v31, vcc
	v_ashrrev_i32_e32 v47, 31, v46
	v_lshlrev_b64 v[46:47], 2, v[46:47]
	v_mov_b32_e32 v31, s43
	v_add_co_u32_e64 v46, s[0:1], s42, v46
	v_addc_co_u32_e64 v47, s[0:1], v31, v47, s[0:1]
	global_load_dword v31, v[46:47], off
	v_add3_u32 v46, v0, v17, s90
	v_ashrrev_i32_e32 v47, 31, v46
	v_lshlrev_b64 v[46:47], 2, v[46:47]
	v_mov_b32_e32 v33, s5
	v_add_co_u32_e64 v50, s[0:1], s4, v46
	v_addc_co_u32_e64 v51, s[0:1], v33, v47, s[0:1]
	v_mov_b32_e32 v33, s41
	v_add_co_u32_e64 v46, s[0:1], s40, v46
	v_addc_co_u32_e64 v47, s[0:1], v33, v47, s[0:1]
	global_store_dword v[50:51], v29, off
	s_waitcnt vmcnt(1)
	global_store_dword v[46:47], v31, off
.LBB12_31:                              ;   in Loop: Header=BB12_21 Depth=1
	s_or_b64 exec, exec, s[88:89]
	v_add_u32_e32 v31, s94, v37
	v_add_u32_e32 v45, s39, v10
	;; [unrolled: 31-line block ×4, first 2 shown]
	s_mov_b64 s[88:89], exec
	v_readlane_b32 s0, v55, 15
	v_readlane_b32 s1, v55, 16
	s_and_b64 s[0:1], s[88:89], s[0:1]
	s_mov_b64 exec, s[0:1]
	s_cbranch_execz .LBB12_37
; %bb.36:                               ;   in Loop: Header=BB12_21 Depth=1
	v_add_u32_e32 v48, 0xe0, v48
	v_cndmask_b32_e32 v48, v47, v48, vcc
	v_ashrrev_i32_e32 v49, 31, v48
	v_lshlrev_b64 v[48:49], 2, v[48:49]
	v_mov_b32_e32 v50, s43
	v_add_co_u32_e64 v48, s[0:1], s42, v48
	v_addc_co_u32_e64 v49, s[0:1], v50, v49, s[0:1]
	global_load_dword v52, v[48:49], off
	v_add3_u32 v48, v0, v17, s93
	v_ashrrev_i32_e32 v49, 31, v48
	v_lshlrev_b64 v[48:49], 2, v[48:49]
	v_mov_b32_e32 v51, s5
	v_add_co_u32_e64 v50, s[0:1], s4, v48
	v_addc_co_u32_e64 v51, s[0:1], v51, v49, s[0:1]
	global_store_dword v[50:51], v40, off
	v_mov_b32_e32 v50, s41
	v_add_co_u32_e64 v48, s[0:1], s40, v48
	v_addc_co_u32_e64 v49, s[0:1], v50, v49, s[0:1]
	s_waitcnt vmcnt(1)
	global_store_dword v[48:49], v52, off
.LBB12_37:                              ;   in Loop: Header=BB12_21 Depth=1
	s_or_b64 exec, exec, s[88:89]
	v_add_u32_e32 v48, s39, v20
	s_mov_b64 s[88:89], exec
	v_readlane_b32 s0, v55, 17
	v_readlane_b32 s1, v55, 18
	s_and_b64 s[0:1], s[88:89], s[0:1]
	s_mov_b64 exec, s[0:1]
	s_cbranch_execz .LBB12_39
; %bb.38:                               ;   in Loop: Header=BB12_21 Depth=1
	v_add3_u32 v49, v2, s39, 32
	v_cndmask_b32_e32 v50, v49, v48, vcc
	v_ashrrev_i32_e32 v51, 31, v50
	v_lshlrev_b64 v[50:51], 2, v[50:51]
	v_mov_b32_e32 v49, s43
	v_add_co_u32_e64 v50, s[0:1], s42, v50
	v_addc_co_u32_e64 v51, s[0:1], v49, v51, s[0:1]
	global_load_dword v49, v[50:51], off
	v_add_u32_e32 v50, v0, v15
	v_ashrrev_i32_e32 v51, 31, v50
	v_lshlrev_b64 v[50:51], 2, v[50:51]
	v_mov_b32_e32 v53, s5
	v_add_co_u32_e64 v52, s[0:1], s4, v50
	v_addc_co_u32_e64 v53, s[0:1], v53, v51, s[0:1]
	global_store_dword v[52:53], v21, off
	v_mov_b32_e32 v52, s41
	v_add_co_u32_e64 v50, s[0:1], s40, v50
	v_addc_co_u32_e64 v51, s[0:1], v52, v51, s[0:1]
	s_waitcnt vmcnt(1)
	global_store_dword v[50:51], v49, off
.LBB12_39:                              ;   in Loop: Header=BB12_21 Depth=1
	s_or_b64 exec, exec, s[88:89]
	s_mov_b64 s[88:89], exec
	v_readlane_b32 s0, v55, 19
	v_readlane_b32 s1, v55, 20
	s_and_b64 s[0:1], s[88:89], s[0:1]
	s_mov_b64 exec, s[0:1]
	s_cbranch_execz .LBB12_41
; %bb.40:                               ;   in Loop: Header=BB12_21 Depth=1
	v_cndmask_b32_e32 v49, v18, v20, vcc
	v_add3_u32 v50, v49, s39, 32
	v_ashrrev_i32_e32 v51, 31, v50
	v_lshlrev_b64 v[50:51], 2, v[50:51]
	v_mov_b32_e32 v49, s43
	v_add_co_u32_e64 v50, s[0:1], s42, v50
	v_addc_co_u32_e64 v51, s[0:1], v49, v51, s[0:1]
	global_load_dword v49, v[50:51], off
	v_add3_u32 v50, v0, v15, 32
	v_ashrrev_i32_e32 v51, 31, v50
	v_lshlrev_b64 v[50:51], 2, v[50:51]
	v_mov_b32_e32 v53, s5
	v_add_co_u32_e64 v52, s[0:1], s4, v50
	v_addc_co_u32_e64 v53, s[0:1], v53, v51, s[0:1]
	global_store_dword v[52:53], v23, off
	v_mov_b32_e32 v52, s41
	v_add_co_u32_e64 v50, s[0:1], s40, v50
	v_addc_co_u32_e64 v51, s[0:1], v52, v51, s[0:1]
	s_waitcnt vmcnt(1)
	global_store_dword v[50:51], v49, off
.LBB12_41:                              ;   in Loop: Header=BB12_21 Depth=1
	s_or_b64 exec, exec, s[88:89]
	s_mov_b64 s[88:89], exec
	v_readlane_b32 s0, v55, 21
	v_readlane_b32 s1, v55, 22
	s_and_b64 s[0:1], s[88:89], s[0:1]
	s_mov_b64 exec, s[0:1]
	s_cbranch_execz .LBB12_43
; %bb.42:                               ;   in Loop: Header=BB12_21 Depth=1
	v_add3_u32 v49, v20, s39, 64
	v_add3_u32 v50, v16, s39, 32
	v_cndmask_b32_e32 v50, v50, v49, vcc
	v_ashrrev_i32_e32 v51, 31, v50
	v_lshlrev_b64 v[50:51], 2, v[50:51]
	v_mov_b32_e32 v49, s43
	v_add_co_u32_e64 v50, s[0:1], s42, v50
	v_addc_co_u32_e64 v51, s[0:1], v49, v51, s[0:1]
	global_load_dword v49, v[50:51], off
	v_add3_u32 v50, v0, v15, 64
	v_ashrrev_i32_e32 v51, 31, v50
	v_lshlrev_b64 v[50:51], 2, v[50:51]
	v_mov_b32_e32 v53, s5
	v_add_co_u32_e64 v52, s[0:1], s4, v50
	v_addc_co_u32_e64 v53, s[0:1], v53, v51, s[0:1]
	global_store_dword v[52:53], v25, off
	v_mov_b32_e32 v52, s41
	v_add_co_u32_e64 v50, s[0:1], s40, v50
	v_addc_co_u32_e64 v51, s[0:1], v52, v51, s[0:1]
	s_waitcnt vmcnt(1)
	global_store_dword v[50:51], v49, off
.LBB12_43:                              ;   in Loop: Header=BB12_21 Depth=1
	s_or_b64 exec, exec, s[88:89]
	s_mov_b64 s[88:89], exec
	v_readlane_b32 s0, v55, 23
	v_readlane_b32 s1, v55, 24
	s_and_b64 s[0:1], s[88:89], s[0:1]
	s_mov_b64 exec, s[0:1]
	s_cbranch_execz .LBB12_45
; %bb.44:                               ;   in Loop: Header=BB12_21 Depth=1
	v_add_u32_e32 v49, 0x60, v48
	v_add3_u32 v50, v14, s39, 32
	v_cndmask_b32_e32 v50, v50, v49, vcc
	v_ashrrev_i32_e32 v51, 31, v50
	v_lshlrev_b64 v[50:51], 2, v[50:51]
	v_mov_b32_e32 v49, s43
	v_add_co_u32_e64 v50, s[0:1], s42, v50
	v_addc_co_u32_e64 v51, s[0:1], v49, v51, s[0:1]
	global_load_dword v49, v[50:51], off
	v_add3_u32 v50, v0, v15, s33
	v_ashrrev_i32_e32 v51, 31, v50
	v_lshlrev_b64 v[50:51], 2, v[50:51]
	v_mov_b32_e32 v53, s5
	v_add_co_u32_e64 v52, s[0:1], s4, v50
	v_addc_co_u32_e64 v53, s[0:1], v53, v51, s[0:1]
	global_store_dword v[52:53], v27, off
	v_mov_b32_e32 v52, s41
	v_add_co_u32_e64 v50, s[0:1], s40, v50
	v_addc_co_u32_e64 v51, s[0:1], v52, v51, s[0:1]
	s_waitcnt vmcnt(1)
	global_store_dword v[50:51], v49, off
.LBB12_45:                              ;   in Loop: Header=BB12_21 Depth=1
	s_or_b64 exec, exec, s[88:89]
	s_mov_b64 s[88:89], exec
	v_readlane_b32 s0, v55, 25
	v_readlane_b32 s1, v55, 26
	s_and_b64 s[0:1], s[88:89], s[0:1]
	s_mov_b64 exec, s[0:1]
	s_cbranch_execz .LBB12_47
; %bb.46:                               ;   in Loop: Header=BB12_21 Depth=1
	v_add_u32_e32 v49, 0x80, v48
	v_add3_u32 v50, v12, s39, 32
	v_cndmask_b32_e32 v50, v50, v49, vcc
	v_ashrrev_i32_e32 v51, 31, v50
	v_lshlrev_b64 v[50:51], 2, v[50:51]
	v_mov_b32_e32 v49, s43
	v_add_co_u32_e64 v50, s[0:1], s42, v50
	v_addc_co_u32_e64 v51, s[0:1], v49, v51, s[0:1]
	global_load_dword v49, v[50:51], off
	v_add3_u32 v50, v0, v15, s90
	v_ashrrev_i32_e32 v51, 31, v50
	v_lshlrev_b64 v[50:51], 2, v[50:51]
	v_mov_b32_e32 v53, s5
	v_add_co_u32_e64 v52, s[0:1], s4, v50
	v_addc_co_u32_e64 v53, s[0:1], v53, v51, s[0:1]
	global_store_dword v[52:53], v29, off
	v_mov_b32_e32 v52, s41
	v_add_co_u32_e64 v50, s[0:1], s40, v50
	v_addc_co_u32_e64 v51, s[0:1], v52, v51, s[0:1]
	s_waitcnt vmcnt(1)
	global_store_dword v[50:51], v49, off
.LBB12_47:                              ;   in Loop: Header=BB12_21 Depth=1
	;; [unrolled: 30-line block ×5, first 2 shown]
	s_or_b64 exec, exec, s[88:89]
	v_add_u32_e32 v48, s39, v22
	s_mov_b64 s[88:89], exec
	v_readlane_b32 s0, v55, 33
	v_readlane_b32 s1, v55, 34
	s_and_b64 s[0:1], s[88:89], s[0:1]
	s_mov_b64 exec, s[0:1]
	s_cbranch_execz .LBB12_55
; %bb.54:                               ;   in Loop: Header=BB12_21 Depth=1
	v_add3_u32 v49, v2, s39, 64
	v_cndmask_b32_e32 v50, v49, v48, vcc
	v_ashrrev_i32_e32 v51, 31, v50
	v_lshlrev_b64 v[50:51], 2, v[50:51]
	v_mov_b32_e32 v49, s43
	v_add_co_u32_e64 v50, s[0:1], s42, v50
	v_addc_co_u32_e64 v51, s[0:1], v49, v51, s[0:1]
	global_load_dword v49, v[50:51], off
	v_add_u32_e32 v50, v0, v13
	v_ashrrev_i32_e32 v51, 31, v50
	v_lshlrev_b64 v[50:51], 2, v[50:51]
	v_mov_b32_e32 v53, s5
	v_add_co_u32_e64 v52, s[0:1], s4, v50
	v_addc_co_u32_e64 v53, s[0:1], v53, v51, s[0:1]
	global_store_dword v[52:53], v21, off
	v_mov_b32_e32 v52, s41
	v_add_co_u32_e64 v50, s[0:1], s40, v50
	v_addc_co_u32_e64 v51, s[0:1], v52, v51, s[0:1]
	s_waitcnt vmcnt(1)
	global_store_dword v[50:51], v49, off
.LBB12_55:                              ;   in Loop: Header=BB12_21 Depth=1
	s_or_b64 exec, exec, s[88:89]
	s_mov_b64 s[88:89], exec
	v_readlane_b32 s0, v55, 35
	v_readlane_b32 s1, v55, 36
	s_and_b64 s[0:1], s[88:89], s[0:1]
	s_mov_b64 exec, s[0:1]
	s_cbranch_execz .LBB12_57
; %bb.56:                               ;   in Loop: Header=BB12_21 Depth=1
	v_add3_u32 v49, v22, s39, 32
	v_add3_u32 v50, v18, s39, 64
	v_cndmask_b32_e32 v50, v50, v49, vcc
	v_ashrrev_i32_e32 v51, 31, v50
	v_lshlrev_b64 v[50:51], 2, v[50:51]
	v_mov_b32_e32 v49, s43
	v_add_co_u32_e64 v50, s[0:1], s42, v50
	v_addc_co_u32_e64 v51, s[0:1], v49, v51, s[0:1]
	global_load_dword v49, v[50:51], off
	v_add3_u32 v50, v0, v13, 32
	v_ashrrev_i32_e32 v51, 31, v50
	v_lshlrev_b64 v[50:51], 2, v[50:51]
	v_mov_b32_e32 v53, s5
	v_add_co_u32_e64 v52, s[0:1], s4, v50
	v_addc_co_u32_e64 v53, s[0:1], v53, v51, s[0:1]
	global_store_dword v[52:53], v23, off
	v_mov_b32_e32 v52, s41
	v_add_co_u32_e64 v50, s[0:1], s40, v50
	v_addc_co_u32_e64 v51, s[0:1], v52, v51, s[0:1]
	s_waitcnt vmcnt(1)
	global_store_dword v[50:51], v49, off
.LBB12_57:                              ;   in Loop: Header=BB12_21 Depth=1
	s_or_b64 exec, exec, s[88:89]
	s_mov_b64 s[88:89], exec
	v_readlane_b32 s0, v55, 37
	v_readlane_b32 s1, v55, 38
	s_and_b64 s[0:1], s[88:89], s[0:1]
	s_mov_b64 exec, s[0:1]
	s_cbranch_execz .LBB12_59
; %bb.58:                               ;   in Loop: Header=BB12_21 Depth=1
	v_cndmask_b32_e32 v49, v16, v22, vcc
	v_add3_u32 v50, v49, s39, 64
	v_ashrrev_i32_e32 v51, 31, v50
	v_lshlrev_b64 v[50:51], 2, v[50:51]
	v_mov_b32_e32 v49, s43
	v_add_co_u32_e64 v50, s[0:1], s42, v50
	v_addc_co_u32_e64 v51, s[0:1], v49, v51, s[0:1]
	global_load_dword v49, v[50:51], off
	v_add3_u32 v50, v0, v13, 64
	v_ashrrev_i32_e32 v51, 31, v50
	v_lshlrev_b64 v[50:51], 2, v[50:51]
	v_mov_b32_e32 v53, s5
	v_add_co_u32_e64 v52, s[0:1], s4, v50
	v_addc_co_u32_e64 v53, s[0:1], v53, v51, s[0:1]
	global_store_dword v[52:53], v25, off
	v_mov_b32_e32 v52, s41
	v_add_co_u32_e64 v50, s[0:1], s40, v50
	v_addc_co_u32_e64 v51, s[0:1], v52, v51, s[0:1]
	s_waitcnt vmcnt(1)
	global_store_dword v[50:51], v49, off
.LBB12_59:                              ;   in Loop: Header=BB12_21 Depth=1
	s_or_b64 exec, exec, s[88:89]
	s_mov_b64 s[88:89], exec
	v_readlane_b32 s0, v55, 39
	v_readlane_b32 s1, v55, 40
	s_and_b64 s[0:1], s[88:89], s[0:1]
	s_mov_b64 exec, s[0:1]
	s_cbranch_execz .LBB12_61
; %bb.60:                               ;   in Loop: Header=BB12_21 Depth=1
	v_add_u32_e32 v49, 0x60, v48
	v_add3_u32 v50, v14, s39, 64
	v_cndmask_b32_e32 v50, v50, v49, vcc
	v_ashrrev_i32_e32 v51, 31, v50
	v_lshlrev_b64 v[50:51], 2, v[50:51]
	v_mov_b32_e32 v49, s43
	v_add_co_u32_e64 v50, s[0:1], s42, v50
	v_addc_co_u32_e64 v51, s[0:1], v49, v51, s[0:1]
	global_load_dword v49, v[50:51], off
	v_add3_u32 v50, v0, v13, s33
	v_ashrrev_i32_e32 v51, 31, v50
	v_lshlrev_b64 v[50:51], 2, v[50:51]
	v_mov_b32_e32 v53, s5
	v_add_co_u32_e64 v52, s[0:1], s4, v50
	v_addc_co_u32_e64 v53, s[0:1], v53, v51, s[0:1]
	global_store_dword v[52:53], v27, off
	v_mov_b32_e32 v52, s41
	v_add_co_u32_e64 v50, s[0:1], s40, v50
	v_addc_co_u32_e64 v51, s[0:1], v52, v51, s[0:1]
	s_waitcnt vmcnt(1)
	global_store_dword v[50:51], v49, off
.LBB12_61:                              ;   in Loop: Header=BB12_21 Depth=1
	s_or_b64 exec, exec, s[88:89]
	s_mov_b64 s[88:89], exec
	v_readlane_b32 s0, v55, 41
	v_readlane_b32 s1, v55, 42
	s_and_b64 s[0:1], s[88:89], s[0:1]
	s_mov_b64 exec, s[0:1]
	s_cbranch_execz .LBB12_63
; %bb.62:                               ;   in Loop: Header=BB12_21 Depth=1
	v_add_u32_e32 v49, 0x80, v48
	v_add3_u32 v50, v12, s39, 64
	v_cndmask_b32_e32 v50, v50, v49, vcc
	v_ashrrev_i32_e32 v51, 31, v50
	v_lshlrev_b64 v[50:51], 2, v[50:51]
	v_mov_b32_e32 v49, s43
	v_add_co_u32_e64 v50, s[0:1], s42, v50
	v_addc_co_u32_e64 v51, s[0:1], v49, v51, s[0:1]
	global_load_dword v49, v[50:51], off
	v_add3_u32 v50, v0, v13, s90
	v_ashrrev_i32_e32 v51, 31, v50
	v_lshlrev_b64 v[50:51], 2, v[50:51]
	v_mov_b32_e32 v53, s5
	v_add_co_u32_e64 v52, s[0:1], s4, v50
	v_addc_co_u32_e64 v53, s[0:1], v53, v51, s[0:1]
	global_store_dword v[52:53], v29, off
	v_mov_b32_e32 v52, s41
	v_add_co_u32_e64 v50, s[0:1], s40, v50
	v_addc_co_u32_e64 v51, s[0:1], v52, v51, s[0:1]
	s_waitcnt vmcnt(1)
	global_store_dword v[50:51], v49, off
.LBB12_63:                              ;   in Loop: Header=BB12_21 Depth=1
	;; [unrolled: 30-line block ×5, first 2 shown]
	s_or_b64 exec, exec, s[88:89]
	v_add_u32_e32 v49, s39, v24
	v_add_u32_e32 v48, s39, v2
	s_mov_b64 s[88:89], exec
	v_readlane_b32 s0, v55, 49
	v_readlane_b32 s1, v55, 50
	s_and_b64 s[0:1], s[88:89], s[0:1]
	s_mov_b64 exec, s[0:1]
	s_cbranch_execz .LBB12_71
; %bb.70:                               ;   in Loop: Header=BB12_21 Depth=1
	v_add_u32_e32 v50, 0x60, v48
	v_cndmask_b32_e32 v50, v50, v49, vcc
	v_ashrrev_i32_e32 v51, 31, v50
	v_lshlrev_b64 v[50:51], 2, v[50:51]
	v_mov_b32_e32 v52, s43
	v_add_co_u32_e64 v50, s[0:1], s42, v50
	v_addc_co_u32_e64 v51, s[0:1], v52, v51, s[0:1]
	global_load_dword v54, v[50:51], off
	v_add_u32_e32 v50, v0, v11
	v_ashrrev_i32_e32 v51, 31, v50
	v_lshlrev_b64 v[50:51], 2, v[50:51]
	v_mov_b32_e32 v53, s5
	v_add_co_u32_e64 v52, s[0:1], s4, v50
	v_addc_co_u32_e64 v53, s[0:1], v53, v51, s[0:1]
	global_store_dword v[52:53], v21, off
	v_mov_b32_e32 v52, s41
	v_add_co_u32_e64 v50, s[0:1], s40, v50
	v_addc_co_u32_e64 v51, s[0:1], v52, v51, s[0:1]
	s_waitcnt vmcnt(1)
	global_store_dword v[50:51], v54, off
.LBB12_71:                              ;   in Loop: Header=BB12_21 Depth=1
	s_or_b64 exec, exec, s[88:89]
	s_mov_b64 s[88:89], exec
	v_readlane_b32 s0, v55, 51
	v_readlane_b32 s1, v55, 52
	s_and_b64 s[0:1], s[88:89], s[0:1]
	s_mov_b64 exec, s[0:1]
	s_cbranch_execz .LBB12_73
; %bb.72:                               ;   in Loop: Header=BB12_21 Depth=1
	v_add3_u32 v50, v24, s39, 32
	v_add_u32_e32 v51, 0x60, v41
	v_cndmask_b32_e32 v50, v51, v50, vcc
	v_ashrrev_i32_e32 v51, 31, v50
	v_lshlrev_b64 v[50:51], 2, v[50:51]
	v_mov_b32_e32 v52, s43
	v_add_co_u32_e64 v50, s[0:1], s42, v50
	v_addc_co_u32_e64 v51, s[0:1], v52, v51, s[0:1]
	global_load_dword v54, v[50:51], off
	v_add3_u32 v50, v0, v11, 32
	v_ashrrev_i32_e32 v51, 31, v50
	v_lshlrev_b64 v[50:51], 2, v[50:51]
	v_mov_b32_e32 v53, s5
	v_add_co_u32_e64 v52, s[0:1], s4, v50
	v_addc_co_u32_e64 v53, s[0:1], v53, v51, s[0:1]
	global_store_dword v[52:53], v23, off
	v_mov_b32_e32 v52, s41
	v_add_co_u32_e64 v50, s[0:1], s40, v50
	v_addc_co_u32_e64 v51, s[0:1], v52, v51, s[0:1]
	s_waitcnt vmcnt(1)
	global_store_dword v[50:51], v54, off
.LBB12_73:                              ;   in Loop: Header=BB12_21 Depth=1
	s_or_b64 exec, exec, s[88:89]
	s_mov_b64 s[88:89], exec
	v_readlane_b32 s0, v55, 53
	v_readlane_b32 s1, v55, 54
	s_and_b64 s[0:1], s[88:89], s[0:1]
	s_mov_b64 exec, s[0:1]
	s_cbranch_execz .LBB12_75
; %bb.74:                               ;   in Loop: Header=BB12_21 Depth=1
	v_add3_u32 v50, v24, s39, 64
	v_add_u32_e32 v51, 0x60, v42
	v_cndmask_b32_e32 v50, v51, v50, vcc
	v_ashrrev_i32_e32 v51, 31, v50
	v_lshlrev_b64 v[50:51], 2, v[50:51]
	v_mov_b32_e32 v52, s43
	v_add_co_u32_e64 v50, s[0:1], s42, v50
	v_addc_co_u32_e64 v51, s[0:1], v52, v51, s[0:1]
	global_load_dword v54, v[50:51], off
	v_add3_u32 v50, v0, v11, 64
	v_ashrrev_i32_e32 v51, 31, v50
	v_lshlrev_b64 v[50:51], 2, v[50:51]
	v_mov_b32_e32 v53, s5
	v_add_co_u32_e64 v52, s[0:1], s4, v50
	v_addc_co_u32_e64 v53, s[0:1], v53, v51, s[0:1]
	global_store_dword v[52:53], v25, off
	v_mov_b32_e32 v52, s41
	v_add_co_u32_e64 v50, s[0:1], s40, v50
	v_addc_co_u32_e64 v51, s[0:1], v52, v51, s[0:1]
	s_waitcnt vmcnt(1)
	global_store_dword v[50:51], v54, off
.LBB12_75:                              ;   in Loop: Header=BB12_21 Depth=1
	s_or_b64 exec, exec, s[88:89]
	s_mov_b64 s[88:89], exec
	v_readlane_b32 s0, v55, 55
	v_readlane_b32 s1, v55, 56
	s_and_b64 s[0:1], s[88:89], s[0:1]
	s_mov_b64 exec, s[0:1]
	s_cbranch_execnz .LBB12_112
; %bb.76:                               ;   in Loop: Header=BB12_21 Depth=1
	s_or_b64 exec, exec, s[88:89]
	s_and_saveexec_b64 s[88:89], s[44:45]
	s_cbranch_execnz .LBB12_113
.LBB12_77:                              ;   in Loop: Header=BB12_21 Depth=1
	s_or_b64 exec, exec, s[88:89]
	s_and_saveexec_b64 s[88:89], s[46:47]
	s_cbranch_execnz .LBB12_114
.LBB12_78:                              ;   in Loop: Header=BB12_21 Depth=1
	s_or_b64 exec, exec, s[88:89]
	s_and_saveexec_b64 s[88:89], s[48:49]
	s_cbranch_execnz .LBB12_115
.LBB12_79:                              ;   in Loop: Header=BB12_21 Depth=1
	s_or_b64 exec, exec, s[88:89]
	s_and_saveexec_b64 s[88:89], s[8:9]
	s_cbranch_execnz .LBB12_116
.LBB12_80:                              ;   in Loop: Header=BB12_21 Depth=1
	s_or_b64 exec, exec, s[88:89]
	v_add_u32_e32 v49, s39, v26
	s_and_saveexec_b64 s[88:89], s[50:51]
	s_cbranch_execnz .LBB12_117
.LBB12_81:                              ;   in Loop: Header=BB12_21 Depth=1
	s_or_b64 exec, exec, s[88:89]
	s_and_saveexec_b64 s[88:89], s[52:53]
	s_cbranch_execnz .LBB12_118
.LBB12_82:                              ;   in Loop: Header=BB12_21 Depth=1
	s_or_b64 exec, exec, s[88:89]
	s_and_saveexec_b64 s[88:89], s[54:55]
	s_cbranch_execnz .LBB12_119
.LBB12_83:                              ;   in Loop: Header=BB12_21 Depth=1
	s_or_b64 exec, exec, s[88:89]
	s_and_saveexec_b64 s[88:89], s[56:57]
	s_cbranch_execnz .LBB12_120
.LBB12_84:                              ;   in Loop: Header=BB12_21 Depth=1
	s_or_b64 exec, exec, s[88:89]
	s_and_saveexec_b64 s[88:89], s[58:59]
	s_cbranch_execnz .LBB12_121
.LBB12_85:                              ;   in Loop: Header=BB12_21 Depth=1
	s_or_b64 exec, exec, s[88:89]
	s_and_saveexec_b64 s[88:89], s[60:61]
	s_cbranch_execnz .LBB12_122
.LBB12_86:                              ;   in Loop: Header=BB12_21 Depth=1
	s_or_b64 exec, exec, s[88:89]
	s_and_saveexec_b64 s[88:89], s[62:63]
	s_cbranch_execnz .LBB12_123
.LBB12_87:                              ;   in Loop: Header=BB12_21 Depth=1
	s_or_b64 exec, exec, s[88:89]
	s_and_saveexec_b64 s[88:89], s[10:11]
	s_cbranch_execnz .LBB12_124
.LBB12_88:                              ;   in Loop: Header=BB12_21 Depth=1
	s_or_b64 exec, exec, s[88:89]
	v_add_u32_e32 v49, s39, v28
	s_and_saveexec_b64 s[88:89], s[64:65]
	s_cbranch_execnz .LBB12_125
.LBB12_89:                              ;   in Loop: Header=BB12_21 Depth=1
	s_or_b64 exec, exec, s[88:89]
	s_and_saveexec_b64 s[88:89], s[66:67]
	s_cbranch_execnz .LBB12_126
.LBB12_90:                              ;   in Loop: Header=BB12_21 Depth=1
	s_or_b64 exec, exec, s[88:89]
	s_and_saveexec_b64 s[88:89], s[68:69]
	s_cbranch_execnz .LBB12_127
.LBB12_91:                              ;   in Loop: Header=BB12_21 Depth=1
	s_or_b64 exec, exec, s[88:89]
	s_and_saveexec_b64 s[88:89], s[70:71]
	s_cbranch_execnz .LBB12_128
.LBB12_92:                              ;   in Loop: Header=BB12_21 Depth=1
	s_or_b64 exec, exec, s[88:89]
	s_and_saveexec_b64 s[88:89], s[72:73]
	s_cbranch_execnz .LBB12_129
.LBB12_93:                              ;   in Loop: Header=BB12_21 Depth=1
	s_or_b64 exec, exec, s[88:89]
	s_and_saveexec_b64 s[88:89], s[2:3]
	s_cbranch_execnz .LBB12_130
.LBB12_94:                              ;   in Loop: Header=BB12_21 Depth=1
	s_or_b64 exec, exec, s[88:89]
	s_and_saveexec_b64 s[88:89], s[74:75]
	s_cbranch_execnz .LBB12_131
.LBB12_95:                              ;   in Loop: Header=BB12_21 Depth=1
	s_or_b64 exec, exec, s[88:89]
	s_and_saveexec_b64 s[88:89], s[12:13]
	s_cbranch_execnz .LBB12_132
.LBB12_96:                              ;   in Loop: Header=BB12_21 Depth=1
	s_or_b64 exec, exec, s[88:89]
	v_add_u32_e32 v49, s39, v30
	s_and_saveexec_b64 s[88:89], s[76:77]
	s_cbranch_execnz .LBB12_133
.LBB12_97:                              ;   in Loop: Header=BB12_21 Depth=1
	s_or_b64 exec, exec, s[88:89]
	s_and_saveexec_b64 s[88:89], s[78:79]
	s_cbranch_execnz .LBB12_134
.LBB12_98:                              ;   in Loop: Header=BB12_21 Depth=1
	s_or_b64 exec, exec, s[88:89]
	s_and_saveexec_b64 s[88:89], s[80:81]
	s_cbranch_execnz .LBB12_135
.LBB12_99:                              ;   in Loop: Header=BB12_21 Depth=1
	s_or_b64 exec, exec, s[88:89]
	s_and_saveexec_b64 s[88:89], s[82:83]
	s_cbranch_execnz .LBB12_136
.LBB12_100:                             ;   in Loop: Header=BB12_21 Depth=1
	s_or_b64 exec, exec, s[88:89]
	s_and_saveexec_b64 s[88:89], s[84:85]
	s_cbranch_execnz .LBB12_137
.LBB12_101:                             ;   in Loop: Header=BB12_21 Depth=1
	s_or_b64 exec, exec, s[88:89]
	s_and_saveexec_b64 s[88:89], s[86:87]
	s_cbranch_execnz .LBB12_138
.LBB12_102:                             ;   in Loop: Header=BB12_21 Depth=1
	s_or_b64 exec, exec, s[88:89]
	s_and_saveexec_b64 s[88:89], s[6:7]
	s_cbranch_execnz .LBB12_139
.LBB12_103:                             ;   in Loop: Header=BB12_21 Depth=1
	s_or_b64 exec, exec, s[88:89]
	s_and_saveexec_b64 s[88:89], s[14:15]
	s_cbranch_execnz .LBB12_140
.LBB12_104:                             ;   in Loop: Header=BB12_21 Depth=1
	s_or_b64 exec, exec, s[88:89]
	v_add_u32_e32 v47, s39, v32
	s_and_saveexec_b64 s[88:89], s[18:19]
	s_cbranch_execnz .LBB12_141
.LBB12_105:                             ;   in Loop: Header=BB12_21 Depth=1
	s_or_b64 exec, exec, s[88:89]
	s_and_saveexec_b64 s[88:89], s[20:21]
	s_cbranch_execnz .LBB12_142
.LBB12_106:                             ;   in Loop: Header=BB12_21 Depth=1
	s_or_b64 exec, exec, s[88:89]
	s_and_saveexec_b64 s[88:89], s[22:23]
	s_cbranch_execnz .LBB12_143
.LBB12_107:                             ;   in Loop: Header=BB12_21 Depth=1
	s_or_b64 exec, exec, s[88:89]
	s_and_saveexec_b64 s[88:89], s[24:25]
	s_cbranch_execnz .LBB12_144
.LBB12_108:                             ;   in Loop: Header=BB12_21 Depth=1
	s_or_b64 exec, exec, s[88:89]
	s_and_saveexec_b64 s[88:89], s[26:27]
	s_cbranch_execnz .LBB12_145
.LBB12_109:                             ;   in Loop: Header=BB12_21 Depth=1
	s_or_b64 exec, exec, s[88:89]
	s_and_saveexec_b64 s[88:89], s[28:29]
	s_cbranch_execnz .LBB12_146
.LBB12_110:                             ;   in Loop: Header=BB12_21 Depth=1
	s_or_b64 exec, exec, s[88:89]
	s_and_saveexec_b64 s[88:89], s[30:31]
	s_cbranch_execnz .LBB12_147
.LBB12_111:                             ;   in Loop: Header=BB12_21 Depth=1
	s_or_b64 exec, exec, s[88:89]
	s_and_saveexec_b64 s[88:89], s[16:17]
	s_cbranch_execz .LBB12_20
	s_branch .LBB12_148
.LBB12_112:                             ;   in Loop: Header=BB12_21 Depth=1
	v_cndmask_b32_e32 v50, v14, v24, vcc
	v_add_u32_e32 v50, s39, v50
	v_add_u32_e32 v50, 0x60, v50
	v_ashrrev_i32_e32 v51, 31, v50
	v_lshlrev_b64 v[50:51], 2, v[50:51]
	v_mov_b32_e32 v52, s43
	v_add_co_u32_e64 v50, s[0:1], s42, v50
	v_addc_co_u32_e64 v51, s[0:1], v52, v51, s[0:1]
	global_load_dword v54, v[50:51], off
	v_add3_u32 v50, v0, v11, s33
	v_ashrrev_i32_e32 v51, 31, v50
	v_lshlrev_b64 v[50:51], 2, v[50:51]
	v_mov_b32_e32 v53, s5
	v_add_co_u32_e64 v52, s[0:1], s4, v50
	v_addc_co_u32_e64 v53, s[0:1], v53, v51, s[0:1]
	global_store_dword v[52:53], v27, off
	v_mov_b32_e32 v52, s41
	v_add_co_u32_e64 v50, s[0:1], s40, v50
	v_addc_co_u32_e64 v51, s[0:1], v52, v51, s[0:1]
	s_waitcnt vmcnt(1)
	global_store_dword v[50:51], v54, off
	s_or_b64 exec, exec, s[88:89]
	s_and_saveexec_b64 s[88:89], s[44:45]
	s_cbranch_execz .LBB12_77
.LBB12_113:                             ;   in Loop: Header=BB12_21 Depth=1
	v_add_u32_e32 v50, 0x80, v49
	v_add_u32_e32 v51, 0x60, v44
	v_cndmask_b32_e32 v50, v51, v50, vcc
	v_ashrrev_i32_e32 v51, 31, v50
	v_lshlrev_b64 v[50:51], 2, v[50:51]
	v_mov_b32_e32 v52, s43
	v_add_co_u32_e64 v50, s[0:1], s42, v50
	v_addc_co_u32_e64 v51, s[0:1], v52, v51, s[0:1]
	global_load_dword v54, v[50:51], off
	v_add3_u32 v50, v0, v11, s90
	v_ashrrev_i32_e32 v51, 31, v50
	v_lshlrev_b64 v[50:51], 2, v[50:51]
	v_mov_b32_e32 v53, s5
	v_add_co_u32_e64 v52, s[0:1], s4, v50
	v_addc_co_u32_e64 v53, s[0:1], v53, v51, s[0:1]
	global_store_dword v[52:53], v29, off
	v_mov_b32_e32 v52, s41
	v_add_co_u32_e64 v50, s[0:1], s40, v50
	v_addc_co_u32_e64 v51, s[0:1], v52, v51, s[0:1]
	s_waitcnt vmcnt(1)
	global_store_dword v[50:51], v54, off
	s_or_b64 exec, exec, s[88:89]
	s_and_saveexec_b64 s[88:89], s[46:47]
	s_cbranch_execz .LBB12_78
.LBB12_114:                             ;   in Loop: Header=BB12_21 Depth=1
	v_add_u32_e32 v50, 0xa0, v49
	v_add_u32_e32 v51, 0x60, v45
	v_cndmask_b32_e32 v50, v51, v50, vcc
	v_ashrrev_i32_e32 v51, 31, v50
	v_lshlrev_b64 v[50:51], 2, v[50:51]
	v_mov_b32_e32 v52, s43
	v_add_co_u32_e64 v50, s[0:1], s42, v50
	v_addc_co_u32_e64 v51, s[0:1], v52, v51, s[0:1]
	global_load_dword v54, v[50:51], off
	v_add3_u32 v50, v0, v11, s91
	v_ashrrev_i32_e32 v51, 31, v50
	v_lshlrev_b64 v[50:51], 2, v[50:51]
	v_mov_b32_e32 v53, s5
	v_add_co_u32_e64 v52, s[0:1], s4, v50
	v_addc_co_u32_e64 v53, s[0:1], v53, v51, s[0:1]
	global_store_dword v[52:53], v31, off
	v_mov_b32_e32 v52, s41
	v_add_co_u32_e64 v50, s[0:1], s40, v50
	v_addc_co_u32_e64 v51, s[0:1], v52, v51, s[0:1]
	s_waitcnt vmcnt(1)
	global_store_dword v[50:51], v54, off
	s_or_b64 exec, exec, s[88:89]
	s_and_saveexec_b64 s[88:89], s[48:49]
	s_cbranch_execz .LBB12_79
.LBB12_115:                             ;   in Loop: Header=BB12_21 Depth=1
	v_add_u32_e32 v50, 0xc0, v49
	v_add_u32_e32 v51, 0x60, v46
	v_cndmask_b32_e32 v50, v51, v50, vcc
	v_ashrrev_i32_e32 v51, 31, v50
	v_lshlrev_b64 v[50:51], 2, v[50:51]
	v_mov_b32_e32 v52, s43
	v_add_co_u32_e64 v50, s[0:1], s42, v50
	v_addc_co_u32_e64 v51, s[0:1], v52, v51, s[0:1]
	global_load_dword v54, v[50:51], off
	v_add3_u32 v50, v0, v11, s92
	v_ashrrev_i32_e32 v51, 31, v50
	v_lshlrev_b64 v[50:51], 2, v[50:51]
	v_mov_b32_e32 v53, s5
	v_add_co_u32_e64 v52, s[0:1], s4, v50
	v_addc_co_u32_e64 v53, s[0:1], v53, v51, s[0:1]
	global_store_dword v[52:53], v33, off
	v_mov_b32_e32 v52, s41
	v_add_co_u32_e64 v50, s[0:1], s40, v50
	v_addc_co_u32_e64 v51, s[0:1], v52, v51, s[0:1]
	s_waitcnt vmcnt(1)
	global_store_dword v[50:51], v54, off
	s_or_b64 exec, exec, s[88:89]
	s_and_saveexec_b64 s[88:89], s[8:9]
	s_cbranch_execz .LBB12_80
.LBB12_116:                             ;   in Loop: Header=BB12_21 Depth=1
	v_add_u32_e32 v49, 0xe0, v49
	v_add_u32_e32 v50, 0x60, v47
	v_cndmask_b32_e32 v50, v50, v49, vcc
	v_ashrrev_i32_e32 v51, 31, v50
	v_lshlrev_b64 v[50:51], 2, v[50:51]
	v_mov_b32_e32 v49, s43
	v_add_co_u32_e64 v50, s[0:1], s42, v50
	v_addc_co_u32_e64 v51, s[0:1], v49, v51, s[0:1]
	global_load_dword v49, v[50:51], off
	v_add3_u32 v50, v0, v11, s93
	v_ashrrev_i32_e32 v51, 31, v50
	v_lshlrev_b64 v[50:51], 2, v[50:51]
	v_mov_b32_e32 v53, s5
	v_add_co_u32_e64 v52, s[0:1], s4, v50
	v_addc_co_u32_e64 v53, s[0:1], v53, v51, s[0:1]
	global_store_dword v[52:53], v40, off
	v_mov_b32_e32 v52, s41
	v_add_co_u32_e64 v50, s[0:1], s40, v50
	v_addc_co_u32_e64 v51, s[0:1], v52, v51, s[0:1]
	s_waitcnt vmcnt(1)
	global_store_dword v[50:51], v49, off
	s_or_b64 exec, exec, s[88:89]
	v_add_u32_e32 v49, s39, v26
	s_and_saveexec_b64 s[88:89], s[50:51]
	s_cbranch_execz .LBB12_81
.LBB12_117:                             ;   in Loop: Header=BB12_21 Depth=1
	v_add_u32_e32 v50, 0x80, v48
	v_cndmask_b32_e32 v50, v50, v49, vcc
	v_ashrrev_i32_e32 v51, 31, v50
	v_lshlrev_b64 v[50:51], 2, v[50:51]
	v_mov_b32_e32 v52, s43
	v_add_co_u32_e64 v50, s[0:1], s42, v50
	v_addc_co_u32_e64 v51, s[0:1], v52, v51, s[0:1]
	global_load_dword v54, v[50:51], off
	v_add_u32_e32 v50, v0, v9
	v_ashrrev_i32_e32 v51, 31, v50
	v_lshlrev_b64 v[50:51], 2, v[50:51]
	v_mov_b32_e32 v53, s5
	v_add_co_u32_e64 v52, s[0:1], s4, v50
	v_addc_co_u32_e64 v53, s[0:1], v53, v51, s[0:1]
	global_store_dword v[52:53], v21, off
	v_mov_b32_e32 v52, s41
	v_add_co_u32_e64 v50, s[0:1], s40, v50
	v_addc_co_u32_e64 v51, s[0:1], v52, v51, s[0:1]
	s_waitcnt vmcnt(1)
	global_store_dword v[50:51], v54, off
	s_or_b64 exec, exec, s[88:89]
	s_and_saveexec_b64 s[88:89], s[52:53]
	s_cbranch_execz .LBB12_82
.LBB12_118:                             ;   in Loop: Header=BB12_21 Depth=1
	v_add3_u32 v50, v26, s39, 32
	v_add_u32_e32 v51, 0x80, v41
	v_cndmask_b32_e32 v50, v51, v50, vcc
	v_ashrrev_i32_e32 v51, 31, v50
	v_lshlrev_b64 v[50:51], 2, v[50:51]
	v_mov_b32_e32 v52, s43
	v_add_co_u32_e64 v50, s[0:1], s42, v50
	v_addc_co_u32_e64 v51, s[0:1], v52, v51, s[0:1]
	global_load_dword v54, v[50:51], off
	v_add3_u32 v50, v0, v9, 32
	v_ashrrev_i32_e32 v51, 31, v50
	v_lshlrev_b64 v[50:51], 2, v[50:51]
	v_mov_b32_e32 v53, s5
	v_add_co_u32_e64 v52, s[0:1], s4, v50
	v_addc_co_u32_e64 v53, s[0:1], v53, v51, s[0:1]
	global_store_dword v[52:53], v23, off
	v_mov_b32_e32 v52, s41
	v_add_co_u32_e64 v50, s[0:1], s40, v50
	v_addc_co_u32_e64 v51, s[0:1], v52, v51, s[0:1]
	s_waitcnt vmcnt(1)
	global_store_dword v[50:51], v54, off
	s_or_b64 exec, exec, s[88:89]
	s_and_saveexec_b64 s[88:89], s[54:55]
	s_cbranch_execz .LBB12_83
.LBB12_119:                             ;   in Loop: Header=BB12_21 Depth=1
	v_add3_u32 v50, v26, s39, 64
	v_add_u32_e32 v51, 0x80, v42
	v_cndmask_b32_e32 v50, v51, v50, vcc
	v_ashrrev_i32_e32 v51, 31, v50
	v_lshlrev_b64 v[50:51], 2, v[50:51]
	v_mov_b32_e32 v52, s43
	v_add_co_u32_e64 v50, s[0:1], s42, v50
	v_addc_co_u32_e64 v51, s[0:1], v52, v51, s[0:1]
	global_load_dword v54, v[50:51], off
	v_add3_u32 v50, v0, v9, 64
	v_ashrrev_i32_e32 v51, 31, v50
	v_lshlrev_b64 v[50:51], 2, v[50:51]
	v_mov_b32_e32 v53, s5
	v_add_co_u32_e64 v52, s[0:1], s4, v50
	v_addc_co_u32_e64 v53, s[0:1], v53, v51, s[0:1]
	global_store_dword v[52:53], v25, off
	v_mov_b32_e32 v52, s41
	v_add_co_u32_e64 v50, s[0:1], s40, v50
	v_addc_co_u32_e64 v51, s[0:1], v52, v51, s[0:1]
	s_waitcnt vmcnt(1)
	global_store_dword v[50:51], v54, off
	s_or_b64 exec, exec, s[88:89]
	s_and_saveexec_b64 s[88:89], s[56:57]
	s_cbranch_execz .LBB12_84
.LBB12_120:                             ;   in Loop: Header=BB12_21 Depth=1
	v_add_u32_e32 v50, 0x60, v49
	v_add_u32_e32 v51, 0x80, v43
	v_cndmask_b32_e32 v50, v51, v50, vcc
	v_ashrrev_i32_e32 v51, 31, v50
	v_lshlrev_b64 v[50:51], 2, v[50:51]
	v_mov_b32_e32 v52, s43
	v_add_co_u32_e64 v50, s[0:1], s42, v50
	v_addc_co_u32_e64 v51, s[0:1], v52, v51, s[0:1]
	global_load_dword v54, v[50:51], off
	v_add3_u32 v50, v0, v9, s33
	v_ashrrev_i32_e32 v51, 31, v50
	v_lshlrev_b64 v[50:51], 2, v[50:51]
	v_mov_b32_e32 v53, s5
	v_add_co_u32_e64 v52, s[0:1], s4, v50
	v_addc_co_u32_e64 v53, s[0:1], v53, v51, s[0:1]
	global_store_dword v[52:53], v27, off
	v_mov_b32_e32 v52, s41
	v_add_co_u32_e64 v50, s[0:1], s40, v50
	v_addc_co_u32_e64 v51, s[0:1], v52, v51, s[0:1]
	s_waitcnt vmcnt(1)
	global_store_dword v[50:51], v54, off
	s_or_b64 exec, exec, s[88:89]
	s_and_saveexec_b64 s[88:89], s[58:59]
	s_cbranch_execz .LBB12_85
.LBB12_121:                             ;   in Loop: Header=BB12_21 Depth=1
	v_cndmask_b32_e32 v50, v12, v26, vcc
	v_add_u32_e32 v50, s39, v50
	v_add_u32_e32 v50, 0x80, v50
	v_ashrrev_i32_e32 v51, 31, v50
	v_lshlrev_b64 v[50:51], 2, v[50:51]
	v_mov_b32_e32 v52, s43
	v_add_co_u32_e64 v50, s[0:1], s42, v50
	v_addc_co_u32_e64 v51, s[0:1], v52, v51, s[0:1]
	global_load_dword v54, v[50:51], off
	v_add3_u32 v50, v0, v9, s90
	v_ashrrev_i32_e32 v51, 31, v50
	v_lshlrev_b64 v[50:51], 2, v[50:51]
	v_mov_b32_e32 v53, s5
	v_add_co_u32_e64 v52, s[0:1], s4, v50
	v_addc_co_u32_e64 v53, s[0:1], v53, v51, s[0:1]
	global_store_dword v[52:53], v29, off
	v_mov_b32_e32 v52, s41
	v_add_co_u32_e64 v50, s[0:1], s40, v50
	v_addc_co_u32_e64 v51, s[0:1], v52, v51, s[0:1]
	s_waitcnt vmcnt(1)
	global_store_dword v[50:51], v54, off
	s_or_b64 exec, exec, s[88:89]
	s_and_saveexec_b64 s[88:89], s[60:61]
	s_cbranch_execz .LBB12_86
.LBB12_122:                             ;   in Loop: Header=BB12_21 Depth=1
	v_add_u32_e32 v50, 0xa0, v49
	v_add_u32_e32 v51, 0x80, v45
	v_cndmask_b32_e32 v50, v51, v50, vcc
	v_ashrrev_i32_e32 v51, 31, v50
	v_lshlrev_b64 v[50:51], 2, v[50:51]
	v_mov_b32_e32 v52, s43
	v_add_co_u32_e64 v50, s[0:1], s42, v50
	v_addc_co_u32_e64 v51, s[0:1], v52, v51, s[0:1]
	global_load_dword v54, v[50:51], off
	v_add3_u32 v50, v0, v9, s91
	v_ashrrev_i32_e32 v51, 31, v50
	v_lshlrev_b64 v[50:51], 2, v[50:51]
	v_mov_b32_e32 v53, s5
	v_add_co_u32_e64 v52, s[0:1], s4, v50
	v_addc_co_u32_e64 v53, s[0:1], v53, v51, s[0:1]
	global_store_dword v[52:53], v31, off
	v_mov_b32_e32 v52, s41
	v_add_co_u32_e64 v50, s[0:1], s40, v50
	v_addc_co_u32_e64 v51, s[0:1], v52, v51, s[0:1]
	s_waitcnt vmcnt(1)
	global_store_dword v[50:51], v54, off
	s_or_b64 exec, exec, s[88:89]
	s_and_saveexec_b64 s[88:89], s[62:63]
	s_cbranch_execz .LBB12_87
.LBB12_123:                             ;   in Loop: Header=BB12_21 Depth=1
	v_add_u32_e32 v50, 0xc0, v49
	v_add_u32_e32 v51, 0x80, v46
	v_cndmask_b32_e32 v50, v51, v50, vcc
	v_ashrrev_i32_e32 v51, 31, v50
	v_lshlrev_b64 v[50:51], 2, v[50:51]
	v_mov_b32_e32 v52, s43
	v_add_co_u32_e64 v50, s[0:1], s42, v50
	v_addc_co_u32_e64 v51, s[0:1], v52, v51, s[0:1]
	global_load_dword v54, v[50:51], off
	v_add3_u32 v50, v0, v9, s92
	v_ashrrev_i32_e32 v51, 31, v50
	v_lshlrev_b64 v[50:51], 2, v[50:51]
	v_mov_b32_e32 v53, s5
	v_add_co_u32_e64 v52, s[0:1], s4, v50
	v_addc_co_u32_e64 v53, s[0:1], v53, v51, s[0:1]
	global_store_dword v[52:53], v33, off
	v_mov_b32_e32 v52, s41
	v_add_co_u32_e64 v50, s[0:1], s40, v50
	v_addc_co_u32_e64 v51, s[0:1], v52, v51, s[0:1]
	s_waitcnt vmcnt(1)
	global_store_dword v[50:51], v54, off
	s_or_b64 exec, exec, s[88:89]
	s_and_saveexec_b64 s[88:89], s[10:11]
	s_cbranch_execz .LBB12_88
.LBB12_124:                             ;   in Loop: Header=BB12_21 Depth=1
	v_add_u32_e32 v49, 0xe0, v49
	v_add_u32_e32 v50, 0x80, v47
	v_cndmask_b32_e32 v50, v50, v49, vcc
	v_ashrrev_i32_e32 v51, 31, v50
	v_lshlrev_b64 v[50:51], 2, v[50:51]
	v_mov_b32_e32 v49, s43
	v_add_co_u32_e64 v50, s[0:1], s42, v50
	v_addc_co_u32_e64 v51, s[0:1], v49, v51, s[0:1]
	global_load_dword v49, v[50:51], off
	v_add3_u32 v50, v0, v9, s93
	v_ashrrev_i32_e32 v51, 31, v50
	v_lshlrev_b64 v[50:51], 2, v[50:51]
	v_mov_b32_e32 v53, s5
	v_add_co_u32_e64 v52, s[0:1], s4, v50
	v_addc_co_u32_e64 v53, s[0:1], v53, v51, s[0:1]
	global_store_dword v[52:53], v40, off
	v_mov_b32_e32 v52, s41
	v_add_co_u32_e64 v50, s[0:1], s40, v50
	v_addc_co_u32_e64 v51, s[0:1], v52, v51, s[0:1]
	s_waitcnt vmcnt(1)
	global_store_dword v[50:51], v49, off
	s_or_b64 exec, exec, s[88:89]
	v_add_u32_e32 v49, s39, v28
	s_and_saveexec_b64 s[88:89], s[64:65]
	s_cbranch_execz .LBB12_89
.LBB12_125:                             ;   in Loop: Header=BB12_21 Depth=1
	v_add_u32_e32 v50, 0xa0, v48
	v_cndmask_b32_e32 v50, v50, v49, vcc
	v_ashrrev_i32_e32 v51, 31, v50
	v_lshlrev_b64 v[50:51], 2, v[50:51]
	v_mov_b32_e32 v52, s43
	v_add_co_u32_e64 v50, s[0:1], s42, v50
	v_addc_co_u32_e64 v51, s[0:1], v52, v51, s[0:1]
	global_load_dword v54, v[50:51], off
	v_add_u32_e32 v50, v0, v7
	v_ashrrev_i32_e32 v51, 31, v50
	v_lshlrev_b64 v[50:51], 2, v[50:51]
	v_mov_b32_e32 v53, s5
	v_add_co_u32_e64 v52, s[0:1], s4, v50
	v_addc_co_u32_e64 v53, s[0:1], v53, v51, s[0:1]
	global_store_dword v[52:53], v21, off
	v_mov_b32_e32 v52, s41
	v_add_co_u32_e64 v50, s[0:1], s40, v50
	v_addc_co_u32_e64 v51, s[0:1], v52, v51, s[0:1]
	s_waitcnt vmcnt(1)
	global_store_dword v[50:51], v54, off
	s_or_b64 exec, exec, s[88:89]
	s_and_saveexec_b64 s[88:89], s[66:67]
	s_cbranch_execz .LBB12_90
.LBB12_126:                             ;   in Loop: Header=BB12_21 Depth=1
	v_add3_u32 v50, v28, s39, 32
	v_add_u32_e32 v51, 0xa0, v41
	v_cndmask_b32_e32 v50, v51, v50, vcc
	v_ashrrev_i32_e32 v51, 31, v50
	v_lshlrev_b64 v[50:51], 2, v[50:51]
	v_mov_b32_e32 v52, s43
	v_add_co_u32_e64 v50, s[0:1], s42, v50
	v_addc_co_u32_e64 v51, s[0:1], v52, v51, s[0:1]
	global_load_dword v54, v[50:51], off
	v_add3_u32 v50, v0, v7, 32
	v_ashrrev_i32_e32 v51, 31, v50
	v_lshlrev_b64 v[50:51], 2, v[50:51]
	v_mov_b32_e32 v53, s5
	v_add_co_u32_e64 v52, s[0:1], s4, v50
	v_addc_co_u32_e64 v53, s[0:1], v53, v51, s[0:1]
	global_store_dword v[52:53], v23, off
	v_mov_b32_e32 v52, s41
	v_add_co_u32_e64 v50, s[0:1], s40, v50
	v_addc_co_u32_e64 v51, s[0:1], v52, v51, s[0:1]
	s_waitcnt vmcnt(1)
	global_store_dword v[50:51], v54, off
	s_or_b64 exec, exec, s[88:89]
	s_and_saveexec_b64 s[88:89], s[68:69]
	s_cbranch_execz .LBB12_91
.LBB12_127:                             ;   in Loop: Header=BB12_21 Depth=1
	v_add3_u32 v50, v28, s39, 64
	v_add_u32_e32 v51, 0xa0, v42
	v_cndmask_b32_e32 v50, v51, v50, vcc
	v_ashrrev_i32_e32 v51, 31, v50
	v_lshlrev_b64 v[50:51], 2, v[50:51]
	v_mov_b32_e32 v52, s43
	v_add_co_u32_e64 v50, s[0:1], s42, v50
	v_addc_co_u32_e64 v51, s[0:1], v52, v51, s[0:1]
	global_load_dword v54, v[50:51], off
	v_add3_u32 v50, v0, v7, 64
	v_ashrrev_i32_e32 v51, 31, v50
	v_lshlrev_b64 v[50:51], 2, v[50:51]
	v_mov_b32_e32 v53, s5
	v_add_co_u32_e64 v52, s[0:1], s4, v50
	v_addc_co_u32_e64 v53, s[0:1], v53, v51, s[0:1]
	global_store_dword v[52:53], v25, off
	v_mov_b32_e32 v52, s41
	v_add_co_u32_e64 v50, s[0:1], s40, v50
	v_addc_co_u32_e64 v51, s[0:1], v52, v51, s[0:1]
	s_waitcnt vmcnt(1)
	global_store_dword v[50:51], v54, off
	s_or_b64 exec, exec, s[88:89]
	s_and_saveexec_b64 s[88:89], s[70:71]
	s_cbranch_execz .LBB12_92
.LBB12_128:                             ;   in Loop: Header=BB12_21 Depth=1
	v_add_u32_e32 v50, 0x60, v49
	v_add_u32_e32 v51, 0xa0, v43
	v_cndmask_b32_e32 v50, v51, v50, vcc
	v_ashrrev_i32_e32 v51, 31, v50
	v_lshlrev_b64 v[50:51], 2, v[50:51]
	v_mov_b32_e32 v52, s43
	v_add_co_u32_e64 v50, s[0:1], s42, v50
	v_addc_co_u32_e64 v51, s[0:1], v52, v51, s[0:1]
	global_load_dword v54, v[50:51], off
	v_add3_u32 v50, v0, v7, s33
	v_ashrrev_i32_e32 v51, 31, v50
	v_lshlrev_b64 v[50:51], 2, v[50:51]
	v_mov_b32_e32 v53, s5
	v_add_co_u32_e64 v52, s[0:1], s4, v50
	v_addc_co_u32_e64 v53, s[0:1], v53, v51, s[0:1]
	global_store_dword v[52:53], v27, off
	v_mov_b32_e32 v52, s41
	v_add_co_u32_e64 v50, s[0:1], s40, v50
	v_addc_co_u32_e64 v51, s[0:1], v52, v51, s[0:1]
	s_waitcnt vmcnt(1)
	global_store_dword v[50:51], v54, off
	s_or_b64 exec, exec, s[88:89]
	s_and_saveexec_b64 s[88:89], s[72:73]
	s_cbranch_execz .LBB12_93
.LBB12_129:                             ;   in Loop: Header=BB12_21 Depth=1
	v_add_u32_e32 v50, 0x80, v49
	v_add_u32_e32 v51, 0xa0, v44
	v_cndmask_b32_e32 v50, v51, v50, vcc
	v_ashrrev_i32_e32 v51, 31, v50
	v_lshlrev_b64 v[50:51], 2, v[50:51]
	v_mov_b32_e32 v52, s43
	v_add_co_u32_e64 v50, s[0:1], s42, v50
	v_addc_co_u32_e64 v51, s[0:1], v52, v51, s[0:1]
	global_load_dword v54, v[50:51], off
	v_add3_u32 v50, v0, v7, s90
	v_ashrrev_i32_e32 v51, 31, v50
	v_lshlrev_b64 v[50:51], 2, v[50:51]
	v_mov_b32_e32 v53, s5
	v_add_co_u32_e64 v52, s[0:1], s4, v50
	v_addc_co_u32_e64 v53, s[0:1], v53, v51, s[0:1]
	global_store_dword v[52:53], v29, off
	v_mov_b32_e32 v52, s41
	v_add_co_u32_e64 v50, s[0:1], s40, v50
	v_addc_co_u32_e64 v51, s[0:1], v52, v51, s[0:1]
	s_waitcnt vmcnt(1)
	global_store_dword v[50:51], v54, off
	s_or_b64 exec, exec, s[88:89]
	s_and_saveexec_b64 s[88:89], s[2:3]
	s_cbranch_execz .LBB12_94
.LBB12_130:                             ;   in Loop: Header=BB12_21 Depth=1
	v_cndmask_b32_e32 v50, v10, v28, vcc
	v_add_u32_e32 v50, s39, v50
	v_add_u32_e32 v50, 0xa0, v50
	v_ashrrev_i32_e32 v51, 31, v50
	v_lshlrev_b64 v[50:51], 2, v[50:51]
	v_mov_b32_e32 v52, s43
	v_add_co_u32_e64 v50, s[0:1], s42, v50
	v_addc_co_u32_e64 v51, s[0:1], v52, v51, s[0:1]
	global_load_dword v54, v[50:51], off
	v_add3_u32 v50, v0, v7, s91
	v_ashrrev_i32_e32 v51, 31, v50
	v_lshlrev_b64 v[50:51], 2, v[50:51]
	v_mov_b32_e32 v53, s5
	v_add_co_u32_e64 v52, s[0:1], s4, v50
	v_addc_co_u32_e64 v53, s[0:1], v53, v51, s[0:1]
	global_store_dword v[52:53], v31, off
	v_mov_b32_e32 v52, s41
	v_add_co_u32_e64 v50, s[0:1], s40, v50
	v_addc_co_u32_e64 v51, s[0:1], v52, v51, s[0:1]
	s_waitcnt vmcnt(1)
	global_store_dword v[50:51], v54, off
	s_or_b64 exec, exec, s[88:89]
	s_and_saveexec_b64 s[88:89], s[74:75]
	s_cbranch_execz .LBB12_95
.LBB12_131:                             ;   in Loop: Header=BB12_21 Depth=1
	v_add_u32_e32 v50, 0xc0, v49
	v_add_u32_e32 v51, 0xa0, v46
	v_cndmask_b32_e32 v50, v51, v50, vcc
	v_ashrrev_i32_e32 v51, 31, v50
	v_lshlrev_b64 v[50:51], 2, v[50:51]
	v_mov_b32_e32 v52, s43
	v_add_co_u32_e64 v50, s[0:1], s42, v50
	v_addc_co_u32_e64 v51, s[0:1], v52, v51, s[0:1]
	global_load_dword v54, v[50:51], off
	v_add3_u32 v50, v0, v7, s92
	v_ashrrev_i32_e32 v51, 31, v50
	v_lshlrev_b64 v[50:51], 2, v[50:51]
	v_mov_b32_e32 v53, s5
	v_add_co_u32_e64 v52, s[0:1], s4, v50
	v_addc_co_u32_e64 v53, s[0:1], v53, v51, s[0:1]
	global_store_dword v[52:53], v33, off
	v_mov_b32_e32 v52, s41
	v_add_co_u32_e64 v50, s[0:1], s40, v50
	v_addc_co_u32_e64 v51, s[0:1], v52, v51, s[0:1]
	s_waitcnt vmcnt(1)
	global_store_dword v[50:51], v54, off
	s_or_b64 exec, exec, s[88:89]
	s_and_saveexec_b64 s[88:89], s[12:13]
	s_cbranch_execz .LBB12_96
.LBB12_132:                             ;   in Loop: Header=BB12_21 Depth=1
	v_add_u32_e32 v49, 0xe0, v49
	v_add_u32_e32 v50, 0xa0, v47
	v_cndmask_b32_e32 v50, v50, v49, vcc
	v_ashrrev_i32_e32 v51, 31, v50
	v_lshlrev_b64 v[50:51], 2, v[50:51]
	v_mov_b32_e32 v49, s43
	v_add_co_u32_e64 v50, s[0:1], s42, v50
	v_addc_co_u32_e64 v51, s[0:1], v49, v51, s[0:1]
	global_load_dword v49, v[50:51], off
	v_add3_u32 v50, v0, v7, s93
	v_ashrrev_i32_e32 v51, 31, v50
	v_lshlrev_b64 v[50:51], 2, v[50:51]
	v_mov_b32_e32 v53, s5
	v_add_co_u32_e64 v52, s[0:1], s4, v50
	v_addc_co_u32_e64 v53, s[0:1], v53, v51, s[0:1]
	global_store_dword v[52:53], v40, off
	v_mov_b32_e32 v52, s41
	v_add_co_u32_e64 v50, s[0:1], s40, v50
	v_addc_co_u32_e64 v51, s[0:1], v52, v51, s[0:1]
	s_waitcnt vmcnt(1)
	global_store_dword v[50:51], v49, off
	s_or_b64 exec, exec, s[88:89]
	v_add_u32_e32 v49, s39, v30
	s_and_saveexec_b64 s[88:89], s[76:77]
	s_cbranch_execz .LBB12_97
.LBB12_133:                             ;   in Loop: Header=BB12_21 Depth=1
	v_add_u32_e32 v50, 0xc0, v48
	v_cndmask_b32_e32 v50, v50, v49, vcc
	v_ashrrev_i32_e32 v51, 31, v50
	v_lshlrev_b64 v[50:51], 2, v[50:51]
	v_mov_b32_e32 v52, s43
	v_add_co_u32_e64 v50, s[0:1], s42, v50
	v_addc_co_u32_e64 v51, s[0:1], v52, v51, s[0:1]
	global_load_dword v54, v[50:51], off
	v_add_u32_e32 v50, v0, v5
	v_ashrrev_i32_e32 v51, 31, v50
	v_lshlrev_b64 v[50:51], 2, v[50:51]
	v_mov_b32_e32 v53, s5
	v_add_co_u32_e64 v52, s[0:1], s4, v50
	v_addc_co_u32_e64 v53, s[0:1], v53, v51, s[0:1]
	global_store_dword v[52:53], v21, off
	v_mov_b32_e32 v52, s41
	v_add_co_u32_e64 v50, s[0:1], s40, v50
	v_addc_co_u32_e64 v51, s[0:1], v52, v51, s[0:1]
	s_waitcnt vmcnt(1)
	global_store_dword v[50:51], v54, off
	s_or_b64 exec, exec, s[88:89]
	s_and_saveexec_b64 s[88:89], s[78:79]
	s_cbranch_execz .LBB12_98
.LBB12_134:                             ;   in Loop: Header=BB12_21 Depth=1
	v_add3_u32 v50, v30, s39, 32
	v_add_u32_e32 v51, 0xc0, v41
	v_cndmask_b32_e32 v50, v51, v50, vcc
	v_ashrrev_i32_e32 v51, 31, v50
	v_lshlrev_b64 v[50:51], 2, v[50:51]
	v_mov_b32_e32 v52, s43
	v_add_co_u32_e64 v50, s[0:1], s42, v50
	v_addc_co_u32_e64 v51, s[0:1], v52, v51, s[0:1]
	global_load_dword v54, v[50:51], off
	v_add3_u32 v50, v0, v5, 32
	v_ashrrev_i32_e32 v51, 31, v50
	v_lshlrev_b64 v[50:51], 2, v[50:51]
	v_mov_b32_e32 v53, s5
	v_add_co_u32_e64 v52, s[0:1], s4, v50
	v_addc_co_u32_e64 v53, s[0:1], v53, v51, s[0:1]
	global_store_dword v[52:53], v23, off
	v_mov_b32_e32 v52, s41
	v_add_co_u32_e64 v50, s[0:1], s40, v50
	v_addc_co_u32_e64 v51, s[0:1], v52, v51, s[0:1]
	s_waitcnt vmcnt(1)
	global_store_dword v[50:51], v54, off
	s_or_b64 exec, exec, s[88:89]
	s_and_saveexec_b64 s[88:89], s[80:81]
	s_cbranch_execz .LBB12_99
.LBB12_135:                             ;   in Loop: Header=BB12_21 Depth=1
	v_add3_u32 v50, v30, s39, 64
	v_add_u32_e32 v51, 0xc0, v42
	v_cndmask_b32_e32 v50, v51, v50, vcc
	v_ashrrev_i32_e32 v51, 31, v50
	v_lshlrev_b64 v[50:51], 2, v[50:51]
	v_mov_b32_e32 v52, s43
	v_add_co_u32_e64 v50, s[0:1], s42, v50
	v_addc_co_u32_e64 v51, s[0:1], v52, v51, s[0:1]
	global_load_dword v54, v[50:51], off
	v_add3_u32 v50, v0, v5, 64
	v_ashrrev_i32_e32 v51, 31, v50
	v_lshlrev_b64 v[50:51], 2, v[50:51]
	v_mov_b32_e32 v53, s5
	v_add_co_u32_e64 v52, s[0:1], s4, v50
	v_addc_co_u32_e64 v53, s[0:1], v53, v51, s[0:1]
	global_store_dword v[52:53], v25, off
	v_mov_b32_e32 v52, s41
	v_add_co_u32_e64 v50, s[0:1], s40, v50
	v_addc_co_u32_e64 v51, s[0:1], v52, v51, s[0:1]
	s_waitcnt vmcnt(1)
	global_store_dword v[50:51], v54, off
	s_or_b64 exec, exec, s[88:89]
	s_and_saveexec_b64 s[88:89], s[82:83]
	s_cbranch_execz .LBB12_100
.LBB12_136:                             ;   in Loop: Header=BB12_21 Depth=1
	v_add_u32_e32 v50, 0x60, v49
	v_add_u32_e32 v51, 0xc0, v43
	v_cndmask_b32_e32 v50, v51, v50, vcc
	v_ashrrev_i32_e32 v51, 31, v50
	v_lshlrev_b64 v[50:51], 2, v[50:51]
	v_mov_b32_e32 v52, s43
	v_add_co_u32_e64 v50, s[0:1], s42, v50
	v_addc_co_u32_e64 v51, s[0:1], v52, v51, s[0:1]
	global_load_dword v54, v[50:51], off
	v_add3_u32 v50, v0, v5, s33
	v_ashrrev_i32_e32 v51, 31, v50
	v_lshlrev_b64 v[50:51], 2, v[50:51]
	v_mov_b32_e32 v53, s5
	v_add_co_u32_e64 v52, s[0:1], s4, v50
	v_addc_co_u32_e64 v53, s[0:1], v53, v51, s[0:1]
	global_store_dword v[52:53], v27, off
	v_mov_b32_e32 v52, s41
	v_add_co_u32_e64 v50, s[0:1], s40, v50
	v_addc_co_u32_e64 v51, s[0:1], v52, v51, s[0:1]
	s_waitcnt vmcnt(1)
	global_store_dword v[50:51], v54, off
	s_or_b64 exec, exec, s[88:89]
	s_and_saveexec_b64 s[88:89], s[84:85]
	s_cbranch_execz .LBB12_101
.LBB12_137:                             ;   in Loop: Header=BB12_21 Depth=1
	v_add_u32_e32 v50, 0x80, v49
	v_add_u32_e32 v51, 0xc0, v44
	v_cndmask_b32_e32 v50, v51, v50, vcc
	v_ashrrev_i32_e32 v51, 31, v50
	v_lshlrev_b64 v[50:51], 2, v[50:51]
	v_mov_b32_e32 v52, s43
	v_add_co_u32_e64 v50, s[0:1], s42, v50
	v_addc_co_u32_e64 v51, s[0:1], v52, v51, s[0:1]
	global_load_dword v54, v[50:51], off
	v_add3_u32 v50, v0, v5, s90
	v_ashrrev_i32_e32 v51, 31, v50
	v_lshlrev_b64 v[50:51], 2, v[50:51]
	v_mov_b32_e32 v53, s5
	v_add_co_u32_e64 v52, s[0:1], s4, v50
	v_addc_co_u32_e64 v53, s[0:1], v53, v51, s[0:1]
	global_store_dword v[52:53], v29, off
	v_mov_b32_e32 v52, s41
	v_add_co_u32_e64 v50, s[0:1], s40, v50
	v_addc_co_u32_e64 v51, s[0:1], v52, v51, s[0:1]
	s_waitcnt vmcnt(1)
	global_store_dword v[50:51], v54, off
	s_or_b64 exec, exec, s[88:89]
	s_and_saveexec_b64 s[88:89], s[86:87]
	s_cbranch_execz .LBB12_102
.LBB12_138:                             ;   in Loop: Header=BB12_21 Depth=1
	v_add_u32_e32 v50, 0xa0, v49
	v_add_u32_e32 v51, 0xc0, v45
	v_cndmask_b32_e32 v50, v51, v50, vcc
	v_ashrrev_i32_e32 v51, 31, v50
	v_lshlrev_b64 v[50:51], 2, v[50:51]
	v_mov_b32_e32 v52, s43
	v_add_co_u32_e64 v50, s[0:1], s42, v50
	v_addc_co_u32_e64 v51, s[0:1], v52, v51, s[0:1]
	global_load_dword v54, v[50:51], off
	v_add3_u32 v50, v0, v5, s91
	v_ashrrev_i32_e32 v51, 31, v50
	v_lshlrev_b64 v[50:51], 2, v[50:51]
	v_mov_b32_e32 v53, s5
	v_add_co_u32_e64 v52, s[0:1], s4, v50
	v_addc_co_u32_e64 v53, s[0:1], v53, v51, s[0:1]
	global_store_dword v[52:53], v31, off
	v_mov_b32_e32 v52, s41
	v_add_co_u32_e64 v50, s[0:1], s40, v50
	v_addc_co_u32_e64 v51, s[0:1], v52, v51, s[0:1]
	s_waitcnt vmcnt(1)
	global_store_dword v[50:51], v54, off
	s_or_b64 exec, exec, s[88:89]
	s_and_saveexec_b64 s[88:89], s[6:7]
	s_cbranch_execz .LBB12_103
.LBB12_139:                             ;   in Loop: Header=BB12_21 Depth=1
	v_cndmask_b32_e32 v50, v8, v30, vcc
	v_add_u32_e32 v50, s39, v50
	v_add_u32_e32 v50, 0xc0, v50
	v_ashrrev_i32_e32 v51, 31, v50
	v_lshlrev_b64 v[50:51], 2, v[50:51]
	v_mov_b32_e32 v52, s43
	v_add_co_u32_e64 v50, s[0:1], s42, v50
	v_addc_co_u32_e64 v51, s[0:1], v52, v51, s[0:1]
	global_load_dword v54, v[50:51], off
	v_add3_u32 v50, v0, v5, s92
	v_ashrrev_i32_e32 v51, 31, v50
	v_lshlrev_b64 v[50:51], 2, v[50:51]
	v_mov_b32_e32 v53, s5
	v_add_co_u32_e64 v52, s[0:1], s4, v50
	v_addc_co_u32_e64 v53, s[0:1], v53, v51, s[0:1]
	global_store_dword v[52:53], v33, off
	v_mov_b32_e32 v52, s41
	v_add_co_u32_e64 v50, s[0:1], s40, v50
	v_addc_co_u32_e64 v51, s[0:1], v52, v51, s[0:1]
	s_waitcnt vmcnt(1)
	global_store_dword v[50:51], v54, off
	s_or_b64 exec, exec, s[88:89]
	s_and_saveexec_b64 s[88:89], s[14:15]
	s_cbranch_execz .LBB12_104
.LBB12_140:                             ;   in Loop: Header=BB12_21 Depth=1
	v_add_u32_e32 v49, 0xe0, v49
	v_add_u32_e32 v47, 0xc0, v47
	v_cndmask_b32_e32 v50, v47, v49, vcc
	v_ashrrev_i32_e32 v51, 31, v50
	v_lshlrev_b64 v[50:51], 2, v[50:51]
	v_mov_b32_e32 v47, s43
	v_add_co_u32_e64 v50, s[0:1], s42, v50
	v_addc_co_u32_e64 v51, s[0:1], v47, v51, s[0:1]
	global_load_dword v47, v[50:51], off
	v_add3_u32 v50, v0, v5, s93
	v_ashrrev_i32_e32 v51, 31, v50
	v_lshlrev_b64 v[50:51], 2, v[50:51]
	v_mov_b32_e32 v49, s5
	v_add_co_u32_e64 v52, s[0:1], s4, v50
	v_addc_co_u32_e64 v53, s[0:1], v49, v51, s[0:1]
	v_mov_b32_e32 v49, s41
	v_add_co_u32_e64 v50, s[0:1], s40, v50
	v_addc_co_u32_e64 v51, s[0:1], v49, v51, s[0:1]
	global_store_dword v[52:53], v40, off
	s_waitcnt vmcnt(1)
	global_store_dword v[50:51], v47, off
	s_or_b64 exec, exec, s[88:89]
	v_add_u32_e32 v47, s39, v32
	s_and_saveexec_b64 s[88:89], s[18:19]
	s_cbranch_execz .LBB12_105
.LBB12_141:                             ;   in Loop: Header=BB12_21 Depth=1
	v_add_u32_e32 v48, 0xe0, v48
	v_cndmask_b32_e32 v48, v48, v47, vcc
	v_ashrrev_i32_e32 v49, 31, v48
	v_lshlrev_b64 v[48:49], 2, v[48:49]
	v_mov_b32_e32 v50, s43
	v_add_co_u32_e64 v48, s[0:1], s42, v48
	v_addc_co_u32_e64 v49, s[0:1], v50, v49, s[0:1]
	global_load_dword v52, v[48:49], off
	v_add_u32_e32 v48, v0, v3
	v_ashrrev_i32_e32 v49, 31, v48
	v_lshlrev_b64 v[48:49], 2, v[48:49]
	v_mov_b32_e32 v51, s5
	v_add_co_u32_e64 v50, s[0:1], s4, v48
	v_addc_co_u32_e64 v51, s[0:1], v51, v49, s[0:1]
	global_store_dword v[50:51], v21, off
	v_mov_b32_e32 v21, s41
	v_add_co_u32_e64 v48, s[0:1], s40, v48
	v_addc_co_u32_e64 v49, s[0:1], v21, v49, s[0:1]
	s_waitcnt vmcnt(1)
	global_store_dword v[48:49], v52, off
	s_or_b64 exec, exec, s[88:89]
	s_and_saveexec_b64 s[88:89], s[20:21]
	s_cbranch_execz .LBB12_106
.LBB12_142:                             ;   in Loop: Header=BB12_21 Depth=1
	v_add3_u32 v21, v32, s39, 32
	v_add_u32_e32 v41, 0xe0, v41
	v_cndmask_b32_e32 v48, v41, v21, vcc
	v_ashrrev_i32_e32 v49, 31, v48
	v_lshlrev_b64 v[48:49], 2, v[48:49]
	v_mov_b32_e32 v21, s43
	v_add_co_u32_e64 v48, s[0:1], s42, v48
	v_addc_co_u32_e64 v49, s[0:1], v21, v49, s[0:1]
	global_load_dword v21, v[48:49], off
	v_add3_u32 v48, v0, v3, 32
	v_ashrrev_i32_e32 v49, 31, v48
	v_lshlrev_b64 v[48:49], 2, v[48:49]
	v_mov_b32_e32 v41, s5
	v_add_co_u32_e64 v50, s[0:1], s4, v48
	v_addc_co_u32_e64 v51, s[0:1], v41, v49, s[0:1]
	global_store_dword v[50:51], v23, off
	v_mov_b32_e32 v23, s41
	v_add_co_u32_e64 v48, s[0:1], s40, v48
	v_addc_co_u32_e64 v49, s[0:1], v23, v49, s[0:1]
	s_waitcnt vmcnt(1)
	global_store_dword v[48:49], v21, off
	s_or_b64 exec, exec, s[88:89]
	s_and_saveexec_b64 s[88:89], s[22:23]
	s_cbranch_execz .LBB12_107
.LBB12_143:                             ;   in Loop: Header=BB12_21 Depth=1
	v_add3_u32 v21, v32, s39, 64
	v_add_u32_e32 v23, 0xe0, v42
	v_cndmask_b32_e32 v48, v23, v21, vcc
	v_ashrrev_i32_e32 v49, 31, v48
	v_lshlrev_b64 v[48:49], 2, v[48:49]
	v_mov_b32_e32 v21, s43
	v_add_co_u32_e64 v48, s[0:1], s42, v48
	v_addc_co_u32_e64 v49, s[0:1], v21, v49, s[0:1]
	global_load_dword v21, v[48:49], off
	v_add3_u32 v48, v0, v3, 64
	v_ashrrev_i32_e32 v49, 31, v48
	v_lshlrev_b64 v[48:49], 2, v[48:49]
	v_mov_b32_e32 v23, s5
	v_add_co_u32_e64 v50, s[0:1], s4, v48
	v_addc_co_u32_e64 v51, s[0:1], v23, v49, s[0:1]
	v_mov_b32_e32 v23, s41
	v_add_co_u32_e64 v48, s[0:1], s40, v48
	v_addc_co_u32_e64 v49, s[0:1], v23, v49, s[0:1]
	global_store_dword v[50:51], v25, off
	s_waitcnt vmcnt(1)
	global_store_dword v[48:49], v21, off
	s_or_b64 exec, exec, s[88:89]
	s_and_saveexec_b64 s[88:89], s[24:25]
	s_cbranch_execz .LBB12_108
.LBB12_144:                             ;   in Loop: Header=BB12_21 Depth=1
	v_add_u32_e32 v21, 0x60, v47
	v_add_u32_e32 v23, 0xe0, v43
	v_cndmask_b32_e32 v42, v23, v21, vcc
	v_ashrrev_i32_e32 v43, 31, v42
	v_lshlrev_b64 v[42:43], 2, v[42:43]
	v_mov_b32_e32 v21, s43
	v_add_co_u32_e64 v42, s[0:1], s42, v42
	v_addc_co_u32_e64 v43, s[0:1], v21, v43, s[0:1]
	global_load_dword v21, v[42:43], off
	v_add3_u32 v42, v0, v3, s33
	v_ashrrev_i32_e32 v43, 31, v42
	v_lshlrev_b64 v[42:43], 2, v[42:43]
	v_mov_b32_e32 v23, s5
	v_add_co_u32_e64 v48, s[0:1], s4, v42
	v_addc_co_u32_e64 v49, s[0:1], v23, v43, s[0:1]
	v_mov_b32_e32 v23, s41
	v_add_co_u32_e64 v42, s[0:1], s40, v42
	v_addc_co_u32_e64 v43, s[0:1], v23, v43, s[0:1]
	global_store_dword v[48:49], v27, off
	s_waitcnt vmcnt(1)
	global_store_dword v[42:43], v21, off
	s_or_b64 exec, exec, s[88:89]
	s_and_saveexec_b64 s[88:89], s[26:27]
	s_cbranch_execz .LBB12_109
.LBB12_145:                             ;   in Loop: Header=BB12_21 Depth=1
	v_add_u32_e32 v21, 0x80, v47
	v_add_u32_e32 v23, 0xe0, v44
	v_cndmask_b32_e32 v42, v23, v21, vcc
	v_ashrrev_i32_e32 v43, 31, v42
	v_lshlrev_b64 v[42:43], 2, v[42:43]
	v_mov_b32_e32 v21, s43
	v_add_co_u32_e64 v42, s[0:1], s42, v42
	v_addc_co_u32_e64 v43, s[0:1], v21, v43, s[0:1]
	global_load_dword v21, v[42:43], off
	v_add3_u32 v42, v0, v3, s90
	v_ashrrev_i32_e32 v43, 31, v42
	v_lshlrev_b64 v[42:43], 2, v[42:43]
	v_mov_b32_e32 v23, s5
	v_add_co_u32_e64 v48, s[0:1], s4, v42
	v_addc_co_u32_e64 v49, s[0:1], v23, v43, s[0:1]
	v_mov_b32_e32 v23, s41
	v_add_co_u32_e64 v42, s[0:1], s40, v42
	v_addc_co_u32_e64 v43, s[0:1], v23, v43, s[0:1]
	global_store_dword v[48:49], v29, off
	s_waitcnt vmcnt(1)
	global_store_dword v[42:43], v21, off
	s_or_b64 exec, exec, s[88:89]
	s_and_saveexec_b64 s[88:89], s[28:29]
	s_cbranch_execz .LBB12_110
.LBB12_146:                             ;   in Loop: Header=BB12_21 Depth=1
	v_add_u32_e32 v21, 0xa0, v47
	v_add_u32_e32 v23, 0xe0, v45
	v_cndmask_b32_e32 v42, v23, v21, vcc
	v_ashrrev_i32_e32 v43, 31, v42
	v_lshlrev_b64 v[42:43], 2, v[42:43]
	v_mov_b32_e32 v21, s43
	v_add_co_u32_e64 v42, s[0:1], s42, v42
	v_addc_co_u32_e64 v43, s[0:1], v21, v43, s[0:1]
	global_load_dword v21, v[42:43], off
	v_add3_u32 v42, v0, v3, s91
	v_ashrrev_i32_e32 v43, 31, v42
	v_lshlrev_b64 v[42:43], 2, v[42:43]
	v_mov_b32_e32 v23, s5
	v_add_co_u32_e64 v44, s[0:1], s4, v42
	v_addc_co_u32_e64 v45, s[0:1], v23, v43, s[0:1]
	v_mov_b32_e32 v23, s41
	v_add_co_u32_e64 v42, s[0:1], s40, v42
	v_addc_co_u32_e64 v43, s[0:1], v23, v43, s[0:1]
	global_store_dword v[44:45], v31, off
	s_waitcnt vmcnt(1)
	global_store_dword v[42:43], v21, off
	s_or_b64 exec, exec, s[88:89]
	s_and_saveexec_b64 s[88:89], s[30:31]
	s_cbranch_execz .LBB12_111
.LBB12_147:                             ;   in Loop: Header=BB12_21 Depth=1
	v_add_u32_e32 v21, 0xc0, v47
	v_add_u32_e32 v23, 0xe0, v46
	v_cndmask_b32_e32 v42, v23, v21, vcc
	v_ashrrev_i32_e32 v43, 31, v42
	v_lshlrev_b64 v[42:43], 2, v[42:43]
	v_mov_b32_e32 v21, s43
	v_add_co_u32_e64 v42, s[0:1], s42, v42
	v_addc_co_u32_e64 v43, s[0:1], v21, v43, s[0:1]
	global_load_dword v21, v[42:43], off
	v_add3_u32 v42, v0, v3, s92
	v_ashrrev_i32_e32 v43, 31, v42
	v_lshlrev_b64 v[42:43], 2, v[42:43]
	v_mov_b32_e32 v23, s5
	v_add_co_u32_e64 v44, s[0:1], s4, v42
	v_addc_co_u32_e64 v45, s[0:1], v23, v43, s[0:1]
	v_mov_b32_e32 v23, s41
	v_add_co_u32_e64 v42, s[0:1], s40, v42
	v_addc_co_u32_e64 v43, s[0:1], v23, v43, s[0:1]
	global_store_dword v[44:45], v33, off
	s_waitcnt vmcnt(1)
	global_store_dword v[42:43], v21, off
	s_or_b64 exec, exec, s[88:89]
	s_and_saveexec_b64 s[88:89], s[16:17]
	s_cbranch_execz .LBB12_20
.LBB12_148:                             ;   in Loop: Header=BB12_21 Depth=1
	v_cndmask_b32_e32 v21, v6, v32, vcc
	v_add_u32_e32 v21, s39, v21
	v_add_u32_e32 v42, 0xe0, v21
	v_ashrrev_i32_e32 v43, 31, v42
	v_lshlrev_b64 v[42:43], 2, v[42:43]
	v_mov_b32_e32 v21, s43
	v_add_co_u32_e64 v42, s[0:1], s42, v42
	v_addc_co_u32_e64 v43, s[0:1], v21, v43, s[0:1]
	global_load_dword v21, v[42:43], off
	v_add3_u32 v42, v0, v3, s93
	v_ashrrev_i32_e32 v43, 31, v42
	v_lshlrev_b64 v[42:43], 2, v[42:43]
	v_mov_b32_e32 v23, s5
	v_add_co_u32_e64 v44, s[0:1], s4, v42
	v_addc_co_u32_e64 v45, s[0:1], v23, v43, s[0:1]
	global_store_dword v[44:45], v40, off
	v_mov_b32_e32 v23, s41
	v_add_co_u32_e64 v40, s[0:1], s40, v42
	v_addc_co_u32_e64 v41, s[0:1], v23, v43, s[0:1]
	s_waitcnt vmcnt(1)
	global_store_dword v[40:41], v21, off
	s_branch .LBB12_20
.LBB12_149:
	s_endpgm
	.section	.rodata,"a",@progbits
	.p2align	6, 0x0
	.amdhsa_kernel _ZN9rocsparseL35bsr2csr_block_per_row_33_256_kernelILj1024ELj256ELj32EiiiEEv20rocsparse_direction_T4_S2_21rocsparse_index_base_PKT2_PKT3_PKS2_S2_S3_PS4_PS7_PS2_
		.amdhsa_group_segment_fixed_size 0
		.amdhsa_private_segment_fixed_size 0
		.amdhsa_kernarg_size 72
		.amdhsa_user_sgpr_count 6
		.amdhsa_user_sgpr_private_segment_buffer 1
		.amdhsa_user_sgpr_dispatch_ptr 0
		.amdhsa_user_sgpr_queue_ptr 0
		.amdhsa_user_sgpr_kernarg_segment_ptr 1
		.amdhsa_user_sgpr_dispatch_id 0
		.amdhsa_user_sgpr_flat_scratch_init 0
		.amdhsa_user_sgpr_kernarg_preload_length 0
		.amdhsa_user_sgpr_kernarg_preload_offset 0
		.amdhsa_user_sgpr_private_segment_size 0
		.amdhsa_uses_dynamic_stack 0
		.amdhsa_system_sgpr_private_segment_wavefront_offset 0
		.amdhsa_system_sgpr_workgroup_id_x 1
		.amdhsa_system_sgpr_workgroup_id_y 0
		.amdhsa_system_sgpr_workgroup_id_z 0
		.amdhsa_system_sgpr_workgroup_info 0
		.amdhsa_system_vgpr_workitem_id 0
		.amdhsa_next_free_vgpr 56
		.amdhsa_next_free_sgpr 96
		.amdhsa_accum_offset 56
		.amdhsa_reserve_vcc 1
		.amdhsa_reserve_flat_scratch 0
		.amdhsa_float_round_mode_32 0
		.amdhsa_float_round_mode_16_64 0
		.amdhsa_float_denorm_mode_32 3
		.amdhsa_float_denorm_mode_16_64 3
		.amdhsa_dx10_clamp 1
		.amdhsa_ieee_mode 1
		.amdhsa_fp16_overflow 0
		.amdhsa_tg_split 0
		.amdhsa_exception_fp_ieee_invalid_op 0
		.amdhsa_exception_fp_denorm_src 0
		.amdhsa_exception_fp_ieee_div_zero 0
		.amdhsa_exception_fp_ieee_overflow 0
		.amdhsa_exception_fp_ieee_underflow 0
		.amdhsa_exception_fp_ieee_inexact 0
		.amdhsa_exception_int_div_zero 0
	.end_amdhsa_kernel
	.section	.text._ZN9rocsparseL35bsr2csr_block_per_row_33_256_kernelILj1024ELj256ELj32EiiiEEv20rocsparse_direction_T4_S2_21rocsparse_index_base_PKT2_PKT3_PKS2_S2_S3_PS4_PS7_PS2_,"axG",@progbits,_ZN9rocsparseL35bsr2csr_block_per_row_33_256_kernelILj1024ELj256ELj32EiiiEEv20rocsparse_direction_T4_S2_21rocsparse_index_base_PKT2_PKT3_PKS2_S2_S3_PS4_PS7_PS2_,comdat
.Lfunc_end12:
	.size	_ZN9rocsparseL35bsr2csr_block_per_row_33_256_kernelILj1024ELj256ELj32EiiiEEv20rocsparse_direction_T4_S2_21rocsparse_index_base_PKT2_PKT3_PKS2_S2_S3_PS4_PS7_PS2_, .Lfunc_end12-_ZN9rocsparseL35bsr2csr_block_per_row_33_256_kernelILj1024ELj256ELj32EiiiEEv20rocsparse_direction_T4_S2_21rocsparse_index_base_PKT2_PKT3_PKS2_S2_S3_PS4_PS7_PS2_
                                        ; -- End function
	.section	.AMDGPU.csdata,"",@progbits
; Kernel info:
; codeLenInByte = 13044
; NumSgprs: 100
; NumVgprs: 56
; NumAgprs: 0
; TotalNumVgprs: 56
; ScratchSize: 0
; MemoryBound: 0
; FloatMode: 240
; IeeeMode: 1
; LDSByteSize: 0 bytes/workgroup (compile time only)
; SGPRBlocks: 12
; VGPRBlocks: 6
; NumSGPRsForWavesPerEU: 100
; NumVGPRsForWavesPerEU: 56
; AccumOffset: 56
; Occupancy: 8
; WaveLimiterHint : 1
; COMPUTE_PGM_RSRC2:SCRATCH_EN: 0
; COMPUTE_PGM_RSRC2:USER_SGPR: 6
; COMPUTE_PGM_RSRC2:TRAP_HANDLER: 0
; COMPUTE_PGM_RSRC2:TGID_X_EN: 1
; COMPUTE_PGM_RSRC2:TGID_Y_EN: 0
; COMPUTE_PGM_RSRC2:TGID_Z_EN: 0
; COMPUTE_PGM_RSRC2:TIDIG_COMP_CNT: 0
; COMPUTE_PGM_RSRC3_GFX90A:ACCUM_OFFSET: 13
; COMPUTE_PGM_RSRC3_GFX90A:TG_SPLIT: 0
	.section	.text._ZN9rocsparseL35bsr2csr_block_dim_equals_one_kernelILj1024EiliEEvT2_S1_21rocsparse_index_base_PKT0_PKT1_PKS1_S2_PS3_PS6_PS1_,"axG",@progbits,_ZN9rocsparseL35bsr2csr_block_dim_equals_one_kernelILj1024EiliEEvT2_S1_21rocsparse_index_base_PKT0_PKT1_PKS1_S2_PS3_PS6_PS1_,comdat
	.globl	_ZN9rocsparseL35bsr2csr_block_dim_equals_one_kernelILj1024EiliEEvT2_S1_21rocsparse_index_base_PKT0_PKT1_PKS1_S2_PS3_PS6_PS1_ ; -- Begin function _ZN9rocsparseL35bsr2csr_block_dim_equals_one_kernelILj1024EiliEEvT2_S1_21rocsparse_index_base_PKT0_PKT1_PKS1_S2_PS3_PS6_PS1_
	.p2align	8
	.type	_ZN9rocsparseL35bsr2csr_block_dim_equals_one_kernelILj1024EiliEEvT2_S1_21rocsparse_index_base_PKT0_PKT1_PKS1_S2_PS3_PS6_PS1_,@function
_ZN9rocsparseL35bsr2csr_block_dim_equals_one_kernelILj1024EiliEEvT2_S1_21rocsparse_index_base_PKT0_PKT1_PKS1_S2_PS3_PS6_PS1_: ; @_ZN9rocsparseL35bsr2csr_block_dim_equals_one_kernelILj1024EiliEEvT2_S1_21rocsparse_index_base_PKT0_PKT1_PKS1_S2_PS3_PS6_PS1_
; %bb.0:
	s_load_dword s12, s[4:5], 0x0
	s_load_dwordx2 s[10:11], s[4:5], 0x18
	s_lshl_b32 s22, s6, 10
	v_or_b32_e32 v2, s22, v0
	v_ashrrev_i32_e32 v3, 31, v2
	s_waitcnt lgkmcnt(0)
	v_cmp_le_i32_e32 vcc, s12, v2
	s_and_saveexec_b64 s[0:1], vcc
	s_xor_b64 s[0:1], exec, s[0:1]
	s_or_saveexec_b64 s[14:15], s[0:1]
	s_load_dwordx2 s[0:1], s[4:5], 0x40
	s_load_dwordx2 s[2:3], s[4:5], 0x30
	;; [unrolled: 1-line block ×3, first 2 shown]
	s_load_dword s23, s[4:5], 0x28
	s_load_dwordx2 s[8:9], s[4:5], 0x10
	s_load_dword s24, s[4:5], 0x8
	s_xor_b64 exec, exec, s[14:15]
	s_cbranch_execz .LBB13_6
; %bb.1:
	s_load_dwordx2 s[16:17], s[4:5], 0x38
	v_cmp_ne_u32_e32 vcc, 0, v2
                                        ; implicit-def: $sgpr20_sgpr21
	s_and_saveexec_b64 s[18:19], vcc
	s_xor_b64 s[18:19], exec, s[18:19]
	s_cbranch_execz .LBB13_3
; %bb.2:
	s_waitcnt lgkmcnt(0)
	s_sub_u32 s20, s23, s24
	s_subb_u32 s21, 0, 0
.LBB13_3:
	s_or_saveexec_b64 s[18:19], s[18:19]
	v_pk_mov_b32 v[4:5], s[20:21], s[20:21] op_sel:[0,1]
	s_xor_b64 exec, exec, s[18:19]
	s_cbranch_execz .LBB13_5
; %bb.4:
	s_load_dwordx2 s[20:21], s[10:11], 0x0
	s_waitcnt lgkmcnt(0)
	s_sub_u32 s26, s23, s24
	s_subb_u32 s27, 0, 0
	v_mov_b32_e32 v1, 0
	s_add_u32 s20, s26, s20
	s_addc_u32 s21, s27, s21
	v_pk_mov_b32 v[4:5], s[20:21], s[20:21] op_sel:[0,1]
	global_store_dwordx2 v1, v[4:5], s[16:17]
	v_pk_mov_b32 v[4:5], s[26:27], s[26:27] op_sel:[0,1]
.LBB13_5:
	s_or_b64 exec, exec, s[18:19]
	v_lshlrev_b64 v[6:7], 3, v[2:3]
	v_mov_b32_e32 v1, s11
	v_add_co_u32_e32 v8, vcc, s10, v6
	v_addc_co_u32_e32 v9, vcc, v1, v7, vcc
	global_load_dwordx2 v[8:9], v[8:9], off offset:8
	s_waitcnt lgkmcnt(0)
	v_mov_b32_e32 v1, s17
	s_waitcnt vmcnt(0)
	v_add_co_u32_e32 v4, vcc, v4, v8
	v_addc_co_u32_e32 v5, vcc, v5, v9, vcc
	v_add_co_u32_e32 v6, vcc, s16, v6
	v_addc_co_u32_e32 v7, vcc, v1, v7, vcc
	global_store_dwordx2 v[6:7], v[4:5], off offset:8
.LBB13_6:
	s_or_b64 exec, exec, s[14:15]
	s_ashr_i32 s13, s12, 31
	s_lshl_b64 s[12:13], s[12:13], 3
	s_add_u32 s12, s10, s12
	s_addc_u32 s13, s11, s13
	s_load_dwordx2 s[14:15], s[12:13], 0x0
	s_load_dwordx2 s[16:17], s[10:11], 0x0
	s_waitcnt lgkmcnt(0)
	s_sub_u32 s10, s14, s16
	s_subb_u32 s11, s15, s17
	v_cmp_gt_i64_e32 vcc, s[10:11], v[2:3]
	s_and_saveexec_b64 s[12:13], vcc
	s_cbranch_execz .LBB13_9
; %bb.7:
	s_load_dword s13, s[4:5], 0x48
	v_mov_b32_e32 v5, s1
	v_mov_b32_e32 v4, s7
	s_sub_i32 s12, s23, s24
	s_mov_b64 s[4:5], 0
	s_waitcnt lgkmcnt(0)
	s_lshl_b32 s1, s13, 10
	s_add_i32 s7, s1, s22
	v_add_u32_e32 v0, s7, v0
	v_mov_b32_e32 v6, s9
	v_mov_b32_e32 v7, s3
.LBB13_8:                               ; =>This Inner Loop Header: Depth=1
	v_lshlrev_b64 v[2:3], 2, v[2:3]
	v_add_co_u32_e32 v8, vcc, s6, v2
	v_addc_co_u32_e32 v9, vcc, v4, v3, vcc
	v_add_co_u32_e32 v10, vcc, s8, v2
	v_addc_co_u32_e32 v11, vcc, v6, v3, vcc
	global_load_dword v12, v[8:9], off
	global_load_dword v13, v[10:11], off
	v_add_co_u32_e32 v8, vcc, s0, v2
	v_addc_co_u32_e32 v9, vcc, v5, v3, vcc
	v_add_co_u32_e32 v10, vcc, s2, v2
	v_ashrrev_i32_e32 v1, 31, v0
	v_addc_co_u32_e32 v11, vcc, v7, v3, vcc
	v_cmp_le_i64_e32 vcc, s[10:11], v[0:1]
	v_pk_mov_b32 v[2:3], v[0:1], v[0:1] op_sel:[0,1]
	v_add_u32_e32 v0, s1, v0
	s_or_b64 s[4:5], vcc, s[4:5]
	s_waitcnt vmcnt(1)
	v_add_u32_e32 v1, s12, v12
	s_waitcnt vmcnt(0)
	global_store_dword v[10:11], v13, off
	global_store_dword v[8:9], v1, off
	s_andn2_b64 exec, exec, s[4:5]
	s_cbranch_execnz .LBB13_8
.LBB13_9:
	s_endpgm
	.section	.rodata,"a",@progbits
	.p2align	6, 0x0
	.amdhsa_kernel _ZN9rocsparseL35bsr2csr_block_dim_equals_one_kernelILj1024EiliEEvT2_S1_21rocsparse_index_base_PKT0_PKT1_PKS1_S2_PS3_PS6_PS1_
		.amdhsa_group_segment_fixed_size 0
		.amdhsa_private_segment_fixed_size 0
		.amdhsa_kernarg_size 328
		.amdhsa_user_sgpr_count 6
		.amdhsa_user_sgpr_private_segment_buffer 1
		.amdhsa_user_sgpr_dispatch_ptr 0
		.amdhsa_user_sgpr_queue_ptr 0
		.amdhsa_user_sgpr_kernarg_segment_ptr 1
		.amdhsa_user_sgpr_dispatch_id 0
		.amdhsa_user_sgpr_flat_scratch_init 0
		.amdhsa_user_sgpr_kernarg_preload_length 0
		.amdhsa_user_sgpr_kernarg_preload_offset 0
		.amdhsa_user_sgpr_private_segment_size 0
		.amdhsa_uses_dynamic_stack 0
		.amdhsa_system_sgpr_private_segment_wavefront_offset 0
		.amdhsa_system_sgpr_workgroup_id_x 1
		.amdhsa_system_sgpr_workgroup_id_y 0
		.amdhsa_system_sgpr_workgroup_id_z 0
		.amdhsa_system_sgpr_workgroup_info 0
		.amdhsa_system_vgpr_workitem_id 0
		.amdhsa_next_free_vgpr 14
		.amdhsa_next_free_sgpr 28
		.amdhsa_accum_offset 16
		.amdhsa_reserve_vcc 1
		.amdhsa_reserve_flat_scratch 0
		.amdhsa_float_round_mode_32 0
		.amdhsa_float_round_mode_16_64 0
		.amdhsa_float_denorm_mode_32 3
		.amdhsa_float_denorm_mode_16_64 3
		.amdhsa_dx10_clamp 1
		.amdhsa_ieee_mode 1
		.amdhsa_fp16_overflow 0
		.amdhsa_tg_split 0
		.amdhsa_exception_fp_ieee_invalid_op 0
		.amdhsa_exception_fp_denorm_src 0
		.amdhsa_exception_fp_ieee_div_zero 0
		.amdhsa_exception_fp_ieee_overflow 0
		.amdhsa_exception_fp_ieee_underflow 0
		.amdhsa_exception_fp_ieee_inexact 0
		.amdhsa_exception_int_div_zero 0
	.end_amdhsa_kernel
	.section	.text._ZN9rocsparseL35bsr2csr_block_dim_equals_one_kernelILj1024EiliEEvT2_S1_21rocsparse_index_base_PKT0_PKT1_PKS1_S2_PS3_PS6_PS1_,"axG",@progbits,_ZN9rocsparseL35bsr2csr_block_dim_equals_one_kernelILj1024EiliEEvT2_S1_21rocsparse_index_base_PKT0_PKT1_PKS1_S2_PS3_PS6_PS1_,comdat
.Lfunc_end13:
	.size	_ZN9rocsparseL35bsr2csr_block_dim_equals_one_kernelILj1024EiliEEvT2_S1_21rocsparse_index_base_PKT0_PKT1_PKS1_S2_PS3_PS6_PS1_, .Lfunc_end13-_ZN9rocsparseL35bsr2csr_block_dim_equals_one_kernelILj1024EiliEEvT2_S1_21rocsparse_index_base_PKT0_PKT1_PKS1_S2_PS3_PS6_PS1_
                                        ; -- End function
	.section	.AMDGPU.csdata,"",@progbits
; Kernel info:
; codeLenInByte = 512
; NumSgprs: 32
; NumVgprs: 14
; NumAgprs: 0
; TotalNumVgprs: 14
; ScratchSize: 0
; MemoryBound: 0
; FloatMode: 240
; IeeeMode: 1
; LDSByteSize: 0 bytes/workgroup (compile time only)
; SGPRBlocks: 3
; VGPRBlocks: 1
; NumSGPRsForWavesPerEU: 32
; NumVGPRsForWavesPerEU: 14
; AccumOffset: 16
; Occupancy: 8
; WaveLimiterHint : 0
; COMPUTE_PGM_RSRC2:SCRATCH_EN: 0
; COMPUTE_PGM_RSRC2:USER_SGPR: 6
; COMPUTE_PGM_RSRC2:TRAP_HANDLER: 0
; COMPUTE_PGM_RSRC2:TGID_X_EN: 1
; COMPUTE_PGM_RSRC2:TGID_Y_EN: 0
; COMPUTE_PGM_RSRC2:TGID_Z_EN: 0
; COMPUTE_PGM_RSRC2:TIDIG_COMP_CNT: 0
; COMPUTE_PGM_RSRC3_GFX90A:ACCUM_OFFSET: 3
; COMPUTE_PGM_RSRC3_GFX90A:TG_SPLIT: 0
	.section	.text._ZN9rocsparseL32bsr2csr_block_per_row_2_7_kernelILj256ELj2EiliEEv20rocsparse_direction_T3_S2_21rocsparse_index_base_PKT1_PKT2_PKS2_S2_S3_PS4_PS7_PS2_,"axG",@progbits,_ZN9rocsparseL32bsr2csr_block_per_row_2_7_kernelILj256ELj2EiliEEv20rocsparse_direction_T3_S2_21rocsparse_index_base_PKT1_PKT2_PKS2_S2_S3_PS4_PS7_PS2_,comdat
	.globl	_ZN9rocsparseL32bsr2csr_block_per_row_2_7_kernelILj256ELj2EiliEEv20rocsparse_direction_T3_S2_21rocsparse_index_base_PKT1_PKT2_PKS2_S2_S3_PS4_PS7_PS2_ ; -- Begin function _ZN9rocsparseL32bsr2csr_block_per_row_2_7_kernelILj256ELj2EiliEEv20rocsparse_direction_T3_S2_21rocsparse_index_base_PKT1_PKT2_PKS2_S2_S3_PS4_PS7_PS2_
	.p2align	8
	.type	_ZN9rocsparseL32bsr2csr_block_per_row_2_7_kernelILj256ELj2EiliEEv20rocsparse_direction_T3_S2_21rocsparse_index_base_PKT1_PKT2_PKS2_S2_S3_PS4_PS7_PS2_,@function
_ZN9rocsparseL32bsr2csr_block_per_row_2_7_kernelILj256ELj2EiliEEv20rocsparse_direction_T3_S2_21rocsparse_index_base_PKT1_PKT2_PKS2_S2_S3_PS4_PS7_PS2_: ; @_ZN9rocsparseL32bsr2csr_block_per_row_2_7_kernelILj256ELj2EiliEEv20rocsparse_direction_T3_S2_21rocsparse_index_base_PKT1_PKT2_PKS2_S2_S3_PS4_PS7_PS2_
; %bb.0:
	s_load_dwordx2 s[2:3], s[4:5], 0x18
	s_load_dword s12, s[4:5], 0x2c
	s_load_dwordx2 s[0:1], s[4:5], 0x38
	s_ashr_i32 s7, s6, 31
	s_lshl_b64 s[8:9], s[6:7], 3
	s_waitcnt lgkmcnt(0)
	s_add_u32 s2, s2, s8
	s_addc_u32 s3, s3, s9
	s_load_dwordx4 s[8:11], s[2:3], 0x0
	v_or_b32_e32 v1, s6, v0
	s_mov_b32 s15, 0
	v_cmp_eq_u32_e32 vcc, 0, v1
	s_and_saveexec_b64 s[2:3], vcc
	s_cbranch_execz .LBB14_2
; %bb.1:
	s_mov_b32 s13, s15
	v_mov_b32_e32 v1, 0
	v_pk_mov_b32 v[2:3], s[12:13], s[12:13] op_sel:[0,1]
	global_store_dwordx2 v1, v[2:3], s[0:1]
.LBB14_2:
	s_or_b64 exec, exec, s[2:3]
	s_load_dword s14, s[4:5], 0xc
	v_and_b32_e32 v2, 1, v0
	v_lshrrev_b32_e32 v6, 1, v0
	v_mov_b32_e32 v1, 0
	v_mov_b32_e32 v3, s1
	s_waitcnt lgkmcnt(0)
	s_sub_u32 s20, s8, s14
	s_subb_u32 s21, s9, 0
	s_sub_u32 s10, s10, s14
	s_subb_u32 s11, s11, 0
	s_lshl_b64 s[16:17], s[20:21], 2
	s_sub_u32 s18, s10, s20
	s_subb_u32 s19, s11, s21
	s_lshl_b64 s[2:3], s[18:19], 1
	v_mov_b32_e32 v0, s18
	v_alignbit_b32 v0, s19, v0, 31
	v_pk_mov_b32 v[4:5], s[16:17], s[16:17] op_sel:[0,1]
	s_add_u32 s7, s2, s12
	v_mul_lo_u32 v19, v0, v2
	v_mad_u64_u32 v[20:21], s[16:17], s2, v2, v[4:5]
	s_addc_u32 s3, s3, 0
	v_add_u32_e32 v21, v19, v21
	v_mov_b32_e32 v0, s3
	v_add_co_u32_e32 v4, vcc, s7, v20
	v_addc_co_u32_e32 v5, vcc, v0, v21, vcc
	v_lshl_or_b32 v0, s6, 1, v2
	v_add_u32_e32 v0, 1, v0
	v_lshlrev_b64 v[0:1], 3, v[0:1]
	v_add_co_u32_e32 v0, vcc, s0, v0
	v_addc_co_u32_e32 v1, vcc, v3, v1, vcc
	global_store_dwordx2 v[0:1], v[4:5], off
	v_mov_b32_e32 v0, s21
	v_add_co_u32_e32 v4, vcc, s20, v6
	v_addc_co_u32_e32 v5, vcc, 0, v0, vcc
	v_cmp_gt_i64_e32 vcc, s[10:11], v[4:5]
	s_and_saveexec_b64 s[0:1], vcc
	s_cbranch_execz .LBB14_14
; %bb.3:
	v_mov_b32_e32 v1, s9
	v_add_co_u32_e32 v3, vcc, s8, v6
	s_load_dwordx2 s[22:23], s[4:5], 0x20
	s_load_dwordx2 s[16:17], s[4:5], 0x30
	s_load_dword s0, s[4:5], 0x0
	s_load_dwordx2 s[6:7], s[4:5], 0x10
	s_load_dwordx2 s[18:19], s[4:5], 0x40
	v_addc_co_u32_e32 v1, vcc, 0, v1, vcc
	v_mov_b32_e32 v7, s15
	v_subrev_co_u32_e32 v3, vcc, s14, v3
	v_mul_lo_u32 v18, s2, v2
	v_subb_co_u32_e32 v1, vcc, v1, v7, vcc
	s_movk_i32 s2, 0x80
	s_waitcnt lgkmcnt(0)
	s_cmp_lg_u32 s0, 0
	v_add_co_u32_e32 v8, vcc, s2, v3
	s_cselect_b64 s[0:1], -1, 0
	v_addc_co_u32_e32 v9, vcc, 0, v1, vcc
	s_not_b64 s[2:3], s[8:9]
	v_cmp_lt_i64_e32 vcc, s[10:11], v[8:9]
	v_mov_b32_e32 v3, s10
	s_add_u32 s2, s2, s14
	v_mov_b32_e32 v1, s11
	v_cndmask_b32_e32 v3, v3, v8, vcc
	s_addc_u32 s3, s3, 0
	v_cndmask_b32_e32 v1, v1, v9, vcc
	v_mov_b32_e32 v7, s3
	v_add_co_u32_e32 v3, vcc, s2, v3
	v_addc_co_u32_e32 v1, vcc, v7, v1, vcc
	v_sub_co_u32_e32 v10, vcc, v3, v6
	v_subbrev_co_u32_e32 v11, vcc, 0, v1, vcc
	s_mov_b64 s[2:3], 0x1a80
	v_cmp_gt_u64_e64 s[24:25], s[2:3], v[10:11]
	s_mov_b64 s[2:3], 0x1a7f
	s_mov_b32 s4, 0
	v_lshlrev_b32_e32 v0, 1, v2
	v_cmp_lt_u64_e32 vcc, s[2:3], v[10:11]
	s_and_saveexec_b64 s[26:27], vcc
	s_cbranch_execz .LBB14_9
; %bb.4:
	v_lshlrev_b32_e32 v1, 3, v6
	s_lshl_b64 s[28:29], s[8:9], 4
	v_lshlrev_b64 v[6:7], 2, v[18:19]
	v_mov_b32_e32 v3, s29
	v_add_co_u32_e32 v6, vcc, s28, v6
	v_addc_co_u32_e32 v3, vcc, v3, v7, vcc
	v_add_co_u32_e32 v1, vcc, v1, v6
	s_lshl_b64 s[2:3], s[14:15], 4
	v_addc_co_u32_e32 v3, vcc, 0, v3, vcc
	v_mov_b32_e32 v6, s3
	v_subrev_co_u32_e32 v1, vcc, s2, v1
	v_subb_co_u32_e32 v3, vcc, v3, v6, vcc
	v_lshrrev_b64 v[8:9], 7, v[10:11]
	v_mov_b32_e32 v7, s19
	v_add_co_u32_e32 v6, vcc, s18, v1
	v_addc_co_u32_e32 v7, vcc, v7, v3, vcc
	v_lshlrev_b64 v[12:13], 10, v[8:9]
	v_add_co_u32_e32 v14, vcc, v6, v12
	v_addc_co_u32_e32 v15, vcc, v7, v13, vcc
	v_cmp_ge_u64_e32 vcc, v[14:15], v[6:7]
	v_add_co_u32_e64 v6, s[2:3], 4, v6
	v_addc_co_u32_e64 v7, s[2:3], 0, v7, s[2:3]
	s_brev_b32 s5, 4
	v_cmp_gt_u64_e64 s[2:3], s[4:5], v[10:11]
	v_add_co_u32_e64 v10, s[4:5], 4, v14
	v_addc_co_u32_e64 v11, s[4:5], 0, v15, s[4:5]
	v_cmp_ge_u64_e64 s[4:5], v[10:11], v[6:7]
	s_and_b64 s[28:29], s[4:5], vcc
	v_mov_b32_e32 v7, s17
	v_add_co_u32_e32 v6, vcc, s16, v1
	v_addc_co_u32_e32 v7, vcc, v7, v3, vcc
	v_add_co_u32_e32 v10, vcc, v6, v12
	v_addc_co_u32_e32 v11, vcc, v7, v13, vcc
	v_cmp_ge_u64_e32 vcc, v[10:11], v[6:7]
	v_add_co_u32_e64 v6, s[4:5], 4, v6
	v_addc_co_u32_e64 v7, s[4:5], 0, v7, s[4:5]
	v_add_co_u32_e64 v10, s[4:5], 4, v10
	v_addc_co_u32_e64 v11, s[4:5], 0, v11, s[4:5]
	s_and_b64 s[2:3], s[28:29], s[2:3]
	v_cmp_ge_u64_e64 s[4:5], v[10:11], v[6:7]
	s_and_b64 s[2:3], vcc, s[2:3]
	s_and_b64 s[28:29], s[4:5], s[2:3]
	s_mov_b64 s[2:3], -1
	s_and_saveexec_b64 s[4:5], s[28:29]
	s_cbranch_execz .LBB14_8
; %bb.5:
	v_add_co_u32_e32 v22, vcc, 1, v8
	v_addc_co_u32_e32 v23, vcc, 0, v9, vcc
	v_add_co_u32_e32 v6, vcc, 0x80, v4
	v_addc_co_u32_e32 v7, vcc, 0, v5, vcc
	v_lshlrev_b64 v[14:15], 2, v[4:5]
	v_mov_b32_e32 v1, s23
	v_add_co_u32_e32 v9, vcc, s22, v14
	v_addc_co_u32_e32 v1, vcc, v15, v1, vcc
	s_movk_i32 s2, 0x200
	s_add_u32 s13, s6, 4
	v_and_b32_e32 v24, -2, v22
	v_mov_b32_e32 v25, v23
	v_add_co_u32_e32 v26, vcc, s2, v9
	v_pk_mov_b32 v[16:17], v[6:7], v[6:7] op_sel:[0,1]
	s_addc_u32 s30, s7, 0
	s_mov_b32 s31, s14
	s_mov_b32 s33, s14
	;; [unrolled: 1-line block ×4, first 2 shown]
	v_mov_b32_e32 v8, v20
	v_mov_b32_e32 v3, v21
	s_mov_b32 s36, s12
	v_mov_b32_e32 v10, v0
	v_mov_b32_e32 v12, v2
	v_addc_co_u32_e32 v27, vcc, 0, v1, vcc
	s_mov_b64 s[28:29], 0
	s_movk_i32 s37, 0x100
	v_pk_mov_b32 v[28:29], v[24:25], v[24:25] op_sel:[0,1]
	v_pk_mov_b32 v[14:15], v[4:5], v[4:5] op_sel:[0,1]
.LBB14_6:                               ; =>This Inner Loop Header: Depth=1
	v_mov_b32_e32 v1, s21
	v_subrev_co_u32_e64 v34, s[2:3], s20, v14
	v_mov_b32_e32 v7, s35
	v_subrev_co_u32_e32 v6, vcc, s34, v16
	v_subb_co_u32_e64 v35, s[2:3], v15, v1, s[2:3]
	v_subb_co_u32_e32 v7, vcc, v17, v7, vcc
	v_lshlrev_b64 v[34:35], 1, v[34:35]
	v_add_co_u32_e32 v34, vcc, v34, v20
	v_lshlrev_b64 v[32:33], 2, v[14:15]
	v_lshlrev_b64 v[6:7], 1, v[6:7]
	v_addc_co_u32_e32 v35, vcc, v35, v21, vcc
	v_or_b32_e32 v37, 0, v33
	v_or_b32_e32 v36, v32, v0
	;; [unrolled: 1-line block ×4, first 2 shown]
	v_add_co_u32_e32 v6, vcc, v6, v8
	v_lshlrev_b64 v[30:31], 2, v[16:17]
	v_cndmask_b32_e64 v43, v37, v33, s[0:1]
	v_cndmask_b32_e64 v42, v36, v32, s[0:1]
	v_lshlrev_b64 v[32:33], 2, v[32:33]
	v_addc_co_u32_e32 v7, vcc, v7, v3, vcc
	v_mov_b32_e32 v11, s7
	v_or_b32_e32 v39, 0, v31
	v_or_b32_e32 v38, v30, v10
	;; [unrolled: 1-line block ×4, first 2 shown]
	v_add_co_u32_e32 v1, vcc, s6, v32
	v_cndmask_b32_e64 v41, v39, v31, s[0:1]
	v_cndmask_b32_e64 v40, v38, v30, s[0:1]
	v_lshlrev_b64 v[30:31], 2, v[30:31]
	v_addc_co_u32_e32 v45, vcc, v11, v33, vcc
	v_add_co_u32_e32 v46, vcc, s6, v30
	v_lshlrev_b64 v[36:37], 2, v[36:37]
	v_addc_co_u32_e32 v47, vcc, v11, v31, vcc
	v_mov_b32_e32 v44, s30
	v_add_co_u32_e32 v48, vcc, s13, v36
	v_lshlrev_b64 v[38:39], 2, v[38:39]
	v_addc_co_u32_e32 v49, vcc, v44, v37, vcc
	v_add_co_u32_e32 v50, vcc, s13, v38
	v_lshlrev_b64 v[42:43], 2, v[42:43]
	v_addc_co_u32_e32 v44, vcc, v44, v39, vcc
	v_add_co_u32_e32 v36, vcc, s6, v42
	v_lshlrev_b64 v[40:41], 2, v[40:41]
	v_addc_co_u32_e32 v37, vcc, v11, v43, vcc
	v_add_co_u32_e32 v38, vcc, s6, v40
	v_addc_co_u32_e32 v39, vcc, v11, v41, vcc
	global_load_dword v11, v[36:37], off
	global_load_dword v51, v[26:27], off offset:-512
	global_load_dword v52, v[38:39], off
	global_load_dword v53, v[26:27], off
	v_lshlrev_b64 v[30:31], 2, v[34:35]
	v_mov_b32_e32 v9, s19
	v_add_co_u32_e32 v40, vcc, s18, v30
	v_addc_co_u32_e32 v41, vcc, v9, v31, vcc
	v_mov_b32_e32 v13, s17
	v_add_co_u32_e32 v30, vcc, s16, v30
	v_lshlrev_b64 v[32:33], 2, v[6:7]
	v_addc_co_u32_e32 v31, vcc, v13, v31, vcc
	v_add_co_u32_e32 v42, vcc, s18, v32
	v_addc_co_u32_e32 v43, vcc, v9, v33, vcc
	v_add_co_u32_e32 v32, vcc, s16, v32
	;; [unrolled: 2-line block ×3, first 2 shown]
	v_addc_co_u32_e32 v38, vcc, 0, v45, vcc
	v_or_b32_e32 v34, 1, v34
	v_add_co_u32_e32 v36, vcc, 8, v46
	v_addc_co_u32_e32 v37, vcc, 0, v47, vcc
	v_lshlrev_b64 v[34:35], 2, v[34:35]
	v_or_b32_e32 v6, 1, v6
	v_cndmask_b32_e64 v37, v44, v37, s[0:1]
	v_add_co_u32_e32 v44, vcc, s18, v34
	v_lshlrev_b64 v[6:7], 2, v[6:7]
	v_addc_co_u32_e32 v45, vcc, v9, v35, vcc
	v_cndmask_b32_e64 v39, v49, v38, s[0:1]
	v_cndmask_b32_e64 v38, v48, v1, s[0:1]
	v_add_co_u32_e32 v46, vcc, s18, v6
	v_addc_co_u32_e32 v47, vcc, v9, v7, vcc
	v_cndmask_b32_e64 v36, v50, v36, s[0:1]
	v_add_co_u32_e32 v16, vcc, s37, v16
	v_addc_co_u32_e32 v17, vcc, 0, v17, vcc
	v_add_co_u32_e32 v14, vcc, s37, v14
	v_addc_co_u32_e32 v15, vcc, 0, v15, vcc
	v_add_co_u32_e32 v26, vcc, 0x400, v26
	v_add_co_u32_e64 v28, s[2:3], -2, v28
	v_addc_co_u32_e32 v27, vcc, 0, v27, vcc
	v_addc_co_u32_e64 v29, s[2:3], -1, v29, s[2:3]
	v_cmp_eq_u64_e64 s[2:3], 0, v[28:29]
	s_or_b64 s[28:29], s[2:3], s[28:29]
	s_waitcnt vmcnt(2)
	v_subrev_u32_e32 v1, s31, v51
	v_lshl_add_u32 v1, v1, 1, s12
	s_waitcnt vmcnt(0)
	v_subrev_u32_e32 v9, s33, v53
	v_lshl_add_u32 v9, v9, 1, s36
	global_store_dword v[40:41], v1, off
	global_store_dword v[42:43], v9, off
	v_add_u32_e32 v1, 1, v1
	v_add_u32_e32 v9, 1, v9
	global_store_dword v[44:45], v1, off
	global_store_dword v[46:47], v9, off
	;; [unrolled: 1-line block ×4, first 2 shown]
	global_load_dword v1, v[38:39], off
	s_nop 0
	global_load_dword v9, v[36:37], off
	v_add_co_u32_e32 v30, vcc, s16, v34
	v_addc_co_u32_e32 v31, vcc, v13, v35, vcc
	v_add_co_u32_e32 v6, vcc, s16, v6
	v_addc_co_u32_e32 v7, vcc, v13, v7, vcc
	s_waitcnt vmcnt(1)
	global_store_dword v[30:31], v1, off
	s_waitcnt vmcnt(1)
	global_store_dword v[6:7], v9, off
	s_andn2_b64 exec, exec, s[28:29]
	s_cbranch_execnz .LBB14_6
; %bb.7:
	s_or_b64 exec, exec, s[28:29]
	v_lshlrev_b64 v[6:7], 7, v[24:25]
	v_add_co_u32_e32 v4, vcc, v4, v6
	v_addc_co_u32_e32 v5, vcc, v5, v7, vcc
	v_cmp_ne_u64_e32 vcc, v[22:23], v[24:25]
	s_orn2_b64 s[2:3], vcc, exec
.LBB14_8:
	s_or_b64 exec, exec, s[4:5]
	s_andn2_b64 s[4:5], s[24:25], exec
	s_and_b64 s[2:3], s[2:3], exec
	s_or_b64 s[24:25], s[4:5], s[2:3]
.LBB14_9:
	s_or_b64 exec, exec, s[26:27]
	s_and_b64 exec, exec, s[24:25]
	s_cbranch_execz .LBB14_14
; %bb.10:
	v_lshlrev_b64 v[6:7], 2, v[4:5]
	v_mov_b32_e32 v1, s23
	v_add_co_u32_e32 v8, vcc, s22, v6
	v_addc_co_u32_e32 v9, vcc, v1, v7, vcc
	v_mov_b32_e32 v1, s9
	v_add_co_u32_e32 v10, vcc, s8, v4
	v_addc_co_u32_e32 v11, vcc, v5, v1, vcc
	v_lshlrev_b64 v[10:11], 1, v[10:11]
	s_add_u32 s13, s6, 8
	v_add_co_u32_e32 v1, vcc, v18, v10
	s_addc_u32 s20, s7, 0
	v_addc_co_u32_e32 v3, vcc, v19, v11, vcc
	s_lshl_b64 s[2:3], s[14:15], 1
	v_mov_b32_e32 v11, s3
	v_subrev_co_u32_e32 v10, vcc, s2, v1
	v_subb_co_u32_e32 v11, vcc, v3, v11, vcc
	v_lshlrev_b64 v[10:11], 2, v[10:11]
	v_add_co_u32_e32 v3, vcc, 4, v10
	v_addc_co_u32_e32 v13, vcc, 0, v11, vcc
	v_mov_b32_e32 v1, s17
	v_add_co_u32_e32 v10, vcc, s16, v3
	v_addc_co_u32_e32 v11, vcc, v1, v13, vcc
	v_mov_b32_e32 v15, s19
	v_add_co_u32_e32 v14, vcc, s18, v3
	v_lshlrev_b64 v[16:17], 4, v[4:5]
	v_addc_co_u32_e32 v15, vcc, v15, v13, vcc
	v_lshl_or_b32 v3, v2, 3, v16
	v_mov_b32_e32 v13, s7
	v_add_co_u32_e32 v3, vcc, s6, v3
	v_addc_co_u32_e32 v13, vcc, v17, v13, vcc
	v_add_co_u32_e32 v16, vcc, 4, v3
	v_cndmask_b32_e64 v3, 0, 1, s[0:1]
	v_or_b32_e32 v12, v6, v2
	v_mov_b32_e32 v1, v7
	v_addc_co_u32_e32 v17, vcc, 0, v13, vcc
	v_or_b32_e32 v6, v6, v0
	s_mov_b64 s[4:5], 0
	v_mov_b32_e32 v0, s7
	v_cmp_ne_u32_e64 s[2:3], 1, v3
	s_branch .LBB14_12
.LBB14_11:                              ;   in Loop: Header=BB14_12 Depth=1
	global_load_dword v3, v[18:19], off
	v_add_co_u32_e32 v4, vcc, 0x80, v4
	v_addc_co_u32_e32 v5, vcc, 0, v5, vcc
	v_add_co_u32_e32 v8, vcc, 0x200, v8
	v_addc_co_u32_e32 v9, vcc, 0, v9, vcc
	v_cmp_le_i64_e32 vcc, s[10:11], v[4:5]
	s_or_b64 s[4:5], vcc, s[4:5]
	s_waitcnt vmcnt(0)
	global_store_dword v[10:11], v3, off
	v_add_co_u32_e32 v10, vcc, 0x400, v10
	v_addc_co_u32_e32 v11, vcc, 0, v11, vcc
	v_add_co_u32_e32 v12, vcc, 0x200, v12
	v_addc_co_u32_e32 v1, vcc, 0, v1, vcc
	;; [unrolled: 2-line block ×5, first 2 shown]
	s_andn2_b64 exec, exec, s[4:5]
	s_cbranch_execz .LBB14_14
.LBB14_12:                              ; =>This Inner Loop Header: Depth=1
	v_cndmask_b32_e64 v19, v7, v1, s[0:1]
	v_cndmask_b32_e64 v18, v6, v12, s[0:1]
	global_load_dword v3, v[8:9], off
	v_lshlrev_b64 v[18:19], 2, v[18:19]
	v_add_co_u32_e32 v18, vcc, s6, v18
	v_addc_co_u32_e32 v19, vcc, v0, v19, vcc
	global_load_dword v13, v[18:19], off
	s_and_b64 vcc, exec, s[2:3]
	s_waitcnt vmcnt(1)
	v_subrev_u32_e32 v3, s14, v3
	v_lshl_add_u32 v18, v3, 1, s12
	v_add_u32_e32 v19, 1, v18
	s_waitcnt vmcnt(0)
	global_store_dword v[10:11], v13, off offset:-4
	global_store_dwordx2 v[14:15], v[18:19], off offset:-4
	v_pk_mov_b32 v[18:19], v[16:17], v[16:17] op_sel:[0,1]
	s_cbranch_vccnz .LBB14_11
; %bb.13:                               ;   in Loop: Header=BB14_12 Depth=1
	v_lshlrev_b64 v[18:19], 4, v[4:5]
	v_lshl_or_b32 v3, v2, 2, v18
	v_mov_b32_e32 v13, s20
	v_add_co_u32_e32 v18, vcc, s13, v3
	v_addc_co_u32_e32 v19, vcc, v13, v19, vcc
	s_branch .LBB14_11
.LBB14_14:
	s_endpgm
	.section	.rodata,"a",@progbits
	.p2align	6, 0x0
	.amdhsa_kernel _ZN9rocsparseL32bsr2csr_block_per_row_2_7_kernelILj256ELj2EiliEEv20rocsparse_direction_T3_S2_21rocsparse_index_base_PKT1_PKT2_PKS2_S2_S3_PS4_PS7_PS2_
		.amdhsa_group_segment_fixed_size 0
		.amdhsa_private_segment_fixed_size 0
		.amdhsa_kernarg_size 72
		.amdhsa_user_sgpr_count 6
		.amdhsa_user_sgpr_private_segment_buffer 1
		.amdhsa_user_sgpr_dispatch_ptr 0
		.amdhsa_user_sgpr_queue_ptr 0
		.amdhsa_user_sgpr_kernarg_segment_ptr 1
		.amdhsa_user_sgpr_dispatch_id 0
		.amdhsa_user_sgpr_flat_scratch_init 0
		.amdhsa_user_sgpr_kernarg_preload_length 0
		.amdhsa_user_sgpr_kernarg_preload_offset 0
		.amdhsa_user_sgpr_private_segment_size 0
		.amdhsa_uses_dynamic_stack 0
		.amdhsa_system_sgpr_private_segment_wavefront_offset 0
		.amdhsa_system_sgpr_workgroup_id_x 1
		.amdhsa_system_sgpr_workgroup_id_y 0
		.amdhsa_system_sgpr_workgroup_id_z 0
		.amdhsa_system_sgpr_workgroup_info 0
		.amdhsa_system_vgpr_workitem_id 0
		.amdhsa_next_free_vgpr 54
		.amdhsa_next_free_sgpr 38
		.amdhsa_accum_offset 56
		.amdhsa_reserve_vcc 1
		.amdhsa_reserve_flat_scratch 0
		.amdhsa_float_round_mode_32 0
		.amdhsa_float_round_mode_16_64 0
		.amdhsa_float_denorm_mode_32 3
		.amdhsa_float_denorm_mode_16_64 3
		.amdhsa_dx10_clamp 1
		.amdhsa_ieee_mode 1
		.amdhsa_fp16_overflow 0
		.amdhsa_tg_split 0
		.amdhsa_exception_fp_ieee_invalid_op 0
		.amdhsa_exception_fp_denorm_src 0
		.amdhsa_exception_fp_ieee_div_zero 0
		.amdhsa_exception_fp_ieee_overflow 0
		.amdhsa_exception_fp_ieee_underflow 0
		.amdhsa_exception_fp_ieee_inexact 0
		.amdhsa_exception_int_div_zero 0
	.end_amdhsa_kernel
	.section	.text._ZN9rocsparseL32bsr2csr_block_per_row_2_7_kernelILj256ELj2EiliEEv20rocsparse_direction_T3_S2_21rocsparse_index_base_PKT1_PKT2_PKS2_S2_S3_PS4_PS7_PS2_,"axG",@progbits,_ZN9rocsparseL32bsr2csr_block_per_row_2_7_kernelILj256ELj2EiliEEv20rocsparse_direction_T3_S2_21rocsparse_index_base_PKT1_PKT2_PKS2_S2_S3_PS4_PS7_PS2_,comdat
.Lfunc_end14:
	.size	_ZN9rocsparseL32bsr2csr_block_per_row_2_7_kernelILj256ELj2EiliEEv20rocsparse_direction_T3_S2_21rocsparse_index_base_PKT1_PKT2_PKS2_S2_S3_PS4_PS7_PS2_, .Lfunc_end14-_ZN9rocsparseL32bsr2csr_block_per_row_2_7_kernelILj256ELj2EiliEEv20rocsparse_direction_T3_S2_21rocsparse_index_base_PKT1_PKT2_PKS2_S2_S3_PS4_PS7_PS2_
                                        ; -- End function
	.section	.AMDGPU.csdata,"",@progbits
; Kernel info:
; codeLenInByte = 1984
; NumSgprs: 42
; NumVgprs: 54
; NumAgprs: 0
; TotalNumVgprs: 54
; ScratchSize: 0
; MemoryBound: 0
; FloatMode: 240
; IeeeMode: 1
; LDSByteSize: 0 bytes/workgroup (compile time only)
; SGPRBlocks: 5
; VGPRBlocks: 6
; NumSGPRsForWavesPerEU: 42
; NumVGPRsForWavesPerEU: 54
; AccumOffset: 56
; Occupancy: 8
; WaveLimiterHint : 1
; COMPUTE_PGM_RSRC2:SCRATCH_EN: 0
; COMPUTE_PGM_RSRC2:USER_SGPR: 6
; COMPUTE_PGM_RSRC2:TRAP_HANDLER: 0
; COMPUTE_PGM_RSRC2:TGID_X_EN: 1
; COMPUTE_PGM_RSRC2:TGID_Y_EN: 0
; COMPUTE_PGM_RSRC2:TGID_Z_EN: 0
; COMPUTE_PGM_RSRC2:TIDIG_COMP_CNT: 0
; COMPUTE_PGM_RSRC3_GFX90A:ACCUM_OFFSET: 13
; COMPUTE_PGM_RSRC3_GFX90A:TG_SPLIT: 0
	.section	.text._ZN9rocsparseL32bsr2csr_block_per_row_2_7_kernelILj256ELj3EiliEEv20rocsparse_direction_T3_S2_21rocsparse_index_base_PKT1_PKT2_PKS2_S2_S3_PS4_PS7_PS2_,"axG",@progbits,_ZN9rocsparseL32bsr2csr_block_per_row_2_7_kernelILj256ELj3EiliEEv20rocsparse_direction_T3_S2_21rocsparse_index_base_PKT1_PKT2_PKS2_S2_S3_PS4_PS7_PS2_,comdat
	.globl	_ZN9rocsparseL32bsr2csr_block_per_row_2_7_kernelILj256ELj3EiliEEv20rocsparse_direction_T3_S2_21rocsparse_index_base_PKT1_PKT2_PKS2_S2_S3_PS4_PS7_PS2_ ; -- Begin function _ZN9rocsparseL32bsr2csr_block_per_row_2_7_kernelILj256ELj3EiliEEv20rocsparse_direction_T3_S2_21rocsparse_index_base_PKT1_PKT2_PKS2_S2_S3_PS4_PS7_PS2_
	.p2align	8
	.type	_ZN9rocsparseL32bsr2csr_block_per_row_2_7_kernelILj256ELj3EiliEEv20rocsparse_direction_T3_S2_21rocsparse_index_base_PKT1_PKT2_PKS2_S2_S3_PS4_PS7_PS2_,@function
_ZN9rocsparseL32bsr2csr_block_per_row_2_7_kernelILj256ELj3EiliEEv20rocsparse_direction_T3_S2_21rocsparse_index_base_PKT1_PKT2_PKS2_S2_S3_PS4_PS7_PS2_: ; @_ZN9rocsparseL32bsr2csr_block_per_row_2_7_kernelILj256ELj3EiliEEv20rocsparse_direction_T3_S2_21rocsparse_index_base_PKT1_PKT2_PKS2_S2_S3_PS4_PS7_PS2_
; %bb.0:
	s_load_dwordx2 s[2:3], s[4:5], 0x18
	s_load_dword s29, s[4:5], 0x2c
	s_load_dwordx2 s[0:1], s[4:5], 0x38
	s_ashr_i32 s7, s6, 31
	s_lshl_b64 s[8:9], s[6:7], 3
	s_waitcnt lgkmcnt(0)
	s_add_u32 s2, s2, s8
	v_or_b32_e32 v1, s6, v0
	s_addc_u32 s3, s3, s9
	v_cmp_eq_u32_e32 vcc, 0, v1
	s_and_saveexec_b64 s[8:9], vcc
	s_cbranch_execz .LBB15_2
; %bb.1:
	v_mov_b32_e32 v2, s29
	v_mov_b32_e32 v3, 0
	global_store_dwordx2 v3, v[2:3], s[0:1]
.LBB15_2:
	s_or_b64 exec, exec, s[8:9]
	v_and_b32_e32 v24, 3, v0
	v_cmp_ne_u32_e32 vcc, 3, v24
	s_and_saveexec_b64 s[8:9], vcc
	s_cbranch_execz .LBB15_13
; %bb.3:
	s_load_dwordx4 s[8:11], s[2:3], 0x0
	s_load_dword s28, s[4:5], 0xc
	v_lshrrev_b32_e32 v2, 2, v0
	s_mul_i32 s6, s6, 3
	v_mov_b32_e32 v5, 0
	v_add3_u32 v4, v24, s6, 1
	s_waitcnt lgkmcnt(0)
	s_sub_u32 s30, s8, s28
	s_subb_u32 s31, s9, 0
	s_sub_u32 s10, s10, s28
	s_mul_i32 s2, s31, 9
	s_mul_hi_u32 s3, s30, 9
	s_subb_u32 s11, s11, 0
	s_add_i32 s3, s3, s2
	s_mul_i32 s2, s30, 9
	v_mov_b32_e32 v1, s3
	s_sub_u32 s3, s10, s30
	v_mov_b32_e32 v0, s2
	s_subb_u32 s2, s11, s31
	s_mul_i32 s12, s2, 3
	s_mul_hi_u32 s13, s3, 3
	s_mul_i32 s20, s3, 3
	s_add_i32 s14, s13, s12
	v_mad_u64_u32 v[6:7], s[12:13], s20, v24, v[0:1]
	s_add_u32 s12, s20, s29
	v_mul_lo_u32 v3, s14, v24
	s_addc_u32 s13, s14, 0
	v_add_u32_e32 v7, v3, v7
	v_mov_b32_e32 v1, s13
	v_add_co_u32_e32 v0, vcc, s12, v6
	v_addc_co_u32_e32 v1, vcc, v1, v7, vcc
	v_lshlrev_b64 v[4:5], 3, v[4:5]
	v_mov_b32_e32 v8, s1
	v_add_co_u32_e32 v4, vcc, s0, v4
	v_addc_co_u32_e32 v5, vcc, v8, v5, vcc
	global_store_dwordx2 v[4:5], v[0:1], off
	v_mov_b32_e32 v1, s31
	v_add_co_u32_e32 v0, vcc, s30, v2
	v_addc_co_u32_e32 v1, vcc, 0, v1, vcc
	s_mov_b32 s7, 0
	v_cmp_gt_i64_e32 vcc, s[10:11], v[0:1]
	s_and_b64 exec, exec, vcc
	s_cbranch_execz .LBB15_13
; %bb.4:
	v_mad_u64_u32 v[8:9], s[0:1], s20, v24, 0
	v_add_u32_e32 v9, v9, v3
	v_mov_b32_e32 v3, s9
	v_add_co_u32_e32 v4, vcc, s8, v2
	s_load_dwordx2 s[12:13], s[4:5], 0x20
	s_load_dwordx2 s[16:17], s[4:5], 0x30
	s_load_dwordx2 s[14:15], s[4:5], 0x10
	s_load_dword s6, s[4:5], 0x0
	s_load_dwordx2 s[18:19], s[4:5], 0x40
	v_addc_co_u32_e32 v3, vcc, 0, v3, vcc
	v_mov_b32_e32 v5, s7
	v_subrev_co_u32_e32 v4, vcc, s28, v4
	v_subb_co_u32_e32 v3, vcc, v3, v5, vcc
	v_add_co_u32_e32 v4, vcc, 64, v4
	s_waitcnt lgkmcnt(0)
	s_cmp_eq_u32 s6, 0
	v_addc_co_u32_e32 v5, vcc, 0, v3, vcc
	s_cselect_b64 s[0:1], -1, 0
	v_mov_b32_e32 v3, s11
	v_cmp_lt_i64_e32 vcc, s[10:11], v[4:5]
	s_not_b64 s[4:5], s[8:9]
	v_cndmask_b32_e32 v3, v3, v5, vcc
	v_mov_b32_e32 v5, s10
	s_add_u32 s4, s4, s28
	v_cndmask_b32_e32 v4, v5, v4, vcc
	s_addc_u32 s5, s5, 0
	v_mov_b32_e32 v5, s5
	v_add_co_u32_e32 v4, vcc, s4, v4
	v_addc_co_u32_e32 v3, vcc, v5, v3, vcc
	v_sub_co_u32_e32 v4, vcc, v4, v2
	v_subbrev_co_u32_e32 v5, vcc, 0, v3, vcc
	s_mov_b64 s[4:5], 0x1c40
	v_cmp_gt_u64_e64 s[20:21], s[4:5], v[4:5]
	s_mov_b64 s[4:5], 0x1c3f
	v_mul_u32_u24_e32 v25, 3, v24
	v_cmp_lt_u64_e32 vcc, s[4:5], v[4:5]
	s_and_saveexec_b64 s[22:23], vcc
	s_cbranch_execz .LBB15_10
; %bb.5:
	v_mad_u64_u32 v[10:11], s[4:5], s3, v24, 0
	v_mov_b32_e32 v12, v11
	v_mad_u64_u32 v[12:13], s[2:3], s2, v24, v[12:13]
	s_mul_i32 s2, s9, 36
	s_mul_hi_u32 s3, s8, 36
	s_add_i32 s3, s3, s2
	s_mul_i32 s2, s8, 36
	v_mov_b32_e32 v14, s2
	v_mov_b32_e32 v15, s3
	v_mad_u64_u32 v[10:11], s[2:3], v10, 12, v[14:15]
	v_mov_b32_e32 v14, v11
	v_mad_u64_u32 v[12:13], s[2:3], v12, 12, v[14:15]
	;; [unrolled: 2-line block ×3, first 2 shown]
	s_mul_hi_u32 s2, s28, 36
	s_mul_i32 s3, s28, 36
	v_mov_b32_e32 v3, s2
	v_subrev_co_u32_e32 v18, vcc, s3, v10
	v_subb_co_u32_e32 v19, vcc, v11, v3, vcc
	v_mov_b32_e32 v20, s19
	v_add_co_u32_e32 v3, vcc, s18, v18
	v_addc_co_u32_e32 v21, vcc, v20, v19, vcc
	s_movk_i32 s4, 0x300
	v_alignbit_b32 v14, v5, v4, 6
	v_add_co_u32_e32 v10, vcc, 4, v3
	v_lshrrev_b32_e32 v12, 6, v5
	v_mad_u64_u32 v[14:15], s[2:3], v14, s4, 0
	v_addc_co_u32_e32 v11, vcc, 0, v21, vcc
	v_mad_u64_u32 v[12:13], s[2:3], v12, s4, 0
	v_mov_b32_e32 v16, v15
	v_add_co_u32_e32 v16, vcc, v16, v12
	v_addc_co_u32_e32 v16, vcc, 0, v13, vcc
	v_mov_b32_e32 v17, 0
	v_cmp_ne_u64_e32 vcc, 0, v[16:17]
	v_add_u32_e32 v15, v15, v12
	v_add_co_u32_e64 v16, s[2:3], v3, v14
	v_addc_co_u32_e64 v17, s[2:3], v21, v15, s[2:3]
	v_add_co_u32_e64 v12, s[2:3], 4, v16
	v_addc_co_u32_e64 v13, s[2:3], 0, v17, s[2:3]
	v_cmp_lt_u64_e64 s[2:3], v[12:13], v[10:11]
	s_or_b64 s[4:5], s[2:3], vcc
	v_add_co_u32_e64 v10, s[2:3], 8, v3
	v_addc_co_u32_e64 v11, s[2:3], 0, v21, s[2:3]
	v_add_co_u32_e64 v12, s[2:3], 8, v16
	v_addc_co_u32_e64 v13, s[2:3], 0, v17, s[2:3]
	v_cmp_lt_u64_e64 s[2:3], v[12:13], v[10:11]
	s_or_b64 s[6:7], s[2:3], vcc
	v_mad_u64_u32 v[10:11], s[2:3], s8, 9, v[8:9]
	v_mov_b32_e32 v12, v11
	v_mad_u64_u32 v[12:13], s[2:3], s9, 9, v[12:13]
	v_mov_b32_e32 v11, v12
	v_mad_u64_u32 v[2:3], s[2:3], v2, 3, v[10:11]
	v_mad_u64_u32 v[2:3], s[2:3], s28, -9, v[2:3]
	s_mul_i32 s2, s28, 0x3fffffff
	v_add_u32_e32 v3, s2, v3
	v_lshlrev_b64 v[2:3], 2, v[2:3]
	v_add_co_u32_e64 v10, s[2:3], s18, v2
	v_addc_co_u32_e64 v11, s[2:3], v20, v3, s[2:3]
	v_add_co_u32_e64 v12, s[2:3], v10, v14
	v_addc_co_u32_e64 v13, s[2:3], v11, v15, s[2:3]
	v_cmp_lt_u64_e64 s[2:3], v[12:13], v[10:11]
	s_or_b64 s[26:27], s[2:3], vcc
	v_mov_b32_e32 v16, s17
	v_add_co_u32_e64 v17, s[2:3], s16, v18
	v_addc_co_u32_e64 v18, s[2:3], v16, v19, s[2:3]
	v_add_co_u32_e64 v10, s[2:3], 4, v17
	v_addc_co_u32_e64 v11, s[2:3], 0, v18, s[2:3]
	;; [unrolled: 2-line block ×4, first 2 shown]
	v_cmp_lt_u64_e64 s[2:3], v[12:13], v[10:11]
	s_or_b64 s[34:35], s[2:3], vcc
	v_add_co_u32_e64 v10, s[2:3], 8, v17
	v_addc_co_u32_e64 v11, s[2:3], 0, v18, s[2:3]
	v_add_co_u32_e64 v12, s[2:3], 8, v19
	v_addc_co_u32_e64 v13, s[2:3], 0, v20, s[2:3]
	v_cmp_lt_u64_e64 s[2:3], v[12:13], v[10:11]
	s_or_b64 s[36:37], s[2:3], vcc
	v_add_co_u32_e64 v2, s[2:3], s16, v2
	v_addc_co_u32_e64 v3, s[2:3], v16, v3, s[2:3]
	v_add_co_u32_e64 v10, s[2:3], v2, v14
	s_or_b64 s[4:5], s[4:5], s[6:7]
	v_addc_co_u32_e64 v11, s[2:3], v3, v15, s[2:3]
	s_or_b64 s[4:5], s[4:5], s[26:27]
	v_cmp_lt_u64_e64 s[2:3], v[10:11], v[2:3]
	s_or_b64 s[4:5], s[4:5], s[34:35]
	s_or_b64 s[2:3], s[2:3], vcc
	s_or_b64 s[4:5], s[4:5], s[36:37]
	s_or_b64 s[4:5], s[4:5], s[2:3]
	s_mov_b64 s[24:25], 0
	s_mov_b64 s[2:3], -1
	s_xor_b64 s[4:5], s[4:5], -1
	s_and_saveexec_b64 s[26:27], s[4:5]
	s_cbranch_execz .LBB15_9
; %bb.6:
	v_lshrrev_b64 v[2:3], 6, v[4:5]
	v_lshlrev_b32_e32 v4, 2, v24
	v_mov_b32_e32 v5, s15
	v_add_co_u32_e32 v10, vcc, s14, v4
	v_addc_co_u32_e32 v11, vcc, 0, v5, vcc
	v_lshlrev_b32_e32 v4, 2, v25
	v_add_co_u32_e32 v14, vcc, s14, v4
	v_addc_co_u32_e32 v15, vcc, 0, v5, vcc
	v_add_co_u32_e32 v12, vcc, 1, v2
	v_addc_co_u32_e32 v13, vcc, 0, v3, vcc
	;; [unrolled: 2-line block ×3, first 2 shown]
	v_lshlrev_b64 v[4:5], 2, v[0:1]
	v_mov_b32_e32 v20, s13
	v_add_co_u32_e32 v4, vcc, s12, v4
	v_addc_co_u32_e32 v5, vcc, v5, v20, vcc
	s_movk_i32 s2, 0x100
	v_add_co_u32_e32 v20, vcc, s2, v4
	v_and_b32_e32 v16, -2, v12
	v_mov_b32_e32 v17, v13
	v_addc_co_u32_e32 v21, vcc, 0, v5, vcc
	v_pk_mov_b32 v[4:5], v[2:3], v[2:3] op_sel:[0,1]
	s_mov_b32 s33, s28
	s_mov_b32 s34, s30
	;; [unrolled: 1-line block ×3, first 2 shown]
	v_mov_b32_e32 v18, v6
	v_mov_b32_e32 v19, v7
	s_mov_b32 s36, s29
	s_movk_i32 s37, 0x80
	v_pk_mov_b32 v[22:23], v[16:17], v[16:17] op_sel:[0,1]
	v_pk_mov_b32 v[2:3], v[0:1], v[0:1] op_sel:[0,1]
.LBB15_7:                               ; =>This Inner Loop Header: Depth=1
	global_load_dword v27, v[20:21], off offset:-256
	global_load_dword v29, v[20:21], off
	v_mad_u64_u32 v[30:31], s[2:3], v4, 36, v[10:11]
	v_mad_u64_u32 v[32:33], s[2:3], v2, 36, v[10:11]
	;; [unrolled: 1-line block ×4, first 2 shown]
	v_mov_b32_e32 v38, s31
	v_mov_b32_e32 v39, s35
	v_subrev_co_u32_e32 v40, vcc, s34, v4
	v_subrev_co_u32_e64 v41, s[2:3], s30, v2
	v_subb_co_u32_e64 v49, s[2:3], v3, v38, s[2:3]
	v_subb_co_u32_e32 v47, vcc, v5, v39, vcc
	v_mad_u64_u32 v[38:39], s[2:3], v40, 3, v[18:19]
	v_mad_u64_u32 v[40:41], s[2:3], v41, 3, v[6:7]
	v_mov_b32_e32 v48, v41
	v_mad_u64_u32 v[48:49], s[2:3], v49, 3, v[48:49]
	v_mov_b32_e32 v46, v39
	v_mov_b32_e32 v41, v48
	v_mad_u64_u32 v[46:47], s[2:3], v47, 3, v[46:47]
	v_lshlrev_b64 v[40:41], 2, v[40:41]
	v_mov_b32_e32 v54, s19
	v_mov_b32_e32 v39, v46
	v_add_co_u32_e32 v46, vcc, s18, v40
	v_mov_b32_e32 v28, s29
	v_mul_lo_u32 v43, v3, 36
	v_lshlrev_b64 v[38:39], 2, v[38:39]
	v_addc_co_u32_e32 v47, vcc, v54, v41, vcc
	v_mov_b32_e32 v26, s36
	v_mul_lo_u32 v42, v5, 36
	v_add_u32_e32 v33, v43, v33
	v_add_u32_e32 v37, v43, v37
	v_add_co_u32_e32 v48, vcc, s18, v38
	v_add_u32_e32 v31, v42, v31
	v_add_u32_e32 v35, v42, v35
	v_cndmask_b32_e64 v44, v32, v36, s[0:1]
	v_cndmask_b32_e64 v45, v33, v37, s[0:1]
	v_addc_co_u32_e32 v49, vcc, v54, v39, vcc
	v_cndmask_b32_e64 v42, v30, v34, s[0:1]
	v_cndmask_b32_e64 v43, v31, v35, s[0:1]
	v_mov_b32_e32 v55, s17
	s_waitcnt vmcnt(1)
	v_subrev_u32_e32 v50, s28, v27
	s_waitcnt vmcnt(0)
	v_subrev_u32_e32 v27, s33, v29
	v_mad_u64_u32 v[28:29], s[2:3], v50, 3, v[28:29]
	v_mad_u64_u32 v[26:27], s[2:3], v27, 3, v[26:27]
	global_store_dword v[46:47], v28, off
	global_store_dword v[48:49], v26, off
	global_load_dword v27, v[44:45], off
	global_load_dword v29, v[42:43], off
	v_add_co_u32_e32 v42, vcc, 4, v34
	v_add_co_u32_e64 v43, s[2:3], 12, v32
	v_add_co_u32_e64 v44, s[4:5], 12, v30
	;; [unrolled: 1-line block ×3, first 2 shown]
	v_addc_co_u32_e64 v46, s[6:7], 0, v37, s[6:7]
	v_addc_co_u32_e32 v47, vcc, 0, v35, vcc
	v_addc_co_u32_e64 v48, vcc, 0, v33, s[2:3]
	v_addc_co_u32_e64 v49, vcc, 0, v31, s[4:5]
	v_cndmask_b32_e64 v42, v44, v42, s[0:1]
	v_cndmask_b32_e64 v44, v43, v45, s[0:1]
	;; [unrolled: 1-line block ×3, first 2 shown]
	v_add_co_u32_e32 v46, vcc, s16, v40
	v_cndmask_b32_e64 v43, v49, v47, s[0:1]
	v_addc_co_u32_e32 v47, vcc, v55, v41, vcc
	v_add_co_u32_e32 v48, vcc, s16, v38
	v_addc_co_u32_e32 v49, vcc, v55, v39, vcc
	v_add_co_u32_e32 v56, vcc, 4, v40
	;; [unrolled: 2-line block ×5, first 2 shown]
	v_add_u32_e32 v61, 1, v28
	v_addc_co_u32_e32 v53, vcc, v54, v59, vcc
	v_add_u32_e32 v60, 1, v26
	v_add_co_u32_e32 v34, vcc, 8, v34
	v_add_co_u32_e64 v32, s[2:3], 24, v32
	v_add_co_u32_e64 v30, s[4:5], 24, v30
	v_addc_co_u32_e32 v35, vcc, 0, v35, vcc
	v_addc_co_u32_e64 v33, vcc, 0, v33, s[2:3]
	v_addc_co_u32_e64 v31, vcc, 0, v31, s[4:5]
	v_cndmask_b32_e64 v30, v30, v34, s[0:1]
	v_add_co_u32_e64 v36, s[6:7], 8, v36
	v_cndmask_b32_e64 v31, v31, v35, s[0:1]
	v_addc_co_u32_e64 v37, s[6:7], 0, v37, s[6:7]
	v_cndmask_b32_e64 v32, v32, v36, s[0:1]
	v_cndmask_b32_e64 v33, v33, v37, s[0:1]
	v_add_u32_e32 v28, 2, v28
	v_add_u32_e32 v26, 2, v26
	v_add_co_u32_e64 v22, s[2:3], -2, v22
	v_addc_co_u32_e64 v23, s[2:3], -1, v23, s[2:3]
	v_cmp_eq_u64_e64 s[2:3], 0, v[22:23]
	s_or_b64 s[24:25], s[2:3], s[24:25]
	global_store_dword v[50:51], v61, off
	global_store_dword v[52:53], v60, off
	s_waitcnt vmcnt(3)
	global_store_dword v[46:47], v27, off
	s_waitcnt vmcnt(3)
	global_store_dword v[48:49], v29, off
	global_load_dword v27, v[44:45], off
	s_nop 0
	global_load_dword v29, v[42:43], off
	v_add_co_u32_e32 v42, vcc, 8, v40
	v_addc_co_u32_e32 v43, vcc, 0, v41, vcc
	v_add_co_u32_e32 v44, vcc, 8, v38
	v_addc_co_u32_e32 v45, vcc, 0, v39, vcc
	;; [unrolled: 2-line block ×9, first 2 shown]
	global_store_dword v[38:39], v28, off
	global_store_dword v[40:41], v26, off
	s_waitcnt vmcnt(3)
	global_store_dword v[34:35], v27, off
	s_waitcnt vmcnt(3)
	global_store_dword v[36:37], v29, off
	global_load_dword v34, v[32:33], off
	global_load_dword v35, v[30:31], off
	v_add_co_u32_e32 v26, vcc, s16, v42
	v_addc_co_u32_e32 v27, vcc, v55, v43, vcc
	v_add_co_u32_e32 v28, vcc, s16, v44
	v_addc_co_u32_e32 v29, vcc, v55, v45, vcc
	s_waitcnt vmcnt(1)
	global_store_dword v[26:27], v34, off
	s_waitcnt vmcnt(1)
	global_store_dword v[28:29], v35, off
	s_andn2_b64 exec, exec, s[24:25]
	s_cbranch_execnz .LBB15_7
; %bb.8:
	s_or_b64 exec, exec, s[24:25]
	v_lshlrev_b64 v[2:3], 6, v[16:17]
	v_add_co_u32_e32 v0, vcc, v0, v2
	v_addc_co_u32_e32 v1, vcc, v1, v3, vcc
	v_cmp_ne_u64_e32 vcc, v[12:13], v[16:17]
	s_orn2_b64 s[2:3], vcc, exec
.LBB15_9:
	s_or_b64 exec, exec, s[26:27]
	s_andn2_b64 s[4:5], s[20:21], exec
	s_and_b64 s[2:3], s[2:3], exec
	s_or_b64 s[20:21], s[4:5], s[2:3]
.LBB15_10:
	s_or_b64 exec, exec, s[22:23]
	s_and_b64 exec, exec, s[20:21]
	s_cbranch_execz .LBB15_13
; %bb.11:
	v_mad_u64_u32 v[2:3], s[2:3], s8, 6, v[8:9]
	v_mov_b32_e32 v4, v3
	v_mad_u64_u32 v[4:5], s[2:3], s9, 6, v[4:5]
	v_mov_b32_e32 v3, v4
	;; [unrolled: 2-line block ×3, first 2 shown]
	v_mad_u64_u32 v[4:5], s[2:3], v1, 3, v[4:5]
	s_mul_hi_u32 s2, s28, 6
	s_mul_i32 s3, s28, 6
	v_mov_b32_e32 v3, v4
	v_mov_b32_e32 v4, s2
	v_subrev_co_u32_e32 v2, vcc, s3, v2
	v_subb_co_u32_e32 v3, vcc, v3, v4, vcc
	v_lshlrev_b64 v[4:5], 2, v[2:3]
	v_mov_b32_e32 v2, s17
	v_add_co_u32_e32 v3, vcc, s16, v4
	v_addc_co_u32_e32 v6, vcc, v5, v2, vcc
	v_add_co_u32_e32 v2, vcc, 8, v3
	v_addc_co_u32_e32 v3, vcc, 0, v6, vcc
	v_mov_b32_e32 v6, s19
	v_add_co_u32_e32 v4, vcc, s18, v4
	v_addc_co_u32_e32 v5, vcc, v5, v6, vcc
	v_add_co_u32_e32 v4, vcc, 4, v4
	v_mad_u64_u32 v[8:9], s[2:3], v0, 36, s[14:15]
	v_addc_co_u32_e32 v5, vcc, 0, v5, vcc
	v_mov_b32_e32 v10, v9
	v_lshlrev_b64 v[12:13], 2, v[0:1]
	v_mad_u64_u32 v[10:11], s[2:3], v1, 36, v[10:11]
	v_mov_b32_e32 v9, s13
	v_add_co_u32_e32 v12, vcc, s12, v12
	v_lshlrev_b32_e32 v6, 2, v25
	v_mov_b32_e32 v7, v10
	v_lshlrev_b32_e32 v10, 2, v24
	v_addc_co_u32_e32 v13, vcc, v9, v13, vcc
	s_mov_b64 s[2:3], 0
	v_mov_b32_e32 v14, s29
	s_movk_i32 s4, 0x300
.LBB15_12:                              ; =>This Inner Loop Header: Depth=1
	v_add_co_u32_e32 v11, vcc, v8, v10
	v_addc_co_u32_e32 v15, vcc, 0, v7, vcc
	v_add_co_u32_e32 v20, vcc, v8, v6
	v_addc_co_u32_e32 v21, vcc, 0, v7, vcc
	v_cndmask_b32_e64 v17, v15, v21, s[0:1]
	v_cndmask_b32_e64 v16, v11, v20, s[0:1]
	global_load_dword v16, v[16:17], off
	v_add_co_u32_e32 v17, vcc, 4, v20
	v_addc_co_u32_e32 v18, vcc, 0, v21, vcc
	v_add_co_u32_e32 v22, vcc, 12, v11
	v_addc_co_u32_e32 v19, vcc, 0, v15, vcc
	v_cndmask_b32_e64 v19, v19, v18, s[0:1]
	v_cndmask_b32_e64 v18, v22, v17, s[0:1]
	global_load_dword v17, v[18:19], off
	v_add_co_u32_e32 v18, vcc, 8, v20
	global_load_dword v9, v[12:13], off
	v_addc_co_u32_e32 v19, vcc, 0, v21, vcc
	v_add_co_u32_e32 v11, vcc, 24, v11
	v_addc_co_u32_e32 v15, vcc, 0, v15, vcc
	v_cndmask_b32_e64 v19, v15, v19, s[0:1]
	v_cndmask_b32_e64 v18, v11, v18, s[0:1]
	global_load_dword v18, v[18:19], off
	v_add_co_u32_e32 v0, vcc, 64, v0
	v_addc_co_u32_e32 v1, vcc, 0, v1, vcc
	v_cmp_le_i64_e32 vcc, s[10:11], v[0:1]
	s_or_b64 s[2:3], vcc, s[2:3]
	s_waitcnt vmcnt(1)
	v_subrev_u32_e32 v9, s28, v9
	v_mad_u64_u32 v[20:21], s[6:7], v9, 3, v[14:15]
	v_add_u32_e32 v22, 2, v20
	v_add_u32_e32 v21, 1, v20
	global_store_dwordx3 v[4:5], v[20:22], off offset:-4
	s_waitcnt vmcnt(1)
	global_store_dwordx3 v[2:3], v[16:18], off offset:-8
	v_add_co_u32_e32 v2, vcc, s4, v2
	v_addc_co_u32_e32 v3, vcc, 0, v3, vcc
	v_add_co_u32_e32 v4, vcc, s4, v4
	v_addc_co_u32_e32 v5, vcc, 0, v5, vcc
	;; [unrolled: 2-line block ×4, first 2 shown]
	s_andn2_b64 exec, exec, s[2:3]
	s_cbranch_execnz .LBB15_12
.LBB15_13:
	s_endpgm
	.section	.rodata,"a",@progbits
	.p2align	6, 0x0
	.amdhsa_kernel _ZN9rocsparseL32bsr2csr_block_per_row_2_7_kernelILj256ELj3EiliEEv20rocsparse_direction_T3_S2_21rocsparse_index_base_PKT1_PKT2_PKS2_S2_S3_PS4_PS7_PS2_
		.amdhsa_group_segment_fixed_size 0
		.amdhsa_private_segment_fixed_size 0
		.amdhsa_kernarg_size 72
		.amdhsa_user_sgpr_count 6
		.amdhsa_user_sgpr_private_segment_buffer 1
		.amdhsa_user_sgpr_dispatch_ptr 0
		.amdhsa_user_sgpr_queue_ptr 0
		.amdhsa_user_sgpr_kernarg_segment_ptr 1
		.amdhsa_user_sgpr_dispatch_id 0
		.amdhsa_user_sgpr_flat_scratch_init 0
		.amdhsa_user_sgpr_kernarg_preload_length 0
		.amdhsa_user_sgpr_kernarg_preload_offset 0
		.amdhsa_user_sgpr_private_segment_size 0
		.amdhsa_uses_dynamic_stack 0
		.amdhsa_system_sgpr_private_segment_wavefront_offset 0
		.amdhsa_system_sgpr_workgroup_id_x 1
		.amdhsa_system_sgpr_workgroup_id_y 0
		.amdhsa_system_sgpr_workgroup_id_z 0
		.amdhsa_system_sgpr_workgroup_info 0
		.amdhsa_system_vgpr_workitem_id 0
		.amdhsa_next_free_vgpr 62
		.amdhsa_next_free_sgpr 38
		.amdhsa_accum_offset 64
		.amdhsa_reserve_vcc 1
		.amdhsa_reserve_flat_scratch 0
		.amdhsa_float_round_mode_32 0
		.amdhsa_float_round_mode_16_64 0
		.amdhsa_float_denorm_mode_32 3
		.amdhsa_float_denorm_mode_16_64 3
		.amdhsa_dx10_clamp 1
		.amdhsa_ieee_mode 1
		.amdhsa_fp16_overflow 0
		.amdhsa_tg_split 0
		.amdhsa_exception_fp_ieee_invalid_op 0
		.amdhsa_exception_fp_denorm_src 0
		.amdhsa_exception_fp_ieee_div_zero 0
		.amdhsa_exception_fp_ieee_overflow 0
		.amdhsa_exception_fp_ieee_underflow 0
		.amdhsa_exception_fp_ieee_inexact 0
		.amdhsa_exception_int_div_zero 0
	.end_amdhsa_kernel
	.section	.text._ZN9rocsparseL32bsr2csr_block_per_row_2_7_kernelILj256ELj3EiliEEv20rocsparse_direction_T3_S2_21rocsparse_index_base_PKT1_PKT2_PKS2_S2_S3_PS4_PS7_PS2_,"axG",@progbits,_ZN9rocsparseL32bsr2csr_block_per_row_2_7_kernelILj256ELj3EiliEEv20rocsparse_direction_T3_S2_21rocsparse_index_base_PKT1_PKT2_PKS2_S2_S3_PS4_PS7_PS2_,comdat
.Lfunc_end15:
	.size	_ZN9rocsparseL32bsr2csr_block_per_row_2_7_kernelILj256ELj3EiliEEv20rocsparse_direction_T3_S2_21rocsparse_index_base_PKT1_PKT2_PKS2_S2_S3_PS4_PS7_PS2_, .Lfunc_end15-_ZN9rocsparseL32bsr2csr_block_per_row_2_7_kernelILj256ELj3EiliEEv20rocsparse_direction_T3_S2_21rocsparse_index_base_PKT1_PKT2_PKS2_S2_S3_PS4_PS7_PS2_
                                        ; -- End function
	.section	.AMDGPU.csdata,"",@progbits
; Kernel info:
; codeLenInByte = 2488
; NumSgprs: 42
; NumVgprs: 62
; NumAgprs: 0
; TotalNumVgprs: 62
; ScratchSize: 0
; MemoryBound: 0
; FloatMode: 240
; IeeeMode: 1
; LDSByteSize: 0 bytes/workgroup (compile time only)
; SGPRBlocks: 5
; VGPRBlocks: 7
; NumSGPRsForWavesPerEU: 42
; NumVGPRsForWavesPerEU: 62
; AccumOffset: 64
; Occupancy: 8
; WaveLimiterHint : 1
; COMPUTE_PGM_RSRC2:SCRATCH_EN: 0
; COMPUTE_PGM_RSRC2:USER_SGPR: 6
; COMPUTE_PGM_RSRC2:TRAP_HANDLER: 0
; COMPUTE_PGM_RSRC2:TGID_X_EN: 1
; COMPUTE_PGM_RSRC2:TGID_Y_EN: 0
; COMPUTE_PGM_RSRC2:TGID_Z_EN: 0
; COMPUTE_PGM_RSRC2:TIDIG_COMP_CNT: 0
; COMPUTE_PGM_RSRC3_GFX90A:ACCUM_OFFSET: 15
; COMPUTE_PGM_RSRC3_GFX90A:TG_SPLIT: 0
	.section	.text._ZN9rocsparseL32bsr2csr_block_per_row_2_7_kernelILj256ELj4EiliEEv20rocsparse_direction_T3_S2_21rocsparse_index_base_PKT1_PKT2_PKS2_S2_S3_PS4_PS7_PS2_,"axG",@progbits,_ZN9rocsparseL32bsr2csr_block_per_row_2_7_kernelILj256ELj4EiliEEv20rocsparse_direction_T3_S2_21rocsparse_index_base_PKT1_PKT2_PKS2_S2_S3_PS4_PS7_PS2_,comdat
	.globl	_ZN9rocsparseL32bsr2csr_block_per_row_2_7_kernelILj256ELj4EiliEEv20rocsparse_direction_T3_S2_21rocsparse_index_base_PKT1_PKT2_PKS2_S2_S3_PS4_PS7_PS2_ ; -- Begin function _ZN9rocsparseL32bsr2csr_block_per_row_2_7_kernelILj256ELj4EiliEEv20rocsparse_direction_T3_S2_21rocsparse_index_base_PKT1_PKT2_PKS2_S2_S3_PS4_PS7_PS2_
	.p2align	8
	.type	_ZN9rocsparseL32bsr2csr_block_per_row_2_7_kernelILj256ELj4EiliEEv20rocsparse_direction_T3_S2_21rocsparse_index_base_PKT1_PKT2_PKS2_S2_S3_PS4_PS7_PS2_,@function
_ZN9rocsparseL32bsr2csr_block_per_row_2_7_kernelILj256ELj4EiliEEv20rocsparse_direction_T3_S2_21rocsparse_index_base_PKT1_PKT2_PKS2_S2_S3_PS4_PS7_PS2_: ; @_ZN9rocsparseL32bsr2csr_block_per_row_2_7_kernelILj256ELj4EiliEEv20rocsparse_direction_T3_S2_21rocsparse_index_base_PKT1_PKT2_PKS2_S2_S3_PS4_PS7_PS2_
; %bb.0:
	s_load_dwordx2 s[2:3], s[4:5], 0x18
	s_load_dword s14, s[4:5], 0x2c
	s_load_dwordx2 s[0:1], s[4:5], 0x38
	s_ashr_i32 s7, s6, 31
	s_lshl_b64 s[8:9], s[6:7], 3
	s_waitcnt lgkmcnt(0)
	s_add_u32 s2, s2, s8
	s_addc_u32 s3, s3, s9
	s_load_dwordx4 s[16:19], s[2:3], 0x0
	v_or_b32_e32 v1, s6, v0
	s_mov_b32 s21, 0
	v_cmp_eq_u32_e32 vcc, 0, v1
	s_and_saveexec_b64 s[2:3], vcc
	s_cbranch_execz .LBB16_2
; %bb.1:
	s_mov_b32 s15, s21
	v_mov_b32_e32 v1, 0
	v_pk_mov_b32 v[2:3], s[14:15], s[14:15] op_sel:[0,1]
	global_store_dwordx2 v1, v[2:3], s[0:1]
.LBB16_2:
	s_or_b64 exec, exec, s[2:3]
	s_load_dword s20, s[4:5], 0xc
	v_and_b32_e32 v2, 3, v0
	v_lshrrev_b32_e32 v6, 2, v0
	v_mov_b32_e32 v5, 0
	s_waitcnt lgkmcnt(0)
	s_sub_u32 s30, s16, s20
	s_subb_u32 s31, s17, 0
	s_sub_u32 s18, s18, s20
	s_subb_u32 s19, s19, 0
	s_lshl_b64 s[8:9], s[30:31], 4
	s_sub_u32 s10, s18, s30
	s_subb_u32 s11, s19, s31
	s_lshl_b64 s[2:3], s[10:11], 2
	v_mov_b32_e32 v0, s10
	v_alignbit_b32 v0, s11, v0, 30
	v_pk_mov_b32 v[8:9], s[8:9], s[8:9] op_sel:[0,1]
	s_add_u32 s7, s2, s14
	v_mul_lo_u32 v0, v0, v2
	v_mad_u64_u32 v[18:19], s[8:9], s2, v2, v[8:9]
	s_addc_u32 s3, s3, 0
	v_add_u32_e32 v19, v0, v19
	v_mov_b32_e32 v1, s3
	v_add_co_u32_e32 v8, vcc, s7, v18
	v_addc_co_u32_e32 v9, vcc, v1, v19, vcc
	v_lshl_or_b32 v1, s6, 2, v2
	v_add_u32_e32 v4, 1, v1
	v_lshlrev_b64 v[4:5], 3, v[4:5]
	v_mov_b32_e32 v1, s1
	v_add_co_u32_e32 v4, vcc, s0, v4
	v_addc_co_u32_e32 v5, vcc, v1, v5, vcc
	global_store_dwordx2 v[4:5], v[8:9], off
	v_mov_b32_e32 v1, s31
	v_add_co_u32_e32 v4, vcc, s30, v6
	v_addc_co_u32_e32 v5, vcc, 0, v1, vcc
	v_cmp_gt_i64_e32 vcc, s[18:19], v[4:5]
	s_and_saveexec_b64 s[0:1], vcc
	s_cbranch_execz .LBB16_22
; %bb.3:
	s_load_dwordx2 s[34:35], s[4:5], 0x20
	s_load_dwordx2 s[26:27], s[4:5], 0x30
	;; [unrolled: 1-line block ×4, first 2 shown]
	s_load_dword s3, s[4:5], 0x0
	v_mov_b32_e32 v1, s17
	v_add_co_u32_e32 v3, vcc, s16, v6
	v_addc_co_u32_e32 v1, vcc, 0, v1, vcc
	v_mov_b32_e32 v7, s21
	v_subrev_co_u32_e32 v3, vcc, s20, v3
	v_mad_u64_u32 v[20:21], s[0:1], s2, v2, 0
	s_waitcnt lgkmcnt(0)
	s_cmp_eq_u32 s3, 0
	v_subb_co_u32_e32 v1, vcc, v1, v7, vcc
	s_cselect_b64 s[0:1], -1, 0
	s_cmp_lg_u32 s3, 0
	v_add_co_u32_e32 v8, vcc, 64, v3
	s_cselect_b64 s[28:29], -1, 0
	v_addc_co_u32_e32 v9, vcc, 0, v1, vcc
	s_not_b64 s[2:3], s[16:17]
	v_cmp_lt_i64_e32 vcc, s[18:19], v[8:9]
	v_mov_b32_e32 v3, s18
	s_add_u32 s2, s2, s20
	v_mov_b32_e32 v1, s19
	v_cndmask_b32_e32 v3, v3, v8, vcc
	s_addc_u32 s3, s3, 0
	v_cndmask_b32_e32 v1, v1, v9, vcc
	v_mov_b32_e32 v7, s3
	v_add_co_u32_e32 v3, vcc, s2, v3
	v_addc_co_u32_e32 v1, vcc, v7, v1, vcc
	v_sub_co_u32_e32 v10, vcc, v3, v6
	v_subbrev_co_u32_e32 v11, vcc, 0, v1, vcc
	s_mov_b64 s[2:3], 0xcc0
	v_cmp_gt_u64_e64 s[36:37], s[2:3], v[10:11]
	s_mov_b64 s[2:3], 0xcbf
	v_add_u32_e32 v21, v21, v0
	s_mov_b32 s4, 0
	v_lshlrev_b32_e32 v0, 2, v2
	v_cmp_lt_u64_e32 vcc, s[2:3], v[10:11]
	s_and_saveexec_b64 s[38:39], vcc
	s_cbranch_execz .LBB16_9
; %bb.4:
	v_lshlrev_b64 v[12:13], 2, v[20:21]
	s_lshl_b64 s[2:3], s[16:17], 6
	v_mov_b32_e32 v1, s3
	v_add_co_u32_e32 v3, vcc, s2, v12
	v_addc_co_u32_e32 v1, vcc, v13, v1, vcc
	v_lshlrev_b32_e32 v6, 4, v6
	v_add_co_u32_e32 v3, vcc, v3, v6
	v_addc_co_u32_e32 v1, vcc, 0, v1, vcc
	s_lshl_b64 s[2:3], s[20:21], 6
	v_mov_b32_e32 v6, s3
	v_subrev_co_u32_e32 v3, vcc, s2, v3
	v_subb_co_u32_e32 v1, vcc, v1, v6, vcc
	v_mov_b32_e32 v7, s25
	v_add_co_u32_e32 v6, vcc, s24, v3
	v_addc_co_u32_e32 v7, vcc, v7, v1, vcc
	v_lshrrev_b64 v[8:9], 6, v[10:11]
	v_add_co_u32_e32 v12, vcc, 8, v6
	v_addc_co_u32_e32 v13, vcc, 0, v7, vcc
	v_lshlrev_b64 v[14:15], 10, v[8:9]
	v_add_co_u32_e32 v16, vcc, v6, v14
	v_addc_co_u32_e32 v17, vcc, v7, v15, vcc
	v_add_co_u32_e32 v22, vcc, 8, v16
	v_addc_co_u32_e32 v23, vcc, 0, v17, vcc
	v_cmp_ge_u64_e32 vcc, v[22:23], v[12:13]
	v_add_co_u32_e64 v12, s[2:3], 12, v6
	v_addc_co_u32_e64 v13, s[2:3], 0, v7, s[2:3]
	s_brev_b32 s5, 8
	v_cmp_gt_u64_e64 s[2:3], s[4:5], v[10:11]
	v_add_co_u32_e64 v10, s[4:5], 12, v16
	v_addc_co_u32_e64 v11, s[4:5], 0, v17, s[4:5]
	v_cmp_ge_u64_e64 s[4:5], v[10:11], v[12:13]
	s_and_b64 s[40:41], s[4:5], vcc
	v_add_co_u32_e32 v10, vcc, 4, v6
	v_addc_co_u32_e32 v11, vcc, 0, v7, vcc
	v_add_co_u32_e32 v12, vcc, 4, v16
	v_cmp_ge_u64_e64 s[4:5], v[16:17], v[6:7]
	v_mov_b32_e32 v7, s27
	v_add_co_u32_e64 v6, s[6:7], s26, v3
	v_addc_co_u32_e32 v13, vcc, 0, v17, vcc
	v_addc_co_u32_e64 v7, s[6:7], v7, v1, s[6:7]
	v_cmp_ge_u64_e32 vcc, v[12:13], v[10:11]
	v_add_co_u32_e64 v10, s[6:7], 8, v6
	v_addc_co_u32_e64 v11, s[6:7], 0, v7, s[6:7]
	v_add_co_u32_e64 v12, s[6:7], v6, v14
	v_addc_co_u32_e64 v13, s[6:7], v7, v15, s[6:7]
	;; [unrolled: 2-line block ×3, first 2 shown]
	v_cmp_ge_u64_e64 s[6:7], v[14:15], v[10:11]
	v_add_co_u32_e64 v10, s[8:9], 12, v6
	v_addc_co_u32_e64 v11, s[8:9], 0, v7, s[8:9]
	v_add_co_u32_e64 v14, s[8:9], 12, v12
	v_addc_co_u32_e64 v15, s[8:9], 0, v13, s[8:9]
	v_cmp_ge_u64_e64 s[8:9], v[14:15], v[10:11]
	v_add_co_u32_e64 v10, s[10:11], 4, v6
	s_and_b64 s[2:3], s[40:41], s[2:3]
	v_addc_co_u32_e64 v11, s[10:11], 0, v7, s[10:11]
	s_and_b64 s[2:3], vcc, s[2:3]
	v_add_co_u32_e64 v14, s[10:11], 4, v12
	s_and_b64 s[2:3], s[4:5], s[2:3]
	v_addc_co_u32_e64 v15, s[10:11], 0, v13, s[10:11]
	s_and_b64 s[2:3], s[6:7], s[2:3]
	v_cmp_ge_u64_e64 s[10:11], v[14:15], v[10:11]
	s_and_b64 s[2:3], s[8:9], s[2:3]
	v_cmp_ge_u64_e64 s[12:13], v[12:13], v[6:7]
	s_and_b64 s[2:3], s[10:11], s[2:3]
	s_and_b64 s[6:7], s[12:13], s[2:3]
	s_mov_b64 s[2:3], -1
	s_and_saveexec_b64 s[4:5], s[6:7]
	s_cbranch_execz .LBB16_8
; %bb.5:
	v_add_co_u32_e32 v22, vcc, 1, v8
	v_addc_co_u32_e32 v23, vcc, 0, v9, vcc
	s_add_u32 s8, s22, 4
	v_add_co_u32_e32 v6, vcc, 64, v4
	s_addc_u32 s9, s23, 0
	v_addc_co_u32_e32 v7, vcc, 0, v5, vcc
	v_lshlrev_b64 v[14:15], 2, v[4:5]
	s_add_u32 s10, s22, 8
	v_mov_b32_e32 v1, s35
	v_add_co_u32_e32 v9, vcc, s34, v14
	s_addc_u32 s11, s23, 0
	v_addc_co_u32_e32 v1, vcc, v15, v1, vcc
	s_movk_i32 s2, 0x100
	s_add_u32 s12, s22, 12
	v_and_b32_e32 v24, -2, v22
	v_mov_b32_e32 v25, v23
	v_add_co_u32_e32 v26, vcc, s2, v9
	v_pk_mov_b32 v[16:17], v[6:7], v[6:7] op_sel:[0,1]
	s_addc_u32 s13, s23, 0
	s_mov_b32 s15, s20
	s_mov_b32 s21, s30
	;; [unrolled: 1-line block ×3, first 2 shown]
	v_mov_b32_e32 v8, v18
	v_mov_b32_e32 v3, v19
	s_mov_b32 s40, s14
	v_mov_b32_e32 v10, v0
	v_mov_b32_e32 v12, v2
	v_addc_co_u32_e32 v27, vcc, 0, v1, vcc
	s_mov_b64 s[6:7], 0
	s_movk_i32 s41, 0x80
	v_pk_mov_b32 v[28:29], v[24:25], v[24:25] op_sel:[0,1]
	v_pk_mov_b32 v[14:15], v[4:5], v[4:5] op_sel:[0,1]
.LBB16_6:                               ; =>This Inner Loop Header: Depth=1
	global_load_dword v1, v[26:27], off offset:-256
	global_load_dword v9, v[26:27], off
	v_mov_b32_e32 v7, s31
	v_subrev_co_u32_e64 v34, s[2:3], s30, v14
	v_mov_b32_e32 v11, s33
	v_subrev_co_u32_e32 v6, vcc, s21, v16
	v_subb_co_u32_e64 v35, s[2:3], v15, v7, s[2:3]
	v_subb_co_u32_e32 v7, vcc, v17, v11, vcc
	v_lshlrev_b64 v[34:35], 2, v[34:35]
	v_add_co_u32_e32 v34, vcc, v34, v18
	v_lshlrev_b64 v[6:7], 2, v[6:7]
	v_addc_co_u32_e32 v35, vcc, v35, v19, vcc
	v_add_co_u32_e32 v6, vcc, v6, v8
	v_addc_co_u32_e32 v7, vcc, v7, v3, vcc
	v_lshlrev_b64 v[38:39], 2, v[34:35]
	v_mov_b32_e32 v13, s25
	v_add_co_u32_e32 v46, vcc, s24, v38
	v_lshlrev_b64 v[40:41], 2, v[6:7]
	v_addc_co_u32_e32 v47, vcc, v13, v39, vcc
	v_or_b32_e32 v44, 1, v34
	v_mov_b32_e32 v45, v35
	v_add_co_u32_e32 v48, vcc, s24, v40
	v_addc_co_u32_e32 v49, vcc, v13, v41, vcc
	v_lshlrev_b64 v[44:45], 2, v[44:45]
	v_or_b32_e32 v42, 1, v6
	v_mov_b32_e32 v43, v7
	v_lshlrev_b64 v[32:33], 4, v[14:15]
	v_lshlrev_b64 v[42:43], 2, v[42:43]
	v_or_b32_e32 v37, 0, v33
	v_or_b32_e32 v36, v32, v0
	;; [unrolled: 1-line block ×4, first 2 shown]
	v_lshlrev_b64 v[30:31], 4, v[16:17]
	v_mov_b32_e32 v52, s23
	v_add_co_u32_e64 v28, s[2:3], -2, v28
	v_addc_co_u32_e64 v29, s[2:3], -1, v29, s[2:3]
	v_cmp_eq_u64_e64 s[2:3], 0, v[28:29]
	s_or_b64 s[6:7], s[2:3], s[6:7]
	s_waitcnt vmcnt(1)
	v_subrev_u32_e32 v1, s20, v1
	v_lshl_add_u32 v1, v1, 2, s14
	global_store_dword v[46:47], v1, off
	v_add_co_u32_e32 v46, vcc, s24, v44
	s_waitcnt vmcnt(1)
	v_subrev_u32_e32 v9, s15, v9
	v_addc_co_u32_e32 v47, vcc, v13, v45, vcc
	v_lshl_add_u32 v9, v9, 2, s40
	v_add_u32_e32 v11, 1, v1
	global_store_dword v[48:49], v9, off
	global_store_dword v[46:47], v11, off
	v_add_co_u32_e32 v46, vcc, s24, v42
	v_addc_co_u32_e32 v47, vcc, v13, v43, vcc
	v_add_u32_e32 v11, 1, v9
	v_cndmask_b32_e64 v49, v33, v37, s[0:1]
	v_cndmask_b32_e64 v48, v32, v36, s[0:1]
	global_store_dword v[46:47], v11, off
	v_or_b32_e32 v47, 0, v31
	v_or_b32_e32 v46, v30, v10
	;; [unrolled: 1-line block ×4, first 2 shown]
	v_lshlrev_b64 v[48:49], 2, v[48:49]
	v_add_co_u32_e32 v48, vcc, s22, v48
	v_cndmask_b32_e64 v51, v31, v47, s[0:1]
	v_cndmask_b32_e64 v50, v30, v46, s[0:1]
	v_addc_co_u32_e32 v49, vcc, v52, v49, vcc
	v_lshlrev_b64 v[50:51], 2, v[50:51]
	v_add_co_u32_e32 v50, vcc, s22, v50
	v_addc_co_u32_e32 v51, vcc, v52, v51, vcc
	global_load_dword v53, v[48:49], off
	global_load_dword v54, v[50:51], off
	v_mov_b32_e32 v11, s27
	v_add_co_u32_e32 v38, vcc, s26, v38
	v_addc_co_u32_e32 v39, vcc, v11, v39, vcc
	v_lshlrev_b64 v[32:33], 2, v[32:33]
	v_lshlrev_b64 v[30:31], 2, v[30:31]
	;; [unrolled: 1-line block ×3, first 2 shown]
	v_mov_b32_e32 v48, s9
	s_waitcnt vmcnt(1)
	global_store_dword v[38:39], v53, off
	v_lshlrev_b64 v[38:39], 2, v[46:47]
	v_add_co_u32_e32 v46, vcc, s22, v32
	v_addc_co_u32_e32 v47, vcc, v52, v33, vcc
	v_add_co_u32_e32 v49, vcc, s22, v30
	v_addc_co_u32_e32 v50, vcc, v52, v31, vcc
	;; [unrolled: 2-line block ×4, first 2 shown]
	s_waitcnt vmcnt(1)
	global_store_dword v[30:31], v54, off
	v_add_co_u32_e32 v30, vcc, s8, v38
	v_addc_co_u32_e32 v31, vcc, v48, v39, vcc
	v_add_co_u32_e32 v40, vcc, 16, v49
	v_addc_co_u32_e32 v41, vcc, 0, v50, vcc
	v_cndmask_b32_e64 v30, v40, v30, s[0:1]
	v_add_co_u32_e32 v40, vcc, 16, v46
	v_cndmask_b32_e64 v31, v41, v31, s[0:1]
	v_addc_co_u32_e32 v41, vcc, 0, v47, vcc
	v_cndmask_b32_e64 v33, v41, v33, s[0:1]
	v_cndmask_b32_e64 v32, v40, v32, s[0:1]
	global_load_dword v48, v[32:33], off
	global_load_dword v51, v[30:31], off
	v_or_b32_e32 v30, 2, v34
	v_mov_b32_e32 v31, v35
	v_lshlrev_b64 v[30:31], 2, v[30:31]
	v_add_co_u32_e32 v32, vcc, s24, v30
	v_addc_co_u32_e32 v33, vcc, v13, v31, vcc
	v_add_u32_e32 v40, 2, v1
	global_store_dword v[32:33], v40, off
	v_or_b32_e32 v32, 2, v6
	v_mov_b32_e32 v33, v7
	v_lshlrev_b64 v[32:33], 2, v[32:33]
	v_add_co_u32_e32 v40, vcc, s24, v32
	v_addc_co_u32_e32 v41, vcc, v13, v33, vcc
	v_add_u32_e32 v52, 2, v9
	global_store_dword v[40:41], v52, off
	v_add_co_u32_e32 v40, vcc, s26, v44
	v_addc_co_u32_e32 v41, vcc, v11, v45, vcc
	v_mov_b32_e32 v44, s11
	v_or_b32_e32 v34, 3, v34
	v_lshlrev_b64 v[34:35], 2, v[34:35]
	v_or_b32_e32 v6, 3, v6
	v_lshlrev_b64 v[6:7], 2, v[6:7]
	v_add_u32_e32 v1, 3, v1
	v_add_u32_e32 v9, 3, v9
	s_waitcnt vmcnt(3)
	global_store_dword v[40:41], v48, off
	v_add_co_u32_e32 v40, vcc, s26, v42
	v_addc_co_u32_e32 v41, vcc, v11, v43, vcc
	v_add_co_u32_e32 v42, vcc, s10, v36
	v_addc_co_u32_e32 v43, vcc, v44, v37, vcc
	s_waitcnt vmcnt(3)
	global_store_dword v[40:41], v51, off
	v_add_co_u32_e32 v40, vcc, s10, v38
	v_addc_co_u32_e32 v41, vcc, v44, v39, vcc
	v_add_co_u32_e32 v44, vcc, 32, v49
	v_addc_co_u32_e32 v45, vcc, 0, v50, vcc
	v_cndmask_b32_e64 v40, v44, v40, s[0:1]
	v_add_co_u32_e32 v44, vcc, 32, v46
	v_cndmask_b32_e64 v41, v45, v41, s[0:1]
	v_addc_co_u32_e32 v45, vcc, 0, v47, vcc
	v_cndmask_b32_e64 v43, v45, v43, s[0:1]
	v_cndmask_b32_e64 v42, v44, v42, s[0:1]
	global_load_dword v44, v[42:43], off
	global_load_dword v45, v[40:41], off
	v_mov_b32_e32 v40, s13
	v_add_co_u32_e32 v41, vcc, s12, v36
	v_addc_co_u32_e32 v42, vcc, v40, v37, vcc
	v_add_co_u32_e32 v36, vcc, s12, v38
	v_addc_co_u32_e32 v37, vcc, v40, v39, vcc
	;; [unrolled: 2-line block ×6, first 2 shown]
	v_cndmask_b32_e64 v36, v40, v36, s[0:1]
	v_add_co_u32_e32 v40, vcc, s24, v34
	v_cndmask_b32_e64 v38, v38, v41, s[0:1]
	v_addc_co_u32_e32 v41, vcc, v13, v35, vcc
	v_cndmask_b32_e64 v39, v39, v42, s[0:1]
	v_add_co_u32_e32 v42, vcc, s24, v6
	v_cndmask_b32_e64 v37, v43, v37, s[0:1]
	v_addc_co_u32_e32 v43, vcc, v13, v7, vcc
	global_store_dword v[40:41], v1, off
	global_store_dword v[42:43], v9, off
	s_waitcnt vmcnt(3)
	global_store_dword v[30:31], v44, off
	s_waitcnt vmcnt(3)
	global_store_dword v[32:33], v45, off
	global_load_dword v1, v[38:39], off
	global_load_dword v9, v[36:37], off
	v_add_co_u32_e32 v16, vcc, s41, v16
	v_addc_co_u32_e32 v17, vcc, 0, v17, vcc
	v_add_co_u32_e32 v14, vcc, s41, v14
	v_addc_co_u32_e32 v15, vcc, 0, v15, vcc
	;; [unrolled: 2-line block ×5, first 2 shown]
	s_waitcnt vmcnt(1)
	global_store_dword v[30:31], v1, off
	s_waitcnt vmcnt(1)
	global_store_dword v[6:7], v9, off
	s_andn2_b64 exec, exec, s[6:7]
	s_cbranch_execnz .LBB16_6
; %bb.7:
	s_or_b64 exec, exec, s[6:7]
	v_lshlrev_b64 v[6:7], 6, v[24:25]
	v_add_co_u32_e32 v4, vcc, v4, v6
	v_addc_co_u32_e32 v5, vcc, v5, v7, vcc
	v_cmp_ne_u64_e32 vcc, v[22:23], v[24:25]
	s_orn2_b64 s[2:3], vcc, exec
.LBB16_8:
	s_or_b64 exec, exec, s[4:5]
	s_andn2_b64 s[4:5], s[36:37], exec
	s_and_b64 s[2:3], s[2:3], exec
	s_or_b64 s[36:37], s[4:5], s[2:3]
.LBB16_9:
	s_or_b64 exec, exec, s[38:39]
	s_and_b64 exec, exec, s[36:37]
	s_cbranch_execz .LBB16_22
; %bb.10:
	v_lshlrev_b64 v[8:9], 2, v[4:5]
	v_mov_b32_e32 v1, s35
	v_add_co_u32_e32 v6, vcc, s34, v8
	v_lshlrev_b64 v[10:11], 4, v[4:5]
	v_addc_co_u32_e32 v7, vcc, v1, v9, vcc
	v_or_b32_e32 v12, v10, v2
	v_or_b32_e32 v10, v10, v0
	v_mad_u64_u32 v[0:1], s[2:3], s16, 12, v[20:21]
	v_mov_b32_e32 v14, v1
	v_mad_u64_u32 v[14:15], s[2:3], s17, 12, v[14:15]
	v_mov_b32_e32 v1, v14
	v_add_co_u32_e32 v0, vcc, v0, v8
	v_addc_co_u32_e32 v1, vcc, v1, v9, vcc
	s_mul_hi_u32 s2, s20, 12
	s_mul_i32 s3, s20, 12
	v_mov_b32_e32 v3, s2
	v_subrev_co_u32_e32 v0, vcc, s3, v0
	v_subb_co_u32_e32 v1, vcc, v1, v3, vcc
	v_lshlrev_b64 v[8:9], 2, v[0:1]
	v_mov_b32_e32 v0, s27
	v_add_co_u32_e32 v3, vcc, s26, v8
	v_addc_co_u32_e32 v18, vcc, v0, v9, vcc
	v_lshlrev_b64 v[0:1], 6, v[4:5]
	v_lshl_or_b32 v0, v2, 4, v0
	s_add_u32 s8, s22, 16
	v_mov_b32_e32 v14, s23
	v_add_co_u32_e32 v0, vcc, s22, v0
	s_addc_u32 s9, s23, 0
	v_addc_co_u32_e32 v1, vcc, v1, v14, vcc
	s_add_u32 s10, s22, 32
	v_add_co_u32_e32 v0, vcc, 8, v0
	s_addc_u32 s11, s23, 0
	v_addc_co_u32_e32 v1, vcc, 0, v1, vcc
	s_add_u32 s12, s22, 48
	v_mov_b32_e32 v13, v11
	v_mov_b32_e32 v14, s25
	v_add_co_u32_e32 v19, vcc, s24, v8
	v_cndmask_b32_e64 v8, 0, 1, s[28:29]
	s_addc_u32 s13, s23, 0
	v_addc_co_u32_e32 v20, vcc, v14, v9, vcc
	s_mov_b64 s[4:5], 0
	v_cndmask_b32_e64 v21, v13, v11, s[0:1]
	v_cndmask_b32_e64 v22, v12, v10, s[0:1]
	v_mov_b32_e32 v23, s23
	v_cmp_ne_u32_e64 s[0:1], 1, v8
	s_mov_b64 s[6:7], 0
	s_branch .LBB16_12
.LBB16_11:                              ;   in Loop: Header=BB16_12 Depth=1
	global_load_dword v10, v[10:11], off
	v_add_co_u32_e32 v4, vcc, 64, v4
	v_addc_co_u32_e32 v5, vcc, 0, v5, vcc
	v_add_co_u32_e32 v6, vcc, 0x100, v6
	s_add_u32 s6, s6, 0x400
	v_addc_co_u32_e32 v7, vcc, 0, v7, vcc
	s_addc_u32 s7, s7, 0
	v_add_co_u32_e32 v0, vcc, 0x1000, v0
	v_cmp_le_i64_e64 s[2:3], s[18:19], v[4:5]
	s_or_b64 s[4:5], s[2:3], s[4:5]
	v_addc_co_u32_e32 v1, vcc, 0, v1, vcc
	s_waitcnt vmcnt(0)
	global_store_dword v[8:9], v10, off offset:12
	s_andn2_b64 exec, exec, s[4:5]
	s_cbranch_execz .LBB16_22
.LBB16_12:                              ; =>This Inner Loop Header: Depth=1
	v_mov_b32_e32 v15, s7
	v_add_co_u32_e32 v8, vcc, s6, v22
	global_load_dword v14, v[6:7], off
	v_addc_co_u32_e32 v9, vcc, v21, v15, vcc
	v_lshlrev_b64 v[8:9], 2, v[8:9]
	v_add_co_u32_e32 v8, vcc, s22, v8
	v_addc_co_u32_e32 v9, vcc, v23, v9, vcc
	global_load_dword v16, v[8:9], off
	v_add_co_u32_e64 v10, s[2:3], s6, v19
	v_lshlrev_b64 v[12:13], 4, v[4:5]
	v_addc_co_u32_e64 v11, s[2:3], v20, v15, s[2:3]
	v_or_b32_e32 v12, v12, v2
	v_add_co_u32_e64 v8, s[2:3], s6, v3
	s_and_b64 vcc, exec, s[0:1]
	v_addc_co_u32_e64 v9, s[2:3], v18, v15, s[2:3]
	v_lshlrev_b64 v[12:13], 2, v[12:13]
	s_waitcnt vmcnt(1)
	v_subrev_u32_e32 v14, s20, v14
	v_lshl_add_u32 v14, v14, 2, s14
	v_add_u32_e32 v15, 1, v14
	global_store_dwordx2 v[10:11], v[14:15], off
	s_waitcnt vmcnt(1)
	global_store_dword v[8:9], v16, off
	s_cbranch_vccnz .LBB16_14
; %bb.13:                               ;   in Loop: Header=BB16_12 Depth=1
	v_mov_b32_e32 v15, s9
	v_add_co_u32_e32 v16, vcc, s8, v12
	v_addc_co_u32_e32 v17, vcc, v15, v13, vcc
	s_cbranch_execz .LBB16_15
	s_branch .LBB16_16
.LBB16_14:                              ;   in Loop: Header=BB16_12 Depth=1
                                        ; implicit-def: $vgpr16_vgpr17
.LBB16_15:                              ;   in Loop: Header=BB16_12 Depth=1
	v_add_co_u32_e32 v16, vcc, -4, v0
	v_addc_co_u32_e32 v17, vcc, -1, v1, vcc
.LBB16_16:                              ;   in Loop: Header=BB16_12 Depth=1
	global_load_dword v15, v[16:17], off
	v_add_u32_e32 v16, 2, v14
	s_and_b64 vcc, exec, s[0:1]
	global_store_dword v[10:11], v16, off offset:8
	s_waitcnt vmcnt(1)
	global_store_dword v[8:9], v15, off offset:4
	v_pk_mov_b32 v[16:17], v[0:1], v[0:1] op_sel:[0,1]
	s_cbranch_vccnz .LBB16_18
; %bb.17:                               ;   in Loop: Header=BB16_12 Depth=1
	v_mov_b32_e32 v15, s11
	v_add_co_u32_e32 v16, vcc, s10, v12
	v_addc_co_u32_e32 v17, vcc, v15, v13, vcc
.LBB16_18:                              ;   in Loop: Header=BB16_12 Depth=1
	global_load_dword v15, v[16:17], off
	s_and_b64 vcc, exec, s[0:1]
	v_add_u32_e32 v14, 3, v14
	s_waitcnt vmcnt(0)
	global_store_dword v[8:9], v15, off offset:8
	global_store_dword v[10:11], v14, off offset:12
	s_cbranch_vccnz .LBB16_20
; %bb.19:                               ;   in Loop: Header=BB16_12 Depth=1
	v_mov_b32_e32 v11, s13
	v_add_co_u32_e32 v10, vcc, s12, v12
	v_addc_co_u32_e32 v11, vcc, v11, v13, vcc
	s_cbranch_execnz .LBB16_11
	s_branch .LBB16_21
.LBB16_20:                              ;   in Loop: Header=BB16_12 Depth=1
                                        ; implicit-def: $vgpr10_vgpr11
.LBB16_21:                              ;   in Loop: Header=BB16_12 Depth=1
	v_add_co_u32_e32 v10, vcc, 4, v0
	v_addc_co_u32_e32 v11, vcc, 0, v1, vcc
	s_branch .LBB16_11
.LBB16_22:
	s_endpgm
	.section	.rodata,"a",@progbits
	.p2align	6, 0x0
	.amdhsa_kernel _ZN9rocsparseL32bsr2csr_block_per_row_2_7_kernelILj256ELj4EiliEEv20rocsparse_direction_T3_S2_21rocsparse_index_base_PKT1_PKT2_PKS2_S2_S3_PS4_PS7_PS2_
		.amdhsa_group_segment_fixed_size 0
		.amdhsa_private_segment_fixed_size 0
		.amdhsa_kernarg_size 72
		.amdhsa_user_sgpr_count 6
		.amdhsa_user_sgpr_private_segment_buffer 1
		.amdhsa_user_sgpr_dispatch_ptr 0
		.amdhsa_user_sgpr_queue_ptr 0
		.amdhsa_user_sgpr_kernarg_segment_ptr 1
		.amdhsa_user_sgpr_dispatch_id 0
		.amdhsa_user_sgpr_flat_scratch_init 0
		.amdhsa_user_sgpr_kernarg_preload_length 0
		.amdhsa_user_sgpr_kernarg_preload_offset 0
		.amdhsa_user_sgpr_private_segment_size 0
		.amdhsa_uses_dynamic_stack 0
		.amdhsa_system_sgpr_private_segment_wavefront_offset 0
		.amdhsa_system_sgpr_workgroup_id_x 1
		.amdhsa_system_sgpr_workgroup_id_y 0
		.amdhsa_system_sgpr_workgroup_id_z 0
		.amdhsa_system_sgpr_workgroup_info 0
		.amdhsa_system_vgpr_workitem_id 0
		.amdhsa_next_free_vgpr 55
		.amdhsa_next_free_sgpr 42
		.amdhsa_accum_offset 56
		.amdhsa_reserve_vcc 1
		.amdhsa_reserve_flat_scratch 0
		.amdhsa_float_round_mode_32 0
		.amdhsa_float_round_mode_16_64 0
		.amdhsa_float_denorm_mode_32 3
		.amdhsa_float_denorm_mode_16_64 3
		.amdhsa_dx10_clamp 1
		.amdhsa_ieee_mode 1
		.amdhsa_fp16_overflow 0
		.amdhsa_tg_split 0
		.amdhsa_exception_fp_ieee_invalid_op 0
		.amdhsa_exception_fp_denorm_src 0
		.amdhsa_exception_fp_ieee_div_zero 0
		.amdhsa_exception_fp_ieee_overflow 0
		.amdhsa_exception_fp_ieee_underflow 0
		.amdhsa_exception_fp_ieee_inexact 0
		.amdhsa_exception_int_div_zero 0
	.end_amdhsa_kernel
	.section	.text._ZN9rocsparseL32bsr2csr_block_per_row_2_7_kernelILj256ELj4EiliEEv20rocsparse_direction_T3_S2_21rocsparse_index_base_PKT1_PKT2_PKS2_S2_S3_PS4_PS7_PS2_,"axG",@progbits,_ZN9rocsparseL32bsr2csr_block_per_row_2_7_kernelILj256ELj4EiliEEv20rocsparse_direction_T3_S2_21rocsparse_index_base_PKT1_PKT2_PKS2_S2_S3_PS4_PS7_PS2_,comdat
.Lfunc_end16:
	.size	_ZN9rocsparseL32bsr2csr_block_per_row_2_7_kernelILj256ELj4EiliEEv20rocsparse_direction_T3_S2_21rocsparse_index_base_PKT1_PKT2_PKS2_S2_S3_PS4_PS7_PS2_, .Lfunc_end16-_ZN9rocsparseL32bsr2csr_block_per_row_2_7_kernelILj256ELj4EiliEEv20rocsparse_direction_T3_S2_21rocsparse_index_base_PKT1_PKT2_PKS2_S2_S3_PS4_PS7_PS2_
                                        ; -- End function
	.section	.AMDGPU.csdata,"",@progbits
; Kernel info:
; codeLenInByte = 2732
; NumSgprs: 46
; NumVgprs: 55
; NumAgprs: 0
; TotalNumVgprs: 55
; ScratchSize: 0
; MemoryBound: 0
; FloatMode: 240
; IeeeMode: 1
; LDSByteSize: 0 bytes/workgroup (compile time only)
; SGPRBlocks: 5
; VGPRBlocks: 6
; NumSGPRsForWavesPerEU: 46
; NumVGPRsForWavesPerEU: 55
; AccumOffset: 56
; Occupancy: 8
; WaveLimiterHint : 1
; COMPUTE_PGM_RSRC2:SCRATCH_EN: 0
; COMPUTE_PGM_RSRC2:USER_SGPR: 6
; COMPUTE_PGM_RSRC2:TRAP_HANDLER: 0
; COMPUTE_PGM_RSRC2:TGID_X_EN: 1
; COMPUTE_PGM_RSRC2:TGID_Y_EN: 0
; COMPUTE_PGM_RSRC2:TGID_Z_EN: 0
; COMPUTE_PGM_RSRC2:TIDIG_COMP_CNT: 0
; COMPUTE_PGM_RSRC3_GFX90A:ACCUM_OFFSET: 13
; COMPUTE_PGM_RSRC3_GFX90A:TG_SPLIT: 0
	.section	.text._ZN9rocsparseL32bsr2csr_block_per_row_2_7_kernelILj256ELj5EiliEEv20rocsparse_direction_T3_S2_21rocsparse_index_base_PKT1_PKT2_PKS2_S2_S3_PS4_PS7_PS2_,"axG",@progbits,_ZN9rocsparseL32bsr2csr_block_per_row_2_7_kernelILj256ELj5EiliEEv20rocsparse_direction_T3_S2_21rocsparse_index_base_PKT1_PKT2_PKS2_S2_S3_PS4_PS7_PS2_,comdat
	.globl	_ZN9rocsparseL32bsr2csr_block_per_row_2_7_kernelILj256ELj5EiliEEv20rocsparse_direction_T3_S2_21rocsparse_index_base_PKT1_PKT2_PKS2_S2_S3_PS4_PS7_PS2_ ; -- Begin function _ZN9rocsparseL32bsr2csr_block_per_row_2_7_kernelILj256ELj5EiliEEv20rocsparse_direction_T3_S2_21rocsparse_index_base_PKT1_PKT2_PKS2_S2_S3_PS4_PS7_PS2_
	.p2align	8
	.type	_ZN9rocsparseL32bsr2csr_block_per_row_2_7_kernelILj256ELj5EiliEEv20rocsparse_direction_T3_S2_21rocsparse_index_base_PKT1_PKT2_PKS2_S2_S3_PS4_PS7_PS2_,@function
_ZN9rocsparseL32bsr2csr_block_per_row_2_7_kernelILj256ELj5EiliEEv20rocsparse_direction_T3_S2_21rocsparse_index_base_PKT1_PKT2_PKS2_S2_S3_PS4_PS7_PS2_: ; @_ZN9rocsparseL32bsr2csr_block_per_row_2_7_kernelILj256ELj5EiliEEv20rocsparse_direction_T3_S2_21rocsparse_index_base_PKT1_PKT2_PKS2_S2_S3_PS4_PS7_PS2_
; %bb.0:
	s_load_dwordx2 s[2:3], s[4:5], 0x18
	s_load_dword s27, s[4:5], 0x2c
	s_load_dwordx2 s[0:1], s[4:5], 0x38
	s_ashr_i32 s7, s6, 31
	s_lshl_b64 s[8:9], s[6:7], 3
	s_waitcnt lgkmcnt(0)
	s_add_u32 s2, s2, s8
	v_or_b32_e32 v1, s6, v0
	s_addc_u32 s3, s3, s9
	v_cmp_eq_u32_e32 vcc, 0, v1
	s_and_saveexec_b64 s[8:9], vcc
	s_cbranch_execz .LBB17_2
; %bb.1:
	v_mov_b32_e32 v2, s27
	v_mov_b32_e32 v3, 0
	global_store_dwordx2 v3, v[2:3], s[0:1]
.LBB17_2:
	s_or_b64 exec, exec, s[8:9]
	v_and_b32_e32 v40, 7, v0
	v_cmp_gt_u32_e32 vcc, 5, v40
	s_and_saveexec_b64 s[8:9], vcc
	s_cbranch_execz .LBB17_15
; %bb.3:
	s_load_dwordx4 s[8:11], s[2:3], 0x0
	s_load_dword s26, s[4:5], 0xc
	v_lshrrev_b32_e32 v2, 3, v0
	v_mov_b32_e32 v5, 0
	v_mov_b32_e32 v8, s1
	s_mov_b32 s2, 0
	s_waitcnt lgkmcnt(0)
	s_sub_u32 s30, s8, s26
	s_subb_u32 s31, s9, 0
	s_sub_u32 s10, s10, s26
	s_mul_i32 s3, s31, 25
	s_mul_hi_u32 s7, s30, 25
	s_subb_u32 s11, s11, 0
	s_add_i32 s7, s7, s3
	s_sub_u32 s29, s10, s30
	s_mul_i32 s3, s30, 25
	s_subb_u32 s28, s11, s31
	v_mov_b32_e32 v0, s3
	v_mov_b32_e32 v1, s7
	s_mul_i32 s3, s28, 5
	s_mul_hi_u32 s7, s29, 5
	s_add_i32 s3, s7, s3
	s_mul_i32 s7, s29, 5
	v_mad_u64_u32 v[6:7], s[12:13], s7, v40, v[0:1]
	s_add_u32 s12, s7, s27
	v_mul_lo_u32 v3, s3, v40
	s_addc_u32 s3, s3, 0
	v_mov_b32_e32 v1, s3
	s_mul_i32 s3, s6, 5
	v_add_u32_e32 v7, v3, v7
	v_add_co_u32_e32 v0, vcc, s12, v6
	v_add3_u32 v4, v40, s3, 1
	v_addc_co_u32_e32 v1, vcc, v1, v7, vcc
	v_lshlrev_b64 v[4:5], 3, v[4:5]
	v_add_co_u32_e32 v4, vcc, s0, v4
	v_addc_co_u32_e32 v5, vcc, v8, v5, vcc
	global_store_dwordx2 v[4:5], v[0:1], off
	v_mov_b32_e32 v1, s31
	v_add_co_u32_e32 v0, vcc, s30, v2
	v_addc_co_u32_e32 v1, vcc, 0, v1, vcc
	v_cmp_gt_i64_e32 vcc, s[10:11], v[0:1]
	s_and_b64 exec, exec, vcc
	s_cbranch_execz .LBB17_15
; %bb.4:
	v_mov_b32_e32 v4, s9
	v_add_co_u32_e32 v5, vcc, s8, v2
	v_addc_co_u32_e32 v4, vcc, 0, v4, vcc
	s_load_dwordx2 s[14:15], s[4:5], 0x20
	s_load_dwordx2 s[18:19], s[4:5], 0x30
	s_load_dword s0, s[4:5], 0x0
	s_load_dwordx2 s[12:13], s[4:5], 0x10
	s_load_dwordx2 s[16:17], s[4:5], 0x40
	v_mov_b32_e32 v8, s2
	v_subrev_co_u32_e32 v5, vcc, s26, v5
	v_subb_co_u32_e32 v8, vcc, v4, v8, vcc
	v_add_co_u32_e32 v4, vcc, 32, v5
	s_waitcnt lgkmcnt(0)
	s_cmp_eq_u32 s0, 0
	v_addc_co_u32_e32 v5, vcc, 0, v8, vcc
	s_cselect_b64 s[0:1], -1, 0
	v_mov_b32_e32 v8, s11
	v_cmp_lt_i64_e32 vcc, s[10:11], v[4:5]
	s_not_b64 s[2:3], s[8:9]
	v_cndmask_b32_e32 v5, v8, v5, vcc
	v_mov_b32_e32 v8, s10
	s_add_u32 s2, s2, s26
	v_cndmask_b32_e32 v4, v8, v4, vcc
	s_addc_u32 s3, s3, 0
	v_mov_b32_e32 v8, s3
	v_add_co_u32_e32 v4, vcc, s2, v4
	v_addc_co_u32_e32 v5, vcc, v8, v5, vcc
	v_sub_co_u32_e32 v4, vcc, v4, v2
	v_subbrev_co_u32_e32 v5, vcc, 0, v5, vcc
	s_mov_b64 s[2:3], 0x145f
	v_mul_u32_u24_e32 v41, 5, v40
	v_cmp_lt_u64_e32 vcc, s[2:3], v[4:5]
	s_mov_b64 s[2:3], 0
                                        ; implicit-def: $vgpr8_vgpr9
	s_and_saveexec_b64 s[4:5], vcc
	s_xor_b64 s[20:21], exec, s[4:5]
	s_cbranch_execnz .LBB17_7
; %bb.5:
	s_andn2_saveexec_b64 s[4:5], s[20:21]
	s_cbranch_execnz .LBB17_12
.LBB17_6:
	s_or_b64 exec, exec, s[4:5]
	s_and_b64 exec, exec, s[2:3]
	s_cbranch_execnz .LBB17_13
	s_branch .LBB17_15
.LBB17_7:
	v_mad_u64_u32 v[12:13], s[2:3], s29, v40, 0
	v_mov_b32_e32 v8, v13
	v_mad_u64_u32 v[10:11], s[2:3], s7, v40, 0
	v_mad_u64_u32 v[8:9], s[2:3], s28, v40, v[8:9]
	v_add_u32_e32 v11, v11, v3
	v_mul_lo_u32 v3, v8, 20
	v_mad_u64_u32 v[8:9], s[2:3], v12, 20, 0
	s_mul_i32 s2, s9, 0x64
	s_mul_hi_u32 s3, s8, 0x64
	s_add_i32 s3, s3, s2
	s_mul_i32 s2, s8, 0x64
	v_mov_b32_e32 v14, s2
	v_mov_b32_e32 v15, s3
	v_mad_u64_u32 v[12:13], s[2:3], v12, 20, v[14:15]
	v_add_u32_e32 v13, v3, v13
	v_mad_u64_u32 v[12:13], s[2:3], v2, 20, v[12:13]
	s_mul_hi_u32 s2, s26, 0x64
	s_mul_i32 s3, s26, 0x64
	v_add_u32_e32 v9, v9, v3
	v_mov_b32_e32 v3, s2
	v_subrev_co_u32_e32 v20, vcc, s3, v12
	v_subb_co_u32_e32 v21, vcc, v13, v3, vcc
	v_mov_b32_e32 v22, s17
	v_add_co_u32_e32 v3, vcc, s16, v20
	v_addc_co_u32_e32 v23, vcc, v22, v21, vcc
	s_movk_i32 s4, 0x280
	v_alignbit_b32 v16, v5, v4, 5
	v_add_co_u32_e32 v12, vcc, 12, v3
	v_lshrrev_b32_e32 v14, 5, v5
	v_mad_u64_u32 v[16:17], s[2:3], v16, s4, 0
	v_addc_co_u32_e32 v13, vcc, 0, v23, vcc
	v_mad_u64_u32 v[14:15], s[2:3], v14, s4, 0
	v_mov_b32_e32 v18, v17
	v_add_co_u32_e32 v18, vcc, v18, v14
	v_addc_co_u32_e32 v18, vcc, 0, v15, vcc
	v_mov_b32_e32 v19, 0
	v_cmp_ne_u64_e32 vcc, 0, v[18:19]
	v_add_u32_e32 v17, v17, v14
	v_add_co_u32_e64 v18, s[2:3], v3, v16
	v_addc_co_u32_e64 v19, s[2:3], v23, v17, s[2:3]
	v_add_co_u32_e64 v14, s[2:3], 12, v18
	v_addc_co_u32_e64 v15, s[2:3], 0, v19, s[2:3]
	v_cmp_lt_u64_e64 s[2:3], v[14:15], v[12:13]
	s_or_b64 s[4:5], s[2:3], vcc
	v_add_co_u32_e64 v12, s[2:3], 16, v3
	v_addc_co_u32_e64 v13, s[2:3], 0, v23, s[2:3]
	v_add_co_u32_e64 v14, s[2:3], 16, v18
	v_addc_co_u32_e64 v15, s[2:3], 0, v19, s[2:3]
	v_cmp_lt_u64_e64 s[2:3], v[14:15], v[12:13]
	s_or_b64 s[6:7], s[2:3], vcc
	;; [unrolled: 6-line block ×4, first 2 shown]
	v_mad_u64_u32 v[10:11], s[2:3], s8, 25, v[10:11]
	v_mov_b32_e32 v12, v11
	v_mad_u64_u32 v[12:13], s[2:3], s9, 25, v[12:13]
	v_mov_b32_e32 v11, v12
	v_mad_u64_u32 v[2:3], s[2:3], v2, 5, v[10:11]
	v_not_b32_e32 v10, 24
	v_mad_u64_u32 v[2:3], s[2:3], s26, v10, v[2:3]
	s_mul_i32 s2, s26, 0x3fffffff
	v_add_u32_e32 v3, s2, v3
	v_lshlrev_b64 v[2:3], 2, v[2:3]
	v_add_co_u32_e64 v10, s[2:3], s16, v2
	v_addc_co_u32_e64 v11, s[2:3], v22, v3, s[2:3]
	v_add_co_u32_e64 v12, s[2:3], v10, v16
	v_addc_co_u32_e64 v13, s[2:3], v11, v17, s[2:3]
	v_cmp_lt_u64_e64 s[2:3], v[12:13], v[10:11]
	s_or_b64 s[36:37], s[2:3], vcc
	v_mov_b32_e32 v14, s19
	v_add_co_u32_e64 v15, s[2:3], s18, v20
	v_addc_co_u32_e64 v18, s[2:3], v14, v21, s[2:3]
	v_add_co_u32_e64 v10, s[2:3], 12, v15
	v_addc_co_u32_e64 v11, s[2:3], 0, v18, s[2:3]
	;; [unrolled: 2-line block ×4, first 2 shown]
	v_cmp_lt_u64_e64 s[2:3], v[12:13], v[10:11]
	s_or_b64 s[38:39], s[2:3], vcc
	v_add_co_u32_e64 v10, s[2:3], 16, v15
	v_addc_co_u32_e64 v11, s[2:3], 0, v18, s[2:3]
	v_add_co_u32_e64 v12, s[2:3], 16, v19
	v_addc_co_u32_e64 v13, s[2:3], 0, v20, s[2:3]
	v_cmp_lt_u64_e64 s[2:3], v[12:13], v[10:11]
	s_or_b64 s[40:41], s[2:3], vcc
	v_add_co_u32_e64 v10, s[2:3], 8, v15
	v_addc_co_u32_e64 v11, s[2:3], 0, v18, s[2:3]
	v_add_co_u32_e64 v12, s[2:3], 8, v19
	v_addc_co_u32_e64 v13, s[2:3], 0, v20, s[2:3]
	;; [unrolled: 6-line block ×3, first 2 shown]
	s_or_b64 s[4:5], s[4:5], s[6:7]
	v_cmp_lt_u64_e64 s[2:3], v[12:13], v[10:11]
	s_or_b64 s[4:5], s[4:5], s[24:25]
	s_or_b64 s[44:45], s[2:3], vcc
	v_add_co_u32_e64 v2, s[2:3], s18, v2
	s_or_b64 s[4:5], s[4:5], s[34:35]
	v_addc_co_u32_e64 v3, s[2:3], v14, v3, s[2:3]
	s_or_b64 s[4:5], s[4:5], s[36:37]
	v_add_co_u32_e64 v10, s[2:3], v2, v16
	s_or_b64 s[4:5], s[4:5], s[38:39]
	v_addc_co_u32_e64 v11, s[2:3], v3, v17, s[2:3]
	s_or_b64 s[4:5], s[4:5], s[40:41]
	v_cmp_lt_u64_e64 s[2:3], v[10:11], v[2:3]
	s_or_b64 s[4:5], s[4:5], s[42:43]
	s_or_b64 s[2:3], s[2:3], vcc
	s_or_b64 s[4:5], s[4:5], s[44:45]
	s_or_b64 s[4:5], s[4:5], s[2:3]
	s_movk_i32 s33, 0x64
	s_mov_b64 s[22:23], 0
	s_mov_b64 s[2:3], -1
	s_xor_b64 s[4:5], s[4:5], -1
	s_and_saveexec_b64 s[24:25], s[4:5]
	s_cbranch_execz .LBB17_11
; %bb.8:
	v_lshrrev_b64 v[2:3], 5, v[4:5]
	v_lshlrev_b32_e32 v4, 2, v40
	v_mov_b32_e32 v5, s13
	v_add_co_u32_e32 v10, vcc, s12, v4
	v_addc_co_u32_e32 v11, vcc, 0, v5, vcc
	v_lshlrev_b32_e32 v4, 2, v41
	v_add_co_u32_e32 v14, vcc, s12, v4
	v_addc_co_u32_e32 v15, vcc, 0, v5, vcc
	v_add_co_u32_e32 v12, vcc, 1, v2
	v_addc_co_u32_e32 v13, vcc, 0, v3, vcc
	;; [unrolled: 2-line block ×3, first 2 shown]
	v_lshlrev_b64 v[4:5], 2, v[0:1]
	v_mov_b32_e32 v20, s15
	v_add_co_u32_e32 v4, vcc, s14, v4
	v_addc_co_u32_e32 v5, vcc, v5, v20, vcc
	s_movk_i32 s2, 0x80
	v_add_co_u32_e32 v20, vcc, s2, v4
	v_and_b32_e32 v16, -2, v12
	v_mov_b32_e32 v17, v13
	v_addc_co_u32_e32 v21, vcc, 0, v5, vcc
	v_pk_mov_b32 v[4:5], v[2:3], v[2:3] op_sel:[0,1]
	s_mov_b32 s34, s26
	s_mov_b32 s35, s30
	;; [unrolled: 1-line block ×3, first 2 shown]
	v_mov_b32_e32 v18, v6
	v_mov_b32_e32 v19, v7
	s_mov_b32 s37, s27
	s_movk_i32 s38, 0x50
	v_pk_mov_b32 v[22:23], v[16:17], v[16:17] op_sel:[0,1]
	v_pk_mov_b32 v[2:3], v[0:1], v[0:1] op_sel:[0,1]
.LBB17_9:                               ; =>This Inner Loop Header: Depth=1
	global_load_dword v33, v[20:21], off offset:-128
	global_load_dword v35, v[20:21], off
	v_mad_u64_u32 v[24:25], s[2:3], v4, s33, v[10:11]
	v_mad_u64_u32 v[26:27], s[2:3], v2, s33, v[10:11]
	;; [unrolled: 1-line block ×4, first 2 shown]
	v_mov_b32_e32 v36, s31
	v_mov_b32_e32 v37, s36
	v_subrev_co_u32_e32 v38, vcc, s35, v4
	v_subrev_co_u32_e64 v39, s[2:3], s30, v2
	v_subb_co_u32_e64 v49, s[2:3], v3, v36, s[2:3]
	v_subb_co_u32_e32 v47, vcc, v5, v37, vcc
	v_mad_u64_u32 v[36:37], s[2:3], v38, 5, v[18:19]
	v_mad_u64_u32 v[38:39], s[2:3], v39, 5, v[6:7]
	v_mov_b32_e32 v48, v39
	v_mad_u64_u32 v[48:49], s[2:3], v49, 5, v[48:49]
	v_mov_b32_e32 v46, v37
	v_mov_b32_e32 v39, v48
	v_mad_u64_u32 v[46:47], s[2:3], v47, 5, v[46:47]
	v_lshlrev_b64 v[38:39], 2, v[38:39]
	v_mov_b32_e32 v54, s17
	v_mov_b32_e32 v37, v46
	v_add_co_u32_e32 v46, vcc, s16, v38
	v_mov_b32_e32 v34, s27
	v_mul_lo_u32 v43, v3, s33
	v_lshlrev_b64 v[36:37], 2, v[36:37]
	v_addc_co_u32_e32 v47, vcc, v54, v39, vcc
	v_mov_b32_e32 v32, s37
	v_mul_lo_u32 v42, v5, s33
	v_add_u32_e32 v27, v43, v27
	v_add_u32_e32 v29, v43, v29
	v_add_co_u32_e32 v48, vcc, s16, v36
	v_add_u32_e32 v25, v42, v25
	v_add_u32_e32 v31, v42, v31
	v_cndmask_b32_e64 v44, v26, v28, s[0:1]
	v_cndmask_b32_e64 v45, v27, v29, s[0:1]
	v_addc_co_u32_e32 v49, vcc, v54, v37, vcc
	v_cndmask_b32_e64 v42, v24, v30, s[0:1]
	v_cndmask_b32_e64 v43, v25, v31, s[0:1]
	v_mov_b32_e32 v55, s19
	s_waitcnt vmcnt(1)
	v_subrev_u32_e32 v50, s26, v33
	s_waitcnt vmcnt(0)
	v_subrev_u32_e32 v33, s34, v35
	v_mad_u64_u32 v[34:35], s[2:3], v50, 5, v[34:35]
	v_mad_u64_u32 v[32:33], s[2:3], v33, 5, v[32:33]
	global_store_dword v[46:47], v34, off
	global_store_dword v[48:49], v32, off
	global_load_dword v33, v[44:45], off
	global_load_dword v35, v[42:43], off
	v_add_co_u32_e32 v42, vcc, 4, v30
	v_add_co_u32_e64 v43, s[2:3], 20, v26
	v_add_co_u32_e64 v44, s[4:5], 20, v24
	;; [unrolled: 1-line block ×3, first 2 shown]
	v_addc_co_u32_e64 v46, s[6:7], 0, v29, s[6:7]
	v_addc_co_u32_e32 v47, vcc, 0, v31, vcc
	v_addc_co_u32_e64 v48, vcc, 0, v27, s[2:3]
	v_addc_co_u32_e64 v49, vcc, 0, v25, s[4:5]
	v_cndmask_b32_e64 v42, v44, v42, s[0:1]
	v_cndmask_b32_e64 v44, v43, v45, s[0:1]
	;; [unrolled: 1-line block ×3, first 2 shown]
	v_add_co_u32_e32 v46, vcc, s18, v38
	v_cndmask_b32_e64 v43, v49, v47, s[0:1]
	v_addc_co_u32_e32 v47, vcc, v55, v39, vcc
	v_add_co_u32_e32 v48, vcc, s18, v36
	v_addc_co_u32_e32 v49, vcc, v55, v37, vcc
	v_add_co_u32_e32 v56, vcc, 4, v38
	;; [unrolled: 2-line block ×5, first 2 shown]
	v_add_u32_e32 v61, 1, v34
	v_addc_co_u32_e32 v53, vcc, v54, v59, vcc
	v_add_u32_e32 v60, 1, v32
	global_store_dword v[50:51], v61, off
	global_store_dword v[52:53], v60, off
	s_waitcnt vmcnt(3)
	global_store_dword v[46:47], v33, off
	s_waitcnt vmcnt(3)
	global_store_dword v[48:49], v35, off
	global_load_dword v33, v[44:45], off
	s_nop 0
	global_load_dword v35, v[42:43], off
	v_add_co_u32_e32 v42, vcc, 8, v30
	v_add_co_u32_e64 v43, s[2:3], 40, v26
	v_add_co_u32_e64 v44, s[4:5], 40, v24
	v_addc_co_u32_e32 v47, vcc, 0, v31, vcc
	v_addc_co_u32_e64 v48, vcc, 0, v27, s[2:3]
	v_addc_co_u32_e64 v49, vcc, 0, v25, s[4:5]
	v_add_co_u32_e32 v60, vcc, 8, v38
	v_addc_co_u32_e32 v61, vcc, 0, v39, vcc
	v_add_co_u32_e64 v45, s[6:7], 8, v28
	v_add_co_u32_e32 v62, vcc, 8, v36
	v_addc_co_u32_e64 v46, s[6:7], 0, v29, s[6:7]
	v_addc_co_u32_e32 v63, vcc, 0, v37, vcc
	v_cndmask_b32_e64 v42, v44, v42, s[0:1]
	v_cndmask_b32_e64 v44, v43, v45, s[0:1]
	v_cndmask_b32_e64 v45, v48, v46, s[0:1]
	v_add_co_u32_e32 v46, vcc, s18, v56
	v_cndmask_b32_e64 v43, v49, v47, s[0:1]
	v_addc_co_u32_e32 v47, vcc, v55, v57, vcc
	v_add_co_u32_e32 v48, vcc, s18, v58
	v_addc_co_u32_e32 v49, vcc, v55, v59, vcc
	v_add_co_u32_e32 v50, vcc, s16, v60
	;; [unrolled: 2-line block ×3, first 2 shown]
	v_add_u32_e32 v57, 2, v34
	v_addc_co_u32_e32 v53, vcc, v54, v63, vcc
	v_add_u32_e32 v56, 2, v32
	global_store_dword v[50:51], v57, off
	global_store_dword v[52:53], v56, off
	s_waitcnt vmcnt(3)
	global_store_dword v[46:47], v33, off
	s_waitcnt vmcnt(3)
	global_store_dword v[48:49], v35, off
	global_load_dword v33, v[44:45], off
	s_nop 0
	global_load_dword v35, v[42:43], off
	v_add_co_u32_e32 v42, vcc, 12, v30
	v_add_co_u32_e64 v43, s[2:3], 60, v26
	v_add_co_u32_e64 v44, s[4:5], 60, v24
	v_addc_co_u32_e32 v47, vcc, 0, v31, vcc
	v_addc_co_u32_e64 v48, vcc, 0, v27, s[2:3]
	v_addc_co_u32_e64 v49, vcc, 0, v25, s[4:5]
	v_add_co_u32_e32 v56, vcc, 12, v38
	v_addc_co_u32_e32 v57, vcc, 0, v39, vcc
	v_add_co_u32_e64 v45, s[6:7], 12, v28
	v_add_co_u32_e32 v58, vcc, 12, v36
	v_addc_co_u32_e64 v46, s[6:7], 0, v29, s[6:7]
	v_addc_co_u32_e32 v59, vcc, 0, v37, vcc
	v_cndmask_b32_e64 v42, v44, v42, s[0:1]
	v_cndmask_b32_e64 v44, v43, v45, s[0:1]
	;; [unrolled: 1-line block ×3, first 2 shown]
	v_add_co_u32_e32 v46, vcc, s18, v60
	v_cndmask_b32_e64 v43, v49, v47, s[0:1]
	v_addc_co_u32_e32 v47, vcc, v55, v61, vcc
	v_add_co_u32_e32 v48, vcc, s18, v62
	v_addc_co_u32_e32 v49, vcc, v55, v63, vcc
	v_add_co_u32_e32 v50, vcc, s16, v56
	;; [unrolled: 2-line block ×3, first 2 shown]
	v_add_u32_e32 v61, 3, v34
	v_addc_co_u32_e32 v53, vcc, v54, v59, vcc
	v_add_u32_e32 v60, 3, v32
	v_add_co_u32_e32 v30, vcc, 16, v30
	v_add_co_u32_e64 v26, s[2:3], s38, v26
	v_add_co_u32_e64 v24, s[4:5], s38, v24
	v_addc_co_u32_e32 v31, vcc, 0, v31, vcc
	v_addc_co_u32_e64 v27, vcc, 0, v27, s[2:3]
	v_addc_co_u32_e64 v25, vcc, 0, v25, s[4:5]
	v_add_co_u32_e64 v28, s[6:7], 16, v28
	v_addc_co_u32_e64 v29, s[6:7], 0, v29, s[6:7]
	v_cndmask_b32_e64 v26, v26, v28, s[0:1]
	v_cndmask_b32_e64 v27, v27, v29, s[0:1]
	;; [unrolled: 1-line block ×4, first 2 shown]
	v_add_u32_e32 v34, 4, v34
	v_add_u32_e32 v32, 4, v32
	v_add_co_u32_e64 v22, s[4:5], -2, v22
	v_addc_co_u32_e64 v23, s[4:5], -1, v23, s[4:5]
	v_add_co_u32_e64 v2, s[2:3], 64, v2
	v_add_co_u32_e64 v4, s[4:5], 64, v4
	global_store_dword v[50:51], v61, off
	global_store_dword v[52:53], v60, off
	s_waitcnt vmcnt(3)
	global_store_dword v[46:47], v33, off
	s_waitcnt vmcnt(3)
	global_store_dword v[48:49], v35, off
	global_load_dword v33, v[44:45], off
	s_nop 0
	global_load_dword v35, v[42:43], off
	v_add_co_u32_e32 v42, vcc, 16, v38
	v_addc_co_u32_e32 v43, vcc, 0, v39, vcc
	v_add_co_u32_e32 v44, vcc, 16, v36
	v_addc_co_u32_e32 v45, vcc, 0, v37, vcc
	;; [unrolled: 2-line block ×7, first 2 shown]
	v_cmp_eq_u64_e32 vcc, 0, v[22:23]
	s_or_b64 s[22:23], vcc, s[22:23]
	v_addc_co_u32_e64 v5, s[4:5], 0, v5, s[4:5]
	v_addc_co_u32_e64 v3, s[2:3], 0, v3, s[2:3]
	global_store_dword v[36:37], v34, off
	global_store_dword v[38:39], v32, off
	s_waitcnt vmcnt(3)
	global_store_dword v[28:29], v33, off
	s_waitcnt vmcnt(3)
	global_store_dword v[30:31], v35, off
	global_load_dword v28, v[26:27], off
	global_load_dword v29, v[24:25], off
	v_add_co_u32_e32 v24, vcc, s18, v42
	v_addc_co_u32_e32 v25, vcc, v55, v43, vcc
	v_add_co_u32_e32 v26, vcc, s18, v44
	v_addc_co_u32_e32 v27, vcc, v55, v45, vcc
	s_waitcnt vmcnt(1)
	global_store_dword v[24:25], v28, off
	s_waitcnt vmcnt(1)
	global_store_dword v[26:27], v29, off
	s_andn2_b64 exec, exec, s[22:23]
	s_cbranch_execnz .LBB17_9
; %bb.10:
	s_or_b64 exec, exec, s[22:23]
	v_lshlrev_b64 v[2:3], 5, v[16:17]
	v_add_co_u32_e32 v0, vcc, v0, v2
	v_addc_co_u32_e32 v1, vcc, v1, v3, vcc
	v_cmp_ne_u64_e32 vcc, v[12:13], v[16:17]
	s_orn2_b64 s[2:3], vcc, exec
.LBB17_11:
	s_or_b64 exec, exec, s[24:25]
	s_and_b64 s[2:3], s[2:3], exec
	s_andn2_saveexec_b64 s[4:5], s[20:21]
	s_cbranch_execz .LBB17_6
.LBB17_12:
	v_mad_u64_u32 v[2:3], s[6:7], s29, v40, 0
	v_mov_b32_e32 v4, v3
	v_mad_u64_u32 v[8:9], s[6:7], v2, 20, 0
	v_mad_u64_u32 v[4:5], s[6:7], s28, v40, v[4:5]
	v_mov_b32_e32 v2, v9
	v_mad_u64_u32 v[2:3], s[6:7], v4, 20, v[2:3]
	v_mov_b32_e32 v9, v2
	s_or_b64 s[2:3], s[2:3], exec
	s_or_b64 exec, exec, s[4:5]
	s_and_b64 exec, exec, s[2:3]
	s_cbranch_execz .LBB17_15
.LBB17_13:
	v_mov_b32_e32 v2, 0x50
	v_mad_u64_u32 v[2:3], s[2:3], s8, v2, v[8:9]
	s_mul_i32 s2, s9, 0x50
	v_add_u32_e32 v3, s2, v3
	v_mad_u64_u32 v[2:3], s[2:3], v0, 20, v[2:3]
	v_mov_b32_e32 v4, v3
	v_mad_u64_u32 v[4:5], s[2:3], v1, 20, v[4:5]
	s_mul_hi_u32 s2, s26, 0x50
	s_mul_i32 s3, s26, 0x50
	v_mov_b32_e32 v3, v4
	v_mov_b32_e32 v4, s2
	v_subrev_co_u32_e32 v5, vcc, s3, v2
	v_subb_co_u32_e32 v4, vcc, v3, v4, vcc
	v_mov_b32_e32 v2, s19
	v_add_co_u32_e32 v9, vcc, s18, v5
	v_addc_co_u32_e32 v11, vcc, v2, v4, vcc
	v_lshlrev_b64 v[2:3], 2, v[0:1]
	v_mov_b32_e32 v6, s15
	v_add_co_u32_e32 v2, vcc, s14, v2
	v_addc_co_u32_e32 v3, vcc, v6, v3, vcc
	v_mov_b32_e32 v6, s17
	v_add_co_u32_e32 v12, vcc, s16, v5
	v_addc_co_u32_e32 v13, vcc, v6, v4, vcc
	s_movk_i32 s4, 0x64
	v_pk_mov_b32 v[6:7], s[12:13], s[12:13] op_sel:[0,1]
	v_mad_u64_u32 v[6:7], s[2:3], v0, s4, v[6:7]
	v_mov_b32_e32 v8, v7
	v_mad_u64_u32 v[14:15], s[2:3], v1, s4, v[8:9]
	v_lshlrev_b32_e32 v4, 2, v41
	v_mov_b32_e32 v5, v14
	v_lshlrev_b32_e32 v8, 2, v40
	s_mov_b64 s[4:5], 0
	v_mov_b32_e32 v10, s27
	s_movk_i32 s8, 0x50
	s_mov_b64 s[6:7], 0
.LBB17_14:                              ; =>This Inner Loop Header: Depth=1
	v_add_co_u32_e32 v16, vcc, v6, v8
	v_addc_co_u32_e32 v17, vcc, 0, v5, vcc
	v_add_co_u32_e32 v18, vcc, v6, v4
	v_addc_co_u32_e32 v19, vcc, 0, v5, vcc
	;; [unrolled: 2-line block ×8, first 2 shown]
	global_load_dword v7, v[2:3], off
	v_add_co_u32_e32 v32, vcc, 16, v18
	v_addc_co_u32_e32 v33, vcc, 0, v19, vcc
	v_cndmask_b32_e64 v15, v17, v19, s[0:1]
	v_cndmask_b32_e64 v14, v16, v18, s[0:1]
	v_add_co_u32_e32 v16, vcc, s8, v16
	v_cndmask_b32_e64 v19, v23, v21, s[0:1]
	v_cndmask_b32_e64 v18, v22, v20, s[0:1]
	global_load_dword v14, v[14:15], off
	v_cndmask_b32_e64 v21, v27, v25, s[0:1]
	v_cndmask_b32_e64 v20, v26, v24, s[0:1]
	;; [unrolled: 1-line block ×4, first 2 shown]
	v_addc_co_u32_e32 v25, vcc, 0, v17, vcc
	v_cndmask_b32_e64 v24, v16, v32, s[0:1]
	global_load_dword v15, v[18:19], off
	global_load_dword v16, v[20:21], off
	;; [unrolled: 1-line block ×3, first 2 shown]
	v_cndmask_b32_e64 v25, v25, v33, s[0:1]
	global_load_dword v21, v[24:25], off
	v_add_co_u32_e64 v0, s[2:3], 32, v0
	v_mov_b32_e32 v18, s7
	v_add_co_u32_e32 v22, vcc, s6, v9
	v_addc_co_u32_e64 v1, s[2:3], 0, v1, s[2:3]
	v_add_co_u32_e64 v24, s[2:3], s6, v12
	v_addc_co_u32_e32 v23, vcc, v11, v18, vcc
	s_add_u32 s6, s6, 0x280
	v_addc_co_u32_e64 v25, s[2:3], v13, v18, s[2:3]
	v_add_co_u32_e32 v2, vcc, 0x80, v2
	s_addc_u32 s7, s7, 0
	v_cmp_le_i64_e64 s[2:3], s[10:11], v[0:1]
	v_addc_co_u32_e32 v3, vcc, 0, v3, vcc
	s_or_b64 s[4:5], s[2:3], s[4:5]
	v_add_co_u32_e32 v6, vcc, 0xc80, v6
	v_addc_co_u32_e32 v5, vcc, 0, v5, vcc
	s_waitcnt vmcnt(5)
	v_subrev_u32_e32 v7, s26, v7
	v_mad_u64_u32 v[18:19], s[2:3], v7, 5, v[10:11]
	v_add_u32_e32 v20, 2, v18
	v_add_u32_e32 v19, 1, v18
	;; [unrolled: 1-line block ×4, first 2 shown]
	global_store_dwordx3 v[24:25], v[18:20], off
	s_waitcnt vmcnt(2)
	global_store_dwordx4 v[22:23], v[14:17], off
	global_store_dwordx2 v[24:25], v[26:27], off offset:12
	s_waitcnt vmcnt(3)
	global_store_dword v[22:23], v21, off offset:16
	s_andn2_b64 exec, exec, s[4:5]
	s_cbranch_execnz .LBB17_14
.LBB17_15:
	s_endpgm
	.section	.rodata,"a",@progbits
	.p2align	6, 0x0
	.amdhsa_kernel _ZN9rocsparseL32bsr2csr_block_per_row_2_7_kernelILj256ELj5EiliEEv20rocsparse_direction_T3_S2_21rocsparse_index_base_PKT1_PKT2_PKS2_S2_S3_PS4_PS7_PS2_
		.amdhsa_group_segment_fixed_size 0
		.amdhsa_private_segment_fixed_size 0
		.amdhsa_kernarg_size 72
		.amdhsa_user_sgpr_count 6
		.amdhsa_user_sgpr_private_segment_buffer 1
		.amdhsa_user_sgpr_dispatch_ptr 0
		.amdhsa_user_sgpr_queue_ptr 0
		.amdhsa_user_sgpr_kernarg_segment_ptr 1
		.amdhsa_user_sgpr_dispatch_id 0
		.amdhsa_user_sgpr_flat_scratch_init 0
		.amdhsa_user_sgpr_kernarg_preload_length 0
		.amdhsa_user_sgpr_kernarg_preload_offset 0
		.amdhsa_user_sgpr_private_segment_size 0
		.amdhsa_uses_dynamic_stack 0
		.amdhsa_system_sgpr_private_segment_wavefront_offset 0
		.amdhsa_system_sgpr_workgroup_id_x 1
		.amdhsa_system_sgpr_workgroup_id_y 0
		.amdhsa_system_sgpr_workgroup_id_z 0
		.amdhsa_system_sgpr_workgroup_info 0
		.amdhsa_system_vgpr_workitem_id 0
		.amdhsa_next_free_vgpr 64
		.amdhsa_next_free_sgpr 46
		.amdhsa_accum_offset 64
		.amdhsa_reserve_vcc 1
		.amdhsa_reserve_flat_scratch 0
		.amdhsa_float_round_mode_32 0
		.amdhsa_float_round_mode_16_64 0
		.amdhsa_float_denorm_mode_32 3
		.amdhsa_float_denorm_mode_16_64 3
		.amdhsa_dx10_clamp 1
		.amdhsa_ieee_mode 1
		.amdhsa_fp16_overflow 0
		.amdhsa_tg_split 0
		.amdhsa_exception_fp_ieee_invalid_op 0
		.amdhsa_exception_fp_denorm_src 0
		.amdhsa_exception_fp_ieee_div_zero 0
		.amdhsa_exception_fp_ieee_overflow 0
		.amdhsa_exception_fp_ieee_underflow 0
		.amdhsa_exception_fp_ieee_inexact 0
		.amdhsa_exception_int_div_zero 0
	.end_amdhsa_kernel
	.section	.text._ZN9rocsparseL32bsr2csr_block_per_row_2_7_kernelILj256ELj5EiliEEv20rocsparse_direction_T3_S2_21rocsparse_index_base_PKT1_PKT2_PKS2_S2_S3_PS4_PS7_PS2_,"axG",@progbits,_ZN9rocsparseL32bsr2csr_block_per_row_2_7_kernelILj256ELj5EiliEEv20rocsparse_direction_T3_S2_21rocsparse_index_base_PKT1_PKT2_PKS2_S2_S3_PS4_PS7_PS2_,comdat
.Lfunc_end17:
	.size	_ZN9rocsparseL32bsr2csr_block_per_row_2_7_kernelILj256ELj5EiliEEv20rocsparse_direction_T3_S2_21rocsparse_index_base_PKT1_PKT2_PKS2_S2_S3_PS4_PS7_PS2_, .Lfunc_end17-_ZN9rocsparseL32bsr2csr_block_per_row_2_7_kernelILj256ELj5EiliEEv20rocsparse_direction_T3_S2_21rocsparse_index_base_PKT1_PKT2_PKS2_S2_S3_PS4_PS7_PS2_
                                        ; -- End function
	.section	.AMDGPU.csdata,"",@progbits
; Kernel info:
; codeLenInByte = 3348
; NumSgprs: 50
; NumVgprs: 64
; NumAgprs: 0
; TotalNumVgprs: 64
; ScratchSize: 0
; MemoryBound: 0
; FloatMode: 240
; IeeeMode: 1
; LDSByteSize: 0 bytes/workgroup (compile time only)
; SGPRBlocks: 6
; VGPRBlocks: 7
; NumSGPRsForWavesPerEU: 50
; NumVGPRsForWavesPerEU: 64
; AccumOffset: 64
; Occupancy: 8
; WaveLimiterHint : 1
; COMPUTE_PGM_RSRC2:SCRATCH_EN: 0
; COMPUTE_PGM_RSRC2:USER_SGPR: 6
; COMPUTE_PGM_RSRC2:TRAP_HANDLER: 0
; COMPUTE_PGM_RSRC2:TGID_X_EN: 1
; COMPUTE_PGM_RSRC2:TGID_Y_EN: 0
; COMPUTE_PGM_RSRC2:TGID_Z_EN: 0
; COMPUTE_PGM_RSRC2:TIDIG_COMP_CNT: 0
; COMPUTE_PGM_RSRC3_GFX90A:ACCUM_OFFSET: 15
; COMPUTE_PGM_RSRC3_GFX90A:TG_SPLIT: 0
	.section	.text._ZN9rocsparseL32bsr2csr_block_per_row_2_7_kernelILj256ELj6EiliEEv20rocsparse_direction_T3_S2_21rocsparse_index_base_PKT1_PKT2_PKS2_S2_S3_PS4_PS7_PS2_,"axG",@progbits,_ZN9rocsparseL32bsr2csr_block_per_row_2_7_kernelILj256ELj6EiliEEv20rocsparse_direction_T3_S2_21rocsparse_index_base_PKT1_PKT2_PKS2_S2_S3_PS4_PS7_PS2_,comdat
	.globl	_ZN9rocsparseL32bsr2csr_block_per_row_2_7_kernelILj256ELj6EiliEEv20rocsparse_direction_T3_S2_21rocsparse_index_base_PKT1_PKT2_PKS2_S2_S3_PS4_PS7_PS2_ ; -- Begin function _ZN9rocsparseL32bsr2csr_block_per_row_2_7_kernelILj256ELj6EiliEEv20rocsparse_direction_T3_S2_21rocsparse_index_base_PKT1_PKT2_PKS2_S2_S3_PS4_PS7_PS2_
	.p2align	8
	.type	_ZN9rocsparseL32bsr2csr_block_per_row_2_7_kernelILj256ELj6EiliEEv20rocsparse_direction_T3_S2_21rocsparse_index_base_PKT1_PKT2_PKS2_S2_S3_PS4_PS7_PS2_,@function
_ZN9rocsparseL32bsr2csr_block_per_row_2_7_kernelILj256ELj6EiliEEv20rocsparse_direction_T3_S2_21rocsparse_index_base_PKT1_PKT2_PKS2_S2_S3_PS4_PS7_PS2_: ; @_ZN9rocsparseL32bsr2csr_block_per_row_2_7_kernelILj256ELj6EiliEEv20rocsparse_direction_T3_S2_21rocsparse_index_base_PKT1_PKT2_PKS2_S2_S3_PS4_PS7_PS2_
; %bb.0:
	s_load_dwordx2 s[2:3], s[4:5], 0x18
	s_load_dword s31, s[4:5], 0x2c
	s_load_dwordx2 s[0:1], s[4:5], 0x38
	s_ashr_i32 s7, s6, 31
	s_lshl_b64 s[8:9], s[6:7], 3
	s_waitcnt lgkmcnt(0)
	s_add_u32 s2, s2, s8
	v_or_b32_e32 v1, s6, v0
	s_addc_u32 s3, s3, s9
	v_cmp_eq_u32_e32 vcc, 0, v1
	s_and_saveexec_b64 s[8:9], vcc
	s_cbranch_execz .LBB18_2
; %bb.1:
	v_mov_b32_e32 v2, s31
	v_mov_b32_e32 v3, 0
	global_store_dwordx2 v3, v[2:3], s[0:1]
.LBB18_2:
	s_or_b64 exec, exec, s[8:9]
	v_and_b32_e32 v40, 7, v0
	v_cmp_gt_u32_e32 vcc, 6, v40
	s_and_saveexec_b64 s[8:9], vcc
	s_cbranch_execz .LBB18_13
; %bb.3:
	s_load_dwordx4 s[8:11], s[2:3], 0x0
	s_load_dword s30, s[4:5], 0xc
	v_lshrrev_b32_e32 v2, 3, v0
	s_mul_i32 s6, s6, 6
	v_mov_b32_e32 v5, 0
	v_add3_u32 v4, v40, s6, 1
	s_waitcnt lgkmcnt(0)
	s_sub_u32 s33, s8, s30
	s_subb_u32 s34, s9, 0
	s_sub_u32 s10, s10, s30
	s_mul_i32 s2, s34, 36
	s_mul_hi_u32 s3, s33, 36
	s_subb_u32 s11, s11, 0
	s_add_i32 s3, s3, s2
	s_mul_i32 s2, s33, 36
	v_mov_b32_e32 v1, s3
	s_sub_u32 s3, s10, s33
	v_mov_b32_e32 v0, s2
	s_subb_u32 s2, s11, s34
	s_mul_i32 s12, s2, 6
	s_mul_hi_u32 s13, s3, 6
	s_mul_i32 s20, s3, 6
	s_add_i32 s14, s13, s12
	v_mad_u64_u32 v[6:7], s[12:13], s20, v40, v[0:1]
	s_add_u32 s12, s20, s31
	v_mul_lo_u32 v3, s14, v40
	s_addc_u32 s13, s14, 0
	v_add_u32_e32 v7, v3, v7
	v_mov_b32_e32 v1, s13
	v_add_co_u32_e32 v0, vcc, s12, v6
	v_addc_co_u32_e32 v1, vcc, v1, v7, vcc
	v_lshlrev_b64 v[4:5], 3, v[4:5]
	v_mov_b32_e32 v8, s1
	v_add_co_u32_e32 v4, vcc, s0, v4
	v_addc_co_u32_e32 v5, vcc, v8, v5, vcc
	global_store_dwordx2 v[4:5], v[0:1], off
	v_mov_b32_e32 v1, s34
	v_add_co_u32_e32 v0, vcc, s33, v2
	v_addc_co_u32_e32 v1, vcc, 0, v1, vcc
	s_mov_b32 s7, 0
	v_cmp_gt_i64_e32 vcc, s[10:11], v[0:1]
	s_and_b64 exec, exec, vcc
	s_cbranch_execz .LBB18_13
; %bb.4:
	v_mad_u64_u32 v[8:9], s[0:1], s20, v40, 0
	v_add_u32_e32 v9, v9, v3
	v_mov_b32_e32 v3, s9
	v_add_co_u32_e32 v4, vcc, s8, v2
	s_load_dwordx2 s[18:19], s[4:5], 0x20
	s_load_dwordx2 s[12:13], s[4:5], 0x30
	;; [unrolled: 1-line block ×3, first 2 shown]
	s_load_dword s6, s[4:5], 0x0
	s_load_dwordx2 s[14:15], s[4:5], 0x40
	v_addc_co_u32_e32 v3, vcc, 0, v3, vcc
	v_mov_b32_e32 v5, s7
	v_subrev_co_u32_e32 v4, vcc, s30, v4
	v_subb_co_u32_e32 v3, vcc, v3, v5, vcc
	v_add_co_u32_e32 v4, vcc, 32, v4
	s_waitcnt lgkmcnt(0)
	s_cmp_eq_u32 s6, 0
	v_addc_co_u32_e32 v5, vcc, 0, v3, vcc
	s_cselect_b64 s[0:1], -1, 0
	v_mov_b32_e32 v3, s11
	v_cmp_lt_i64_e32 vcc, s[10:11], v[4:5]
	s_not_b64 s[4:5], s[8:9]
	v_cndmask_b32_e32 v3, v3, v5, vcc
	v_mov_b32_e32 v5, s10
	s_add_u32 s4, s4, s30
	v_cndmask_b32_e32 v4, v5, v4, vcc
	s_addc_u32 s5, s5, 0
	v_mov_b32_e32 v5, s5
	v_add_co_u32_e32 v4, vcc, s4, v4
	v_addc_co_u32_e32 v3, vcc, v5, v3, vcc
	v_sub_co_u32_e32 v4, vcc, v4, v2
	v_subbrev_co_u32_e32 v5, vcc, 0, v3, vcc
	s_mov_b64 s[4:5], 0x17a0
	v_cmp_gt_u64_e64 s[20:21], s[4:5], v[4:5]
	s_mov_b64 s[4:5], 0x179f
	v_mul_u32_u24_e32 v41, 6, v40
	v_cmp_lt_u64_e32 vcc, s[4:5], v[4:5]
	s_and_saveexec_b64 s[22:23], vcc
	s_cbranch_execz .LBB18_10
; %bb.5:
	v_mad_u64_u32 v[10:11], s[4:5], s3, v40, 0
	v_mov_b32_e32 v12, v11
	v_mad_u64_u32 v[12:13], s[2:3], s2, v40, v[12:13]
	s_mul_i32 s2, s9, 0x90
	s_mul_hi_u32 s3, s8, 0x90
	s_add_i32 s3, s3, s2
	s_mul_i32 s2, s8, 0x90
	v_mov_b32_e32 v14, s2
	v_mov_b32_e32 v15, s3
	v_mad_u64_u32 v[10:11], s[2:3], v10, 24, v[14:15]
	v_mov_b32_e32 v14, v11
	v_mad_u64_u32 v[12:13], s[2:3], v12, 24, v[14:15]
	;; [unrolled: 2-line block ×3, first 2 shown]
	s_mul_hi_u32 s2, s30, 0x90
	s_mul_i32 s3, s30, 0x90
	v_mov_b32_e32 v3, s2
	v_subrev_co_u32_e32 v18, vcc, s3, v10
	v_subb_co_u32_e32 v19, vcc, v11, v3, vcc
	v_mov_b32_e32 v20, s15
	v_add_co_u32_e32 v3, vcc, s14, v18
	v_addc_co_u32_e32 v21, vcc, v20, v19, vcc
	s_movk_i32 s4, 0x300
	v_alignbit_b32 v14, v5, v4, 5
	v_add_co_u32_e32 v10, vcc, 16, v3
	v_lshrrev_b32_e32 v12, 5, v5
	v_mad_u64_u32 v[14:15], s[2:3], v14, s4, 0
	v_addc_co_u32_e32 v11, vcc, 0, v21, vcc
	v_mad_u64_u32 v[12:13], s[2:3], v12, s4, 0
	v_mov_b32_e32 v16, v15
	v_add_co_u32_e32 v16, vcc, v16, v12
	v_addc_co_u32_e32 v16, vcc, 0, v13, vcc
	v_mov_b32_e32 v17, 0
	v_cmp_ne_u64_e32 vcc, 0, v[16:17]
	v_add_u32_e32 v15, v15, v12
	v_add_co_u32_e64 v16, s[2:3], v3, v14
	v_addc_co_u32_e64 v17, s[2:3], v21, v15, s[2:3]
	v_add_co_u32_e64 v12, s[2:3], 16, v16
	v_addc_co_u32_e64 v13, s[2:3], 0, v17, s[2:3]
	v_cmp_lt_u64_e64 s[2:3], v[12:13], v[10:11]
	s_or_b64 s[4:5], s[2:3], vcc
	v_add_co_u32_e64 v10, s[2:3], 20, v3
	v_addc_co_u32_e64 v11, s[2:3], 0, v21, s[2:3]
	v_add_co_u32_e64 v12, s[2:3], 20, v16
	v_addc_co_u32_e64 v13, s[2:3], 0, v17, s[2:3]
	v_cmp_lt_u64_e64 s[2:3], v[12:13], v[10:11]
	s_or_b64 s[6:7], s[2:3], vcc
	v_add_co_u32_e64 v10, s[2:3], 12, v3
	v_addc_co_u32_e64 v11, s[2:3], 0, v21, s[2:3]
	v_add_co_u32_e64 v12, s[2:3], 12, v16
	v_addc_co_u32_e64 v13, s[2:3], 0, v17, s[2:3]
	v_cmp_lt_u64_e64 s[2:3], v[12:13], v[10:11]
	s_or_b64 s[26:27], s[2:3], vcc
	v_add_co_u32_e64 v10, s[2:3], 8, v3
	v_addc_co_u32_e64 v11, s[2:3], 0, v21, s[2:3]
	v_add_co_u32_e64 v12, s[2:3], 8, v16
	v_addc_co_u32_e64 v13, s[2:3], 0, v17, s[2:3]
	v_cmp_lt_u64_e64 s[2:3], v[12:13], v[10:11]
	s_or_b64 s[28:29], s[2:3], vcc
	v_add_co_u32_e64 v10, s[2:3], 4, v3
	v_addc_co_u32_e64 v11, s[2:3], 0, v21, s[2:3]
	v_add_co_u32_e64 v12, s[2:3], 4, v16
	v_addc_co_u32_e64 v13, s[2:3], 0, v17, s[2:3]
	v_cmp_lt_u64_e64 s[2:3], v[12:13], v[10:11]
	s_or_b64 s[36:37], s[2:3], vcc
	v_mad_u64_u32 v[10:11], s[2:3], s8, 36, v[8:9]
	v_mov_b32_e32 v12, v11
	v_mad_u64_u32 v[12:13], s[2:3], s9, 36, v[12:13]
	v_mov_b32_e32 v11, v12
	v_mad_u64_u32 v[2:3], s[2:3], v2, 6, v[10:11]
	v_not_b32_e32 v10, 35
	v_mad_u64_u32 v[2:3], s[2:3], s30, v10, v[2:3]
	s_mul_i32 s2, s30, 0x3fffffff
	v_add_u32_e32 v3, s2, v3
	v_lshlrev_b64 v[2:3], 2, v[2:3]
	v_add_co_u32_e64 v10, s[2:3], s14, v2
	v_addc_co_u32_e64 v11, s[2:3], v20, v3, s[2:3]
	v_add_co_u32_e64 v12, s[2:3], v10, v14
	v_addc_co_u32_e64 v13, s[2:3], v11, v15, s[2:3]
	v_cmp_lt_u64_e64 s[2:3], v[12:13], v[10:11]
	s_or_b64 s[38:39], s[2:3], vcc
	v_mov_b32_e32 v16, s13
	v_add_co_u32_e64 v17, s[2:3], s12, v18
	v_addc_co_u32_e64 v18, s[2:3], v16, v19, s[2:3]
	v_add_co_u32_e64 v10, s[2:3], 16, v17
	v_addc_co_u32_e64 v11, s[2:3], 0, v18, s[2:3]
	;; [unrolled: 2-line block ×4, first 2 shown]
	v_cmp_lt_u64_e64 s[2:3], v[12:13], v[10:11]
	s_or_b64 s[40:41], s[2:3], vcc
	v_add_co_u32_e64 v10, s[2:3], 20, v17
	v_addc_co_u32_e64 v11, s[2:3], 0, v18, s[2:3]
	v_add_co_u32_e64 v12, s[2:3], 20, v19
	v_addc_co_u32_e64 v13, s[2:3], 0, v20, s[2:3]
	v_cmp_lt_u64_e64 s[2:3], v[12:13], v[10:11]
	s_or_b64 s[42:43], s[2:3], vcc
	v_add_co_u32_e64 v10, s[2:3], 12, v17
	v_addc_co_u32_e64 v11, s[2:3], 0, v18, s[2:3]
	v_add_co_u32_e64 v12, s[2:3], 12, v19
	v_addc_co_u32_e64 v13, s[2:3], 0, v20, s[2:3]
	;; [unrolled: 6-line block ×3, first 2 shown]
	v_cmp_lt_u64_e64 s[2:3], v[12:13], v[10:11]
	s_or_b64 s[46:47], s[2:3], vcc
	v_add_co_u32_e64 v10, s[2:3], 4, v17
	v_addc_co_u32_e64 v11, s[2:3], 0, v18, s[2:3]
	s_or_b64 s[4:5], s[4:5], s[6:7]
	v_add_co_u32_e64 v12, s[2:3], 4, v19
	s_or_b64 s[4:5], s[4:5], s[26:27]
	v_addc_co_u32_e64 v13, s[2:3], 0, v20, s[2:3]
	s_or_b64 s[4:5], s[4:5], s[28:29]
	v_cmp_lt_u64_e64 s[2:3], v[12:13], v[10:11]
	s_or_b64 s[4:5], s[4:5], s[36:37]
	s_or_b64 s[48:49], s[2:3], vcc
	v_add_co_u32_e64 v2, s[2:3], s12, v2
	s_or_b64 s[4:5], s[4:5], s[38:39]
	v_addc_co_u32_e64 v3, s[2:3], v16, v3, s[2:3]
	s_or_b64 s[4:5], s[4:5], s[40:41]
	v_add_co_u32_e64 v10, s[2:3], v2, v14
	s_or_b64 s[4:5], s[4:5], s[42:43]
	v_addc_co_u32_e64 v11, s[2:3], v3, v15, s[2:3]
	s_or_b64 s[4:5], s[4:5], s[44:45]
	v_cmp_lt_u64_e64 s[2:3], v[10:11], v[2:3]
	s_or_b64 s[4:5], s[4:5], s[46:47]
	s_or_b64 s[2:3], s[2:3], vcc
	s_or_b64 s[4:5], s[4:5], s[48:49]
	s_or_b64 s[4:5], s[4:5], s[2:3]
	s_movk_i32 s35, 0x90
	s_mov_b64 s[24:25], 0
	s_mov_b64 s[2:3], -1
	s_xor_b64 s[4:5], s[4:5], -1
	s_and_saveexec_b64 s[26:27], s[4:5]
	s_cbranch_execz .LBB18_9
; %bb.6:
	v_lshrrev_b64 v[2:3], 5, v[4:5]
	v_lshlrev_b32_e32 v4, 2, v40
	v_mov_b32_e32 v5, s17
	v_add_co_u32_e32 v10, vcc, s16, v4
	v_addc_co_u32_e32 v11, vcc, 0, v5, vcc
	v_lshlrev_b32_e32 v4, 2, v41
	v_add_co_u32_e32 v14, vcc, s16, v4
	v_addc_co_u32_e32 v15, vcc, 0, v5, vcc
	v_add_co_u32_e32 v12, vcc, 1, v2
	v_addc_co_u32_e32 v13, vcc, 0, v3, vcc
	;; [unrolled: 2-line block ×3, first 2 shown]
	v_lshlrev_b64 v[4:5], 2, v[0:1]
	v_mov_b32_e32 v20, s19
	v_add_co_u32_e32 v4, vcc, s18, v4
	v_addc_co_u32_e32 v5, vcc, v5, v20, vcc
	s_movk_i32 s2, 0x80
	v_add_co_u32_e32 v20, vcc, s2, v4
	v_and_b32_e32 v16, -2, v12
	v_mov_b32_e32 v17, v13
	v_addc_co_u32_e32 v21, vcc, 0, v5, vcc
	v_pk_mov_b32 v[4:5], v[2:3], v[2:3] op_sel:[0,1]
	s_mov_b32 s28, s30
	s_mov_b32 s29, s33
	;; [unrolled: 1-line block ×3, first 2 shown]
	v_mov_b32_e32 v18, v6
	v_mov_b32_e32 v19, v7
	s_mov_b32 s37, s31
	s_movk_i32 s38, 0x48
	s_movk_i32 s39, 0x60
	;; [unrolled: 1-line block ×3, first 2 shown]
	v_pk_mov_b32 v[22:23], v[16:17], v[16:17] op_sel:[0,1]
	v_pk_mov_b32 v[2:3], v[0:1], v[0:1] op_sel:[0,1]
.LBB18_7:                               ; =>This Inner Loop Header: Depth=1
	global_load_dword v33, v[20:21], off offset:-128
	global_load_dword v35, v[20:21], off
	v_mad_u64_u32 v[24:25], s[2:3], v4, s35, v[10:11]
	v_mad_u64_u32 v[26:27], s[2:3], v2, s35, v[10:11]
	;; [unrolled: 1-line block ×4, first 2 shown]
	v_mov_b32_e32 v36, s34
	v_subrev_co_u32_e64 v44, s[2:3], s33, v2
	v_subrev_co_u32_e32 v38, vcc, s29, v4
	v_subb_co_u32_e64 v52, s[2:3], v3, v36, s[2:3]
	v_mad_u64_u32 v[44:45], s[2:3], v44, 6, v[6:7]
	v_mul_lo_u32 v39, v5, s35
	v_mad_u64_u32 v[42:43], s[2:3], v38, 6, v[18:19]
	v_mov_b32_e32 v38, v45
	v_mov_b32_e32 v37, s36
	v_mad_u64_u32 v[52:53], s[2:3], v52, 6, v[38:39]
	v_subb_co_u32_e32 v37, vcc, v5, v37, vcc
	v_mov_b32_e32 v36, v43
	v_mov_b32_e32 v45, v52
	v_add_u32_e32 v25, v39, v25
	v_add_u32_e32 v31, v39, v31
	v_mad_u64_u32 v[50:51], s[2:3], v37, 6, v[36:37]
	v_lshlrev_b64 v[38:39], 2, v[44:45]
	v_mov_b32_e32 v58, s15
	v_mov_b32_e32 v43, v50
	v_add_co_u32_e32 v54, vcc, s14, v38
	v_mov_b32_e32 v34, s31
	v_mul_lo_u32 v46, v3, s35
	v_lshlrev_b64 v[36:37], 2, v[42:43]
	v_addc_co_u32_e32 v55, vcc, v58, v39, vcc
	v_mov_b32_e32 v32, s37
	v_add_u32_e32 v27, v46, v27
	v_add_u32_e32 v29, v46, v29
	v_add_co_u32_e32 v56, vcc, s14, v36
	v_cndmask_b32_e64 v48, v26, v28, s[0:1]
	v_cndmask_b32_e64 v49, v27, v29, s[0:1]
	v_addc_co_u32_e32 v57, vcc, v58, v37, vcc
	v_cndmask_b32_e64 v46, v24, v30, s[0:1]
	v_cndmask_b32_e64 v47, v25, v31, s[0:1]
	v_mov_b32_e32 v59, s13
	v_or_b32_e32 v44, 1, v44
	v_or_b32_e32 v42, 1, v42
	s_waitcnt vmcnt(1)
	v_subrev_u32_e32 v43, s30, v33
	s_waitcnt vmcnt(0)
	v_subrev_u32_e32 v33, s28, v35
	v_mad_u64_u32 v[34:35], s[2:3], v43, 6, v[34:35]
	v_mad_u64_u32 v[32:33], s[2:3], v33, 6, v[32:33]
	global_store_dword v[54:55], v34, off
	global_store_dword v[56:57], v32, off
	global_load_dword v33, v[48:49], off
	global_load_dword v35, v[46:47], off
	v_add_co_u32_e32 v43, vcc, 4, v30
	v_add_co_u32_e64 v45, s[2:3], 24, v26
	v_add_co_u32_e64 v46, s[4:5], 24, v24
	v_addc_co_u32_e32 v51, vcc, 0, v31, vcc
	v_addc_co_u32_e64 v53, vcc, 0, v27, s[2:3]
	v_addc_co_u32_e64 v54, vcc, 0, v25, s[4:5]
	v_add_co_u32_e64 v47, s[6:7], 4, v28
	v_cndmask_b32_e64 v46, v46, v43, s[0:1]
	v_mov_b32_e32 v43, v50
	v_add_co_u32_e32 v50, vcc, s12, v38
	v_cndmask_b32_e64 v48, v45, v47, s[0:1]
	v_cndmask_b32_e64 v47, v54, v51, s[0:1]
	v_addc_co_u32_e32 v51, vcc, v59, v39, vcc
	v_addc_co_u32_e64 v49, s[6:7], 0, v29, s[6:7]
	v_mov_b32_e32 v45, v52
	v_add_co_u32_e32 v52, vcc, s12, v36
	v_cndmask_b32_e64 v49, v53, v49, s[0:1]
	v_lshlrev_b64 v[44:45], 2, v[44:45]
	v_addc_co_u32_e32 v53, vcc, v59, v37, vcc
	v_add_co_u32_e32 v54, vcc, s14, v44
	v_lshlrev_b64 v[42:43], 2, v[42:43]
	v_addc_co_u32_e32 v55, vcc, v58, v45, vcc
	v_add_co_u32_e32 v56, vcc, s14, v42
	v_add_u32_e32 v61, 1, v34
	v_addc_co_u32_e32 v57, vcc, v58, v43, vcc
	v_add_u32_e32 v60, 1, v32
	global_store_dword v[54:55], v61, off
	global_store_dword v[56:57], v60, off
	s_waitcnt vmcnt(3)
	global_store_dword v[50:51], v33, off
	s_waitcnt vmcnt(3)
	global_store_dword v[52:53], v35, off
	global_load_dword v33, v[48:49], off
	s_nop 0
	global_load_dword v35, v[46:47], off
	v_add_co_u32_e32 v46, vcc, 8, v30
	v_add_co_u32_e64 v47, s[2:3], 48, v26
	v_add_co_u32_e64 v48, s[4:5], 48, v24
	v_addc_co_u32_e32 v51, vcc, 0, v31, vcc
	v_addc_co_u32_e64 v52, vcc, 0, v27, s[2:3]
	v_addc_co_u32_e64 v53, vcc, 0, v25, s[4:5]
	v_add_co_u32_e32 v44, vcc, s12, v44
	v_addc_co_u32_e32 v45, vcc, v59, v45, vcc
	v_add_co_u32_e32 v42, vcc, s12, v42
	v_addc_co_u32_e32 v43, vcc, v59, v43, vcc
	;; [unrolled: 2-line block ×3, first 2 shown]
	v_add_co_u32_e64 v49, s[6:7], 8, v28
	v_add_co_u32_e32 v56, vcc, 8, v36
	v_addc_co_u32_e64 v50, s[6:7], 0, v29, s[6:7]
	v_addc_co_u32_e32 v57, vcc, 0, v37, vcc
	v_cndmask_b32_e64 v46, v48, v46, s[0:1]
	v_cndmask_b32_e64 v48, v47, v49, s[0:1]
	v_cndmask_b32_e64 v49, v52, v50, s[0:1]
	v_add_co_u32_e32 v50, vcc, s14, v54
	v_cndmask_b32_e64 v47, v53, v51, s[0:1]
	v_addc_co_u32_e32 v51, vcc, v58, v55, vcc
	v_add_co_u32_e32 v52, vcc, s14, v56
	v_add_u32_e32 v61, 2, v34
	v_addc_co_u32_e32 v53, vcc, v58, v57, vcc
	v_add_u32_e32 v60, 2, v32
	global_store_dword v[50:51], v61, off
	global_store_dword v[52:53], v60, off
	s_waitcnt vmcnt(3)
	global_store_dword v[44:45], v33, off
	s_waitcnt vmcnt(3)
	global_store_dword v[42:43], v35, off
	global_load_dword v33, v[48:49], off
	s_nop 0
	global_load_dword v35, v[46:47], off
	v_add_co_u32_e32 v42, vcc, 12, v30
	v_add_co_u32_e64 v43, s[2:3], s38, v26
	v_add_co_u32_e64 v44, s[4:5], s38, v24
	v_addc_co_u32_e32 v47, vcc, 0, v31, vcc
	v_addc_co_u32_e64 v48, vcc, 0, v27, s[2:3]
	v_addc_co_u32_e64 v49, vcc, 0, v25, s[4:5]
	v_add_co_u32_e32 v60, vcc, 12, v38
	v_addc_co_u32_e32 v61, vcc, 0, v39, vcc
	v_add_co_u32_e64 v45, s[6:7], 12, v28
	v_add_co_u32_e32 v62, vcc, 12, v36
	v_addc_co_u32_e64 v46, s[6:7], 0, v29, s[6:7]
	v_addc_co_u32_e32 v63, vcc, 0, v37, vcc
	v_cndmask_b32_e64 v42, v44, v42, s[0:1]
	v_cndmask_b32_e64 v44, v43, v45, s[0:1]
	;; [unrolled: 1-line block ×3, first 2 shown]
	v_add_co_u32_e32 v46, vcc, s12, v54
	v_cndmask_b32_e64 v43, v49, v47, s[0:1]
	v_addc_co_u32_e32 v47, vcc, v59, v55, vcc
	v_add_co_u32_e32 v48, vcc, s12, v56
	v_addc_co_u32_e32 v49, vcc, v59, v57, vcc
	v_add_co_u32_e32 v50, vcc, s14, v60
	;; [unrolled: 2-line block ×3, first 2 shown]
	v_add_u32_e32 v55, 3, v34
	v_addc_co_u32_e32 v53, vcc, v58, v63, vcc
	v_add_u32_e32 v54, 3, v32
	global_store_dword v[50:51], v55, off
	global_store_dword v[52:53], v54, off
	s_waitcnt vmcnt(3)
	global_store_dword v[46:47], v33, off
	s_waitcnt vmcnt(3)
	global_store_dword v[48:49], v35, off
	global_load_dword v33, v[44:45], off
	s_nop 0
	global_load_dword v35, v[42:43], off
	v_add_co_u32_e32 v42, vcc, 16, v30
	v_add_co_u32_e64 v43, s[2:3], s39, v26
	v_add_co_u32_e64 v44, s[4:5], s39, v24
	v_addc_co_u32_e32 v47, vcc, 0, v31, vcc
	v_addc_co_u32_e64 v48, vcc, 0, v27, s[2:3]
	v_addc_co_u32_e64 v49, vcc, 0, v25, s[4:5]
	v_add_co_u32_e32 v54, vcc, 16, v38
	v_addc_co_u32_e32 v55, vcc, 0, v39, vcc
	v_add_co_u32_e64 v45, s[6:7], 16, v28
	v_add_co_u32_e32 v56, vcc, 16, v36
	v_addc_co_u32_e64 v46, s[6:7], 0, v29, s[6:7]
	v_addc_co_u32_e32 v57, vcc, 0, v37, vcc
	v_cndmask_b32_e64 v42, v44, v42, s[0:1]
	v_cndmask_b32_e64 v44, v43, v45, s[0:1]
	;; [unrolled: 1-line block ×3, first 2 shown]
	v_add_co_u32_e32 v46, vcc, s12, v60
	v_cndmask_b32_e64 v43, v49, v47, s[0:1]
	v_addc_co_u32_e32 v47, vcc, v59, v61, vcc
	v_add_co_u32_e32 v48, vcc, s12, v62
	v_addc_co_u32_e32 v49, vcc, v59, v63, vcc
	v_add_co_u32_e32 v50, vcc, s14, v54
	;; [unrolled: 2-line block ×3, first 2 shown]
	v_add_u32_e32 v61, 4, v34
	v_addc_co_u32_e32 v53, vcc, v58, v57, vcc
	v_add_u32_e32 v60, 4, v32
	v_add_co_u32_e32 v30, vcc, 20, v30
	v_add_co_u32_e64 v26, s[2:3], s40, v26
	v_add_co_u32_e64 v24, s[4:5], s40, v24
	v_addc_co_u32_e32 v31, vcc, 0, v31, vcc
	v_addc_co_u32_e64 v27, vcc, 0, v27, s[2:3]
	v_addc_co_u32_e64 v25, vcc, 0, v25, s[4:5]
	v_add_co_u32_e64 v28, s[6:7], 20, v28
	v_addc_co_u32_e64 v29, s[6:7], 0, v29, s[6:7]
	v_cndmask_b32_e64 v26, v26, v28, s[0:1]
	v_cndmask_b32_e64 v27, v27, v29, s[0:1]
	v_cndmask_b32_e64 v24, v24, v30, s[0:1]
	v_cndmask_b32_e64 v25, v25, v31, s[0:1]
	v_add_u32_e32 v34, 5, v34
	v_add_u32_e32 v32, 5, v32
	v_add_co_u32_e64 v22, s[4:5], -2, v22
	v_addc_co_u32_e64 v23, s[4:5], -1, v23, s[4:5]
	v_add_co_u32_e64 v2, s[2:3], 64, v2
	v_add_co_u32_e64 v4, s[4:5], 64, v4
	global_store_dword v[50:51], v61, off
	global_store_dword v[52:53], v60, off
	s_waitcnt vmcnt(3)
	global_store_dword v[46:47], v33, off
	s_waitcnt vmcnt(3)
	global_store_dword v[48:49], v35, off
	global_load_dword v33, v[44:45], off
	s_nop 0
	global_load_dword v35, v[42:43], off
	v_add_co_u32_e32 v42, vcc, 20, v38
	v_addc_co_u32_e32 v43, vcc, 0, v39, vcc
	v_add_co_u32_e32 v44, vcc, 20, v36
	v_addc_co_u32_e32 v45, vcc, 0, v37, vcc
	;; [unrolled: 2-line block ×7, first 2 shown]
	v_cmp_eq_u64_e32 vcc, 0, v[22:23]
	s_or_b64 s[24:25], vcc, s[24:25]
	v_addc_co_u32_e64 v5, s[4:5], 0, v5, s[4:5]
	v_addc_co_u32_e64 v3, s[2:3], 0, v3, s[2:3]
	global_store_dword v[36:37], v34, off
	global_store_dword v[38:39], v32, off
	s_waitcnt vmcnt(3)
	global_store_dword v[28:29], v33, off
	s_waitcnt vmcnt(3)
	global_store_dword v[30:31], v35, off
	global_load_dword v28, v[26:27], off
	global_load_dword v29, v[24:25], off
	v_add_co_u32_e32 v24, vcc, s12, v42
	v_addc_co_u32_e32 v25, vcc, v59, v43, vcc
	v_add_co_u32_e32 v26, vcc, s12, v44
	v_addc_co_u32_e32 v27, vcc, v59, v45, vcc
	s_waitcnt vmcnt(1)
	global_store_dword v[24:25], v28, off
	s_waitcnt vmcnt(1)
	global_store_dword v[26:27], v29, off
	s_andn2_b64 exec, exec, s[24:25]
	s_cbranch_execnz .LBB18_7
; %bb.8:
	s_or_b64 exec, exec, s[24:25]
	v_lshlrev_b64 v[2:3], 5, v[16:17]
	v_add_co_u32_e32 v0, vcc, v0, v2
	v_addc_co_u32_e32 v1, vcc, v1, v3, vcc
	v_cmp_ne_u64_e32 vcc, v[12:13], v[16:17]
	s_orn2_b64 s[2:3], vcc, exec
.LBB18_9:
	s_or_b64 exec, exec, s[26:27]
	s_andn2_b64 s[4:5], s[20:21], exec
	s_and_b64 s[2:3], s[2:3], exec
	s_or_b64 s[20:21], s[4:5], s[2:3]
.LBB18_10:
	s_or_b64 exec, exec, s[22:23]
	s_and_b64 exec, exec, s[20:21]
	s_cbranch_execz .LBB18_13
; %bb.11:
	s_movk_i32 s4, 0x90
	v_pk_mov_b32 v[6:7], s[16:17], s[16:17] op_sel:[0,1]
	v_mad_u64_u32 v[6:7], s[2:3], v0, s4, v[6:7]
	v_mov_b32_e32 v10, v7
	v_mad_u64_u32 v[10:11], s[2:3], v1, s4, v[10:11]
	v_mad_u64_u32 v[8:9], s[2:3], s8, 30, v[8:9]
	v_mov_b32_e32 v5, v10
	v_mov_b32_e32 v10, v9
	v_mad_u64_u32 v[10:11], s[2:3], s9, 30, v[10:11]
	v_mov_b32_e32 v9, v10
	v_mad_u64_u32 v[8:9], s[2:3], v0, 6, v[8:9]
	v_lshlrev_b64 v[2:3], 2, v[0:1]
	v_mov_b32_e32 v10, v9
	v_mov_b32_e32 v4, s19
	v_add_co_u32_e32 v2, vcc, s18, v2
	v_mad_u64_u32 v[10:11], s[2:3], v1, 6, v[10:11]
	v_addc_co_u32_e32 v3, vcc, v4, v3, vcc
	s_mul_hi_u32 s2, s30, 30
	s_mul_i32 s3, s30, 30
	v_mov_b32_e32 v7, v10
	v_mov_b32_e32 v9, s2
	v_subrev_co_u32_e32 v8, vcc, s3, v8
	v_subb_co_u32_e32 v9, vcc, v7, v9, vcc
	v_lshlrev_b64 v[10:11], 2, v[8:9]
	v_mov_b32_e32 v7, s13
	v_add_co_u32_e32 v8, vcc, s12, v10
	v_addc_co_u32_e32 v7, vcc, v11, v7, vcc
	v_add_co_u32_e32 v8, vcc, 16, v8
	v_addc_co_u32_e32 v9, vcc, 0, v7, vcc
	v_mov_b32_e32 v7, s15
	v_add_co_u32_e32 v10, vcc, s14, v10
	v_addc_co_u32_e32 v7, vcc, v11, v7, vcc
	v_add_co_u32_e32 v10, vcc, 12, v10
	v_lshlrev_b32_e32 v4, 2, v40
	v_addc_co_u32_e32 v11, vcc, 0, v7, vcc
	v_lshlrev_b32_e32 v12, 2, v41
	s_mov_b64 s[4:5], 0
	v_mov_b32_e32 v14, s31
	s_movk_i32 s6, 0x48
	s_movk_i32 s7, 0x60
	;; [unrolled: 1-line block ×5, first 2 shown]
.LBB18_12:                              ; =>This Inner Loop Header: Depth=1
	v_add_co_u32_e32 v13, vcc, v6, v4
	v_addc_co_u32_e32 v15, vcc, 0, v5, vcc
	v_add_co_u32_e32 v18, vcc, v6, v12
	v_addc_co_u32_e32 v19, vcc, 0, v5, vcc
	;; [unrolled: 2-line block ×10, first 2 shown]
	v_cndmask_b32_e64 v16, v13, v18, s[0:1]
	v_add_co_u32_e32 v18, vcc, 20, v18
	global_load_dword v7, v[2:3], off
	v_cndmask_b32_e64 v17, v15, v19, s[0:1]
	v_addc_co_u32_e32 v19, vcc, 0, v19, vcc
	v_add_co_u32_e32 v13, vcc, s8, v13
	v_addc_co_u32_e32 v15, vcc, 0, v15, vcc
	v_cndmask_b32_e64 v21, v23, v21, s[0:1]
	v_cndmask_b32_e64 v20, v22, v20, s[0:1]
	global_load_dword v16, v[16:17], off
	v_cndmask_b32_e64 v23, v27, v25, s[0:1]
	v_cndmask_b32_e64 v22, v26, v24, s[0:1]
	;; [unrolled: 1-line block ×8, first 2 shown]
	global_load_dword v17, v[20:21], off
	global_load_dword v18, v[22:23], off
	;; [unrolled: 1-line block ×5, first 2 shown]
	v_add_co_u32_e32 v0, vcc, 32, v0
	v_addc_co_u32_e32 v1, vcc, 0, v1, vcc
	v_add_co_u32_e32 v2, vcc, s9, v2
	v_addc_co_u32_e32 v3, vcc, 0, v3, vcc
	v_cmp_le_i64_e64 s[2:3], s[10:11], v[0:1]
	v_add_co_u32_e32 v6, vcc, s12, v6
	s_or_b64 s[4:5], s[2:3], s[4:5]
	v_addc_co_u32_e32 v5, vcc, 0, v5, vcc
	s_waitcnt vmcnt(6)
	v_subrev_u32_e32 v7, s30, v7
	v_mad_u64_u32 v[20:21], s[2:3], v7, 6, v[14:15]
	v_add_u32_e32 v22, 2, v20
	v_add_u32_e32 v21, 1, v20
	;; [unrolled: 1-line block ×5, first 2 shown]
	global_store_dwordx3 v[10:11], v[20:22], off offset:-12
	s_waitcnt vmcnt(3)
	global_store_dwordx4 v[8:9], v[16:19], off offset:-16
	global_store_dwordx3 v[10:11], v[24:26], off
	s_waitcnt vmcnt(3)
	global_store_dwordx2 v[8:9], v[30:31], off
	v_add_co_u32_e32 v8, vcc, 0x300, v8
	v_addc_co_u32_e32 v9, vcc, 0, v9, vcc
	v_add_co_u32_e32 v10, vcc, 0x300, v10
	v_addc_co_u32_e32 v11, vcc, 0, v11, vcc
	s_andn2_b64 exec, exec, s[4:5]
	s_cbranch_execnz .LBB18_12
.LBB18_13:
	s_endpgm
	.section	.rodata,"a",@progbits
	.p2align	6, 0x0
	.amdhsa_kernel _ZN9rocsparseL32bsr2csr_block_per_row_2_7_kernelILj256ELj6EiliEEv20rocsparse_direction_T3_S2_21rocsparse_index_base_PKT1_PKT2_PKS2_S2_S3_PS4_PS7_PS2_
		.amdhsa_group_segment_fixed_size 0
		.amdhsa_private_segment_fixed_size 0
		.amdhsa_kernarg_size 72
		.amdhsa_user_sgpr_count 6
		.amdhsa_user_sgpr_private_segment_buffer 1
		.amdhsa_user_sgpr_dispatch_ptr 0
		.amdhsa_user_sgpr_queue_ptr 0
		.amdhsa_user_sgpr_kernarg_segment_ptr 1
		.amdhsa_user_sgpr_dispatch_id 0
		.amdhsa_user_sgpr_flat_scratch_init 0
		.amdhsa_user_sgpr_kernarg_preload_length 0
		.amdhsa_user_sgpr_kernarg_preload_offset 0
		.amdhsa_user_sgpr_private_segment_size 0
		.amdhsa_uses_dynamic_stack 0
		.amdhsa_system_sgpr_private_segment_wavefront_offset 0
		.amdhsa_system_sgpr_workgroup_id_x 1
		.amdhsa_system_sgpr_workgroup_id_y 0
		.amdhsa_system_sgpr_workgroup_id_z 0
		.amdhsa_system_sgpr_workgroup_info 0
		.amdhsa_system_vgpr_workitem_id 0
		.amdhsa_next_free_vgpr 64
		.amdhsa_next_free_sgpr 50
		.amdhsa_accum_offset 64
		.amdhsa_reserve_vcc 1
		.amdhsa_reserve_flat_scratch 0
		.amdhsa_float_round_mode_32 0
		.amdhsa_float_round_mode_16_64 0
		.amdhsa_float_denorm_mode_32 3
		.amdhsa_float_denorm_mode_16_64 3
		.amdhsa_dx10_clamp 1
		.amdhsa_ieee_mode 1
		.amdhsa_fp16_overflow 0
		.amdhsa_tg_split 0
		.amdhsa_exception_fp_ieee_invalid_op 0
		.amdhsa_exception_fp_denorm_src 0
		.amdhsa_exception_fp_ieee_div_zero 0
		.amdhsa_exception_fp_ieee_overflow 0
		.amdhsa_exception_fp_ieee_underflow 0
		.amdhsa_exception_fp_ieee_inexact 0
		.amdhsa_exception_int_div_zero 0
	.end_amdhsa_kernel
	.section	.text._ZN9rocsparseL32bsr2csr_block_per_row_2_7_kernelILj256ELj6EiliEEv20rocsparse_direction_T3_S2_21rocsparse_index_base_PKT1_PKT2_PKS2_S2_S3_PS4_PS7_PS2_,"axG",@progbits,_ZN9rocsparseL32bsr2csr_block_per_row_2_7_kernelILj256ELj6EiliEEv20rocsparse_direction_T3_S2_21rocsparse_index_base_PKT1_PKT2_PKS2_S2_S3_PS4_PS7_PS2_,comdat
.Lfunc_end18:
	.size	_ZN9rocsparseL32bsr2csr_block_per_row_2_7_kernelILj256ELj6EiliEEv20rocsparse_direction_T3_S2_21rocsparse_index_base_PKT1_PKT2_PKS2_S2_S3_PS4_PS7_PS2_, .Lfunc_end18-_ZN9rocsparseL32bsr2csr_block_per_row_2_7_kernelILj256ELj6EiliEEv20rocsparse_direction_T3_S2_21rocsparse_index_base_PKT1_PKT2_PKS2_S2_S3_PS4_PS7_PS2_
                                        ; -- End function
	.section	.AMDGPU.csdata,"",@progbits
; Kernel info:
; codeLenInByte = 3636
; NumSgprs: 54
; NumVgprs: 64
; NumAgprs: 0
; TotalNumVgprs: 64
; ScratchSize: 0
; MemoryBound: 0
; FloatMode: 240
; IeeeMode: 1
; LDSByteSize: 0 bytes/workgroup (compile time only)
; SGPRBlocks: 6
; VGPRBlocks: 7
; NumSGPRsForWavesPerEU: 54
; NumVGPRsForWavesPerEU: 64
; AccumOffset: 64
; Occupancy: 8
; WaveLimiterHint : 1
; COMPUTE_PGM_RSRC2:SCRATCH_EN: 0
; COMPUTE_PGM_RSRC2:USER_SGPR: 6
; COMPUTE_PGM_RSRC2:TRAP_HANDLER: 0
; COMPUTE_PGM_RSRC2:TGID_X_EN: 1
; COMPUTE_PGM_RSRC2:TGID_Y_EN: 0
; COMPUTE_PGM_RSRC2:TGID_Z_EN: 0
; COMPUTE_PGM_RSRC2:TIDIG_COMP_CNT: 0
; COMPUTE_PGM_RSRC3_GFX90A:ACCUM_OFFSET: 15
; COMPUTE_PGM_RSRC3_GFX90A:TG_SPLIT: 0
	.section	.text._ZN9rocsparseL32bsr2csr_block_per_row_2_7_kernelILj256ELj7EiliEEv20rocsparse_direction_T3_S2_21rocsparse_index_base_PKT1_PKT2_PKS2_S2_S3_PS4_PS7_PS2_,"axG",@progbits,_ZN9rocsparseL32bsr2csr_block_per_row_2_7_kernelILj256ELj7EiliEEv20rocsparse_direction_T3_S2_21rocsparse_index_base_PKT1_PKT2_PKS2_S2_S3_PS4_PS7_PS2_,comdat
	.globl	_ZN9rocsparseL32bsr2csr_block_per_row_2_7_kernelILj256ELj7EiliEEv20rocsparse_direction_T3_S2_21rocsparse_index_base_PKT1_PKT2_PKS2_S2_S3_PS4_PS7_PS2_ ; -- Begin function _ZN9rocsparseL32bsr2csr_block_per_row_2_7_kernelILj256ELj7EiliEEv20rocsparse_direction_T3_S2_21rocsparse_index_base_PKT1_PKT2_PKS2_S2_S3_PS4_PS7_PS2_
	.p2align	8
	.type	_ZN9rocsparseL32bsr2csr_block_per_row_2_7_kernelILj256ELj7EiliEEv20rocsparse_direction_T3_S2_21rocsparse_index_base_PKT1_PKT2_PKS2_S2_S3_PS4_PS7_PS2_,@function
_ZN9rocsparseL32bsr2csr_block_per_row_2_7_kernelILj256ELj7EiliEEv20rocsparse_direction_T3_S2_21rocsparse_index_base_PKT1_PKT2_PKS2_S2_S3_PS4_PS7_PS2_: ; @_ZN9rocsparseL32bsr2csr_block_per_row_2_7_kernelILj256ELj7EiliEEv20rocsparse_direction_T3_S2_21rocsparse_index_base_PKT1_PKT2_PKS2_S2_S3_PS4_PS7_PS2_
; %bb.0:
	s_load_dwordx2 s[2:3], s[4:5], 0x18
	s_load_dword s34, s[4:5], 0x2c
	s_load_dwordx2 s[0:1], s[4:5], 0x38
	s_ashr_i32 s7, s6, 31
	s_lshl_b64 s[8:9], s[6:7], 3
	s_waitcnt lgkmcnt(0)
	s_add_u32 s2, s2, s8
	v_or_b32_e32 v1, s6, v0
	s_addc_u32 s3, s3, s9
	v_cmp_eq_u32_e32 vcc, 0, v1
	s_and_saveexec_b64 s[8:9], vcc
	s_cbranch_execz .LBB19_2
; %bb.1:
	v_mov_b32_e32 v2, s34
	v_mov_b32_e32 v3, 0
	global_store_dwordx2 v3, v[2:3], s[0:1]
.LBB19_2:
	s_or_b64 exec, exec, s[8:9]
	v_and_b32_e32 v40, 7, v0
	v_cmp_ne_u32_e32 vcc, 7, v40
	s_and_saveexec_b64 s[8:9], vcc
	s_cbranch_execz .LBB19_15
; %bb.3:
	s_load_dwordx4 s[8:11], s[2:3], 0x0
	s_load_dword s33, s[4:5], 0xc
	v_lshrrev_b32_e32 v4, 3, v0
	v_mov_b32_e32 v3, 0
	v_mov_b32_e32 v8, s1
	s_mov_b32 s2, 0
	s_waitcnt lgkmcnt(0)
	s_sub_u32 s37, s8, s33
	s_subb_u32 s38, s9, 0
	s_sub_u32 s10, s10, s33
	s_mul_i32 s3, s38, 49
	s_mul_hi_u32 s7, s37, 49
	s_subb_u32 s11, s11, 0
	s_add_i32 s7, s7, s3
	s_sub_u32 s36, s10, s37
	s_mul_i32 s3, s37, 49
	s_subb_u32 s35, s11, s38
	v_mov_b32_e32 v0, s3
	v_mov_b32_e32 v1, s7
	s_mul_i32 s3, s35, 7
	s_mul_hi_u32 s7, s36, 7
	s_add_i32 s3, s7, s3
	s_mul_i32 s7, s36, 7
	v_mad_u64_u32 v[6:7], s[12:13], s7, v40, v[0:1]
	s_add_u32 s12, s7, s34
	v_mul_lo_u32 v5, s3, v40
	s_addc_u32 s3, s3, 0
	v_mov_b32_e32 v1, s3
	s_mul_i32 s3, s6, 7
	v_add_u32_e32 v7, v5, v7
	v_add_co_u32_e32 v0, vcc, s12, v6
	v_add3_u32 v2, v40, s3, 1
	v_addc_co_u32_e32 v1, vcc, v1, v7, vcc
	v_lshlrev_b64 v[2:3], 3, v[2:3]
	v_add_co_u32_e32 v2, vcc, s0, v2
	v_addc_co_u32_e32 v3, vcc, v8, v3, vcc
	global_store_dwordx2 v[2:3], v[0:1], off
	v_mov_b32_e32 v1, s38
	v_add_co_u32_e32 v0, vcc, s37, v4
	v_addc_co_u32_e32 v1, vcc, 0, v1, vcc
	v_cmp_gt_i64_e32 vcc, s[10:11], v[0:1]
	s_and_b64 exec, exec, vcc
	s_cbranch_execz .LBB19_15
; %bb.4:
	v_mov_b32_e32 v2, s9
	v_add_co_u32_e32 v3, vcc, s8, v4
	v_addc_co_u32_e32 v2, vcc, 0, v2, vcc
	s_load_dwordx2 s[14:15], s[4:5], 0x20
	s_load_dwordx2 s[18:19], s[4:5], 0x30
	s_load_dword s0, s[4:5], 0x0
	s_load_dwordx2 s[16:17], s[4:5], 0x10
	s_load_dwordx2 s[12:13], s[4:5], 0x40
	v_mov_b32_e32 v8, s2
	v_subrev_co_u32_e32 v3, vcc, s33, v3
	v_subb_co_u32_e32 v8, vcc, v2, v8, vcc
	v_add_co_u32_e32 v2, vcc, 32, v3
	s_waitcnt lgkmcnt(0)
	s_cmp_eq_u32 s0, 0
	v_addc_co_u32_e32 v3, vcc, 0, v8, vcc
	s_cselect_b64 s[0:1], -1, 0
	v_mov_b32_e32 v8, s11
	v_cmp_lt_i64_e32 vcc, s[10:11], v[2:3]
	s_not_b64 s[2:3], s[8:9]
	v_cndmask_b32_e32 v3, v8, v3, vcc
	v_mov_b32_e32 v8, s10
	s_add_u32 s2, s2, s33
	v_cndmask_b32_e32 v2, v8, v2, vcc
	s_addc_u32 s3, s3, 0
	v_mov_b32_e32 v8, s3
	v_add_co_u32_e32 v2, vcc, s2, v2
	v_addc_co_u32_e32 v3, vcc, v8, v3, vcc
	v_sub_co_u32_e32 v2, vcc, v2, v4
	v_subbrev_co_u32_e32 v3, vcc, 0, v3, vcc
	s_mov_b64 s[2:3], 0x1a9f
	v_mul_u32_u24_e32 v41, 7, v40
	v_cmp_lt_u64_e32 vcc, s[2:3], v[2:3]
	s_mov_b64 s[2:3], 0
                                        ; implicit-def: $vgpr8_vgpr9
	s_and_saveexec_b64 s[4:5], vcc
	s_xor_b64 s[20:21], exec, s[4:5]
	s_cbranch_execnz .LBB19_7
; %bb.5:
	s_andn2_saveexec_b64 s[4:5], s[20:21]
	s_cbranch_execnz .LBB19_12
.LBB19_6:
	s_or_b64 exec, exec, s[4:5]
	s_and_b64 exec, exec, s[2:3]
	s_cbranch_execnz .LBB19_13
	s_branch .LBB19_15
.LBB19_7:
	v_mad_u64_u32 v[12:13], s[2:3], s36, v40, 0
	v_mov_b32_e32 v8, v13
	v_mad_u64_u32 v[10:11], s[2:3], s7, v40, 0
	v_mad_u64_u32 v[8:9], s[2:3], s35, v40, v[8:9]
	v_add_u32_e32 v11, v11, v5
	v_mul_lo_u32 v5, v8, 28
	v_mad_u64_u32 v[8:9], s[2:3], v12, 28, 0
	s_mul_i32 s2, s9, 0xc4
	s_mul_hi_u32 s3, s8, 0xc4
	s_add_i32 s3, s3, s2
	s_mul_i32 s2, s8, 0xc4
	v_mov_b32_e32 v14, s2
	v_mov_b32_e32 v15, s3
	v_mad_u64_u32 v[12:13], s[2:3], v12, 28, v[14:15]
	v_add_u32_e32 v13, v5, v13
	v_mad_u64_u32 v[12:13], s[2:3], v4, 28, v[12:13]
	s_mul_hi_u32 s2, s33, 0xc4
	s_mul_i32 s3, s33, 0xc4
	v_add_u32_e32 v9, v9, v5
	v_mov_b32_e32 v5, s2
	v_subrev_co_u32_e32 v20, vcc, s3, v12
	v_subb_co_u32_e32 v21, vcc, v13, v5, vcc
	v_mov_b32_e32 v22, s13
	v_add_co_u32_e32 v5, vcc, s12, v20
	v_addc_co_u32_e32 v23, vcc, v22, v21, vcc
	s_movk_i32 s4, 0x380
	v_alignbit_b32 v16, v3, v2, 5
	v_add_co_u32_e32 v12, vcc, 20, v5
	v_lshrrev_b32_e32 v14, 5, v3
	v_mad_u64_u32 v[16:17], s[2:3], v16, s4, 0
	v_addc_co_u32_e32 v13, vcc, 0, v23, vcc
	v_mad_u64_u32 v[14:15], s[2:3], v14, s4, 0
	v_mov_b32_e32 v18, v17
	v_add_co_u32_e32 v18, vcc, v18, v14
	v_addc_co_u32_e32 v18, vcc, 0, v15, vcc
	v_mov_b32_e32 v19, 0
	v_cmp_ne_u64_e32 vcc, 0, v[18:19]
	v_add_u32_e32 v17, v17, v14
	v_add_co_u32_e64 v18, s[2:3], v5, v16
	v_addc_co_u32_e64 v19, s[2:3], v23, v17, s[2:3]
	v_add_co_u32_e64 v14, s[2:3], 20, v18
	v_addc_co_u32_e64 v15, s[2:3], 0, v19, s[2:3]
	v_cmp_lt_u64_e64 s[2:3], v[14:15], v[12:13]
	s_or_b64 s[4:5], s[2:3], vcc
	v_add_co_u32_e64 v12, s[2:3], 24, v5
	v_addc_co_u32_e64 v13, s[2:3], 0, v23, s[2:3]
	v_add_co_u32_e64 v14, s[2:3], 24, v18
	v_addc_co_u32_e64 v15, s[2:3], 0, v19, s[2:3]
	v_cmp_lt_u64_e64 s[2:3], v[14:15], v[12:13]
	s_or_b64 s[6:7], s[2:3], vcc
	;; [unrolled: 6-line block ×6, first 2 shown]
	v_mad_u64_u32 v[10:11], s[2:3], s8, 49, v[10:11]
	v_mov_b32_e32 v12, v11
	v_mad_u64_u32 v[12:13], s[2:3], s9, 49, v[12:13]
	v_mov_b32_e32 v11, v12
	v_mad_u64_u32 v[4:5], s[2:3], v4, 7, v[10:11]
	v_not_b32_e32 v10, 48
	v_mad_u64_u32 v[4:5], s[2:3], s33, v10, v[4:5]
	s_mul_i32 s2, s33, 0x3fffffff
	v_add_u32_e32 v5, s2, v5
	v_lshlrev_b64 v[4:5], 2, v[4:5]
	v_add_co_u32_e64 v10, s[2:3], s12, v4
	v_addc_co_u32_e64 v11, s[2:3], v22, v5, s[2:3]
	v_add_co_u32_e64 v12, s[2:3], v10, v16
	v_addc_co_u32_e64 v13, s[2:3], v11, v17, s[2:3]
	v_cmp_lt_u64_e64 s[2:3], v[12:13], v[10:11]
	s_or_b64 s[40:41], s[2:3], vcc
	v_mov_b32_e32 v14, s19
	v_add_co_u32_e64 v15, s[2:3], s18, v20
	v_addc_co_u32_e64 v18, s[2:3], v14, v21, s[2:3]
	v_add_co_u32_e64 v10, s[2:3], 20, v15
	v_addc_co_u32_e64 v11, s[2:3], 0, v18, s[2:3]
	;; [unrolled: 2-line block ×4, first 2 shown]
	v_cmp_lt_u64_e64 s[2:3], v[12:13], v[10:11]
	s_or_b64 s[42:43], s[2:3], vcc
	v_add_co_u32_e64 v10, s[2:3], 24, v15
	v_addc_co_u32_e64 v11, s[2:3], 0, v18, s[2:3]
	v_add_co_u32_e64 v12, s[2:3], 24, v19
	v_addc_co_u32_e64 v13, s[2:3], 0, v20, s[2:3]
	v_cmp_lt_u64_e64 s[2:3], v[12:13], v[10:11]
	s_or_b64 s[44:45], s[2:3], vcc
	v_add_co_u32_e64 v10, s[2:3], 16, v15
	v_addc_co_u32_e64 v11, s[2:3], 0, v18, s[2:3]
	v_add_co_u32_e64 v12, s[2:3], 16, v19
	v_addc_co_u32_e64 v13, s[2:3], 0, v20, s[2:3]
	;; [unrolled: 6-line block ×4, first 2 shown]
	v_cmp_lt_u64_e64 s[2:3], v[12:13], v[10:11]
	s_or_b64 s[4:5], s[4:5], s[6:7]
	s_or_b64 s[50:51], s[2:3], vcc
	v_add_co_u32_e64 v10, s[2:3], 4, v15
	s_or_b64 s[4:5], s[4:5], s[24:25]
	v_addc_co_u32_e64 v11, s[2:3], 0, v18, s[2:3]
	s_or_b64 s[4:5], s[4:5], s[26:27]
	v_add_co_u32_e64 v12, s[2:3], 4, v19
	s_or_b64 s[4:5], s[4:5], s[28:29]
	v_addc_co_u32_e64 v13, s[2:3], 0, v20, s[2:3]
	s_or_b64 s[4:5], s[4:5], s[30:31]
	v_cmp_lt_u64_e64 s[2:3], v[12:13], v[10:11]
	s_or_b64 s[4:5], s[4:5], s[40:41]
	s_or_b64 s[52:53], s[2:3], vcc
	v_add_co_u32_e64 v4, s[2:3], s18, v4
	s_or_b64 s[4:5], s[4:5], s[42:43]
	v_addc_co_u32_e64 v5, s[2:3], v14, v5, s[2:3]
	s_or_b64 s[4:5], s[4:5], s[44:45]
	v_add_co_u32_e64 v10, s[2:3], v4, v16
	s_or_b64 s[4:5], s[4:5], s[46:47]
	v_addc_co_u32_e64 v11, s[2:3], v5, v17, s[2:3]
	s_or_b64 s[4:5], s[4:5], s[48:49]
	v_cmp_lt_u64_e64 s[2:3], v[10:11], v[4:5]
	s_or_b64 s[4:5], s[4:5], s[50:51]
	s_or_b64 s[2:3], s[2:3], vcc
	s_or_b64 s[4:5], s[4:5], s[52:53]
	s_or_b64 s[4:5], s[4:5], s[2:3]
	s_movk_i32 s39, 0xc4
	s_mov_b64 s[22:23], 0
	s_mov_b64 s[2:3], -1
	s_xor_b64 s[4:5], s[4:5], -1
	s_and_saveexec_b64 s[24:25], s[4:5]
	s_cbranch_execz .LBB19_11
; %bb.8:
	v_lshlrev_b32_e32 v4, 2, v40
	v_mov_b32_e32 v5, s17
	v_add_co_u32_e32 v10, vcc, s16, v4
	v_addc_co_u32_e32 v11, vcc, 0, v5, vcc
	v_lshlrev_b32_e32 v4, 2, v41
	v_add_co_u32_e32 v14, vcc, s16, v4
	v_lshrrev_b64 v[2:3], 5, v[2:3]
	v_addc_co_u32_e32 v15, vcc, 0, v5, vcc
	v_add_co_u32_e32 v12, vcc, 1, v2
	v_addc_co_u32_e32 v13, vcc, 0, v3, vcc
	v_add_co_u32_e32 v2, vcc, 32, v0
	v_addc_co_u32_e32 v3, vcc, 0, v1, vcc
	v_lshlrev_b64 v[4:5], 2, v[0:1]
	v_mov_b32_e32 v20, s15
	v_add_co_u32_e32 v4, vcc, s14, v4
	v_addc_co_u32_e32 v5, vcc, v5, v20, vcc
	s_movk_i32 s2, 0x80
	v_add_co_u32_e32 v20, vcc, s2, v4
	v_and_b32_e32 v16, -2, v12
	v_mov_b32_e32 v17, v13
	v_addc_co_u32_e32 v21, vcc, 0, v5, vcc
	v_pk_mov_b32 v[4:5], v[2:3], v[2:3] op_sel:[0,1]
	s_mov_b32 s26, s33
	s_mov_b32 s27, s37
	;; [unrolled: 1-line block ×3, first 2 shown]
	v_mov_b32_e32 v18, v6
	v_mov_b32_e32 v19, v7
	s_mov_b32 s29, s34
	s_movk_i32 s30, 0x54
	s_movk_i32 s31, 0x70
	;; [unrolled: 1-line block ×4, first 2 shown]
	v_pk_mov_b32 v[22:23], v[16:17], v[16:17] op_sel:[0,1]
	v_pk_mov_b32 v[2:3], v[0:1], v[0:1] op_sel:[0,1]
.LBB19_9:                               ; =>This Inner Loop Header: Depth=1
	global_load_dword v33, v[20:21], off offset:-128
	global_load_dword v35, v[20:21], off
	v_mad_u64_u32 v[24:25], s[2:3], v4, s39, v[10:11]
	v_mad_u64_u32 v[26:27], s[2:3], v2, s39, v[10:11]
	;; [unrolled: 1-line block ×4, first 2 shown]
	v_mov_b32_e32 v36, s38
	v_mov_b32_e32 v37, s28
	v_subrev_co_u32_e32 v38, vcc, s27, v4
	v_subrev_co_u32_e64 v39, s[2:3], s37, v2
	v_subb_co_u32_e64 v49, s[2:3], v3, v36, s[2:3]
	v_subb_co_u32_e32 v47, vcc, v5, v37, vcc
	v_mad_u64_u32 v[36:37], s[2:3], v38, 7, v[18:19]
	v_mad_u64_u32 v[38:39], s[2:3], v39, 7, v[6:7]
	v_mov_b32_e32 v48, v39
	v_mad_u64_u32 v[48:49], s[2:3], v49, 7, v[48:49]
	v_mov_b32_e32 v46, v37
	v_mov_b32_e32 v39, v48
	v_mad_u64_u32 v[46:47], s[2:3], v47, 7, v[46:47]
	v_lshlrev_b64 v[38:39], 2, v[38:39]
	v_mov_b32_e32 v54, s13
	v_mov_b32_e32 v37, v46
	v_add_co_u32_e32 v46, vcc, s12, v38
	v_mov_b32_e32 v34, s34
	v_mul_lo_u32 v43, v3, s39
	v_lshlrev_b64 v[36:37], 2, v[36:37]
	v_addc_co_u32_e32 v47, vcc, v54, v39, vcc
	v_mov_b32_e32 v32, s29
	v_mul_lo_u32 v42, v5, s39
	v_add_u32_e32 v27, v43, v27
	v_add_u32_e32 v29, v43, v29
	v_add_co_u32_e32 v48, vcc, s12, v36
	v_add_u32_e32 v25, v42, v25
	v_add_u32_e32 v31, v42, v31
	v_cndmask_b32_e64 v44, v26, v28, s[0:1]
	v_cndmask_b32_e64 v45, v27, v29, s[0:1]
	v_addc_co_u32_e32 v49, vcc, v54, v37, vcc
	v_cndmask_b32_e64 v42, v24, v30, s[0:1]
	v_cndmask_b32_e64 v43, v25, v31, s[0:1]
	v_mov_b32_e32 v55, s19
	s_waitcnt vmcnt(1)
	v_subrev_u32_e32 v50, s33, v33
	s_waitcnt vmcnt(0)
	v_subrev_u32_e32 v33, s26, v35
	v_mad_u64_u32 v[34:35], s[2:3], v50, 7, v[34:35]
	v_mad_u64_u32 v[32:33], s[2:3], v33, 7, v[32:33]
	global_store_dword v[46:47], v34, off
	global_store_dword v[48:49], v32, off
	global_load_dword v33, v[44:45], off
	global_load_dword v35, v[42:43], off
	v_add_co_u32_e32 v42, vcc, 4, v30
	v_add_co_u32_e64 v43, s[2:3], 28, v26
	v_add_co_u32_e64 v44, s[4:5], 28, v24
	;; [unrolled: 1-line block ×3, first 2 shown]
	v_addc_co_u32_e64 v46, s[6:7], 0, v29, s[6:7]
	v_addc_co_u32_e32 v47, vcc, 0, v31, vcc
	v_addc_co_u32_e64 v48, vcc, 0, v27, s[2:3]
	v_addc_co_u32_e64 v49, vcc, 0, v25, s[4:5]
	v_cndmask_b32_e64 v42, v44, v42, s[0:1]
	v_cndmask_b32_e64 v44, v43, v45, s[0:1]
	;; [unrolled: 1-line block ×3, first 2 shown]
	v_add_co_u32_e32 v46, vcc, s18, v38
	v_cndmask_b32_e64 v43, v49, v47, s[0:1]
	v_addc_co_u32_e32 v47, vcc, v55, v39, vcc
	v_add_co_u32_e32 v48, vcc, s18, v36
	v_addc_co_u32_e32 v49, vcc, v55, v37, vcc
	v_add_co_u32_e32 v56, vcc, 4, v38
	;; [unrolled: 2-line block ×5, first 2 shown]
	v_add_u32_e32 v61, 1, v34
	v_addc_co_u32_e32 v53, vcc, v54, v59, vcc
	v_add_u32_e32 v60, 1, v32
	global_store_dword v[50:51], v61, off
	global_store_dword v[52:53], v60, off
	s_waitcnt vmcnt(3)
	global_store_dword v[46:47], v33, off
	s_waitcnt vmcnt(3)
	global_store_dword v[48:49], v35, off
	global_load_dword v33, v[44:45], off
	s_nop 0
	global_load_dword v35, v[42:43], off
	v_add_co_u32_e32 v42, vcc, 8, v30
	v_add_co_u32_e64 v43, s[2:3], 56, v26
	v_add_co_u32_e64 v44, s[4:5], 56, v24
	v_addc_co_u32_e32 v47, vcc, 0, v31, vcc
	v_addc_co_u32_e64 v48, vcc, 0, v27, s[2:3]
	v_addc_co_u32_e64 v49, vcc, 0, v25, s[4:5]
	v_add_co_u32_e32 v60, vcc, 8, v38
	v_addc_co_u32_e32 v61, vcc, 0, v39, vcc
	v_add_co_u32_e64 v45, s[6:7], 8, v28
	v_add_co_u32_e32 v62, vcc, 8, v36
	v_addc_co_u32_e64 v46, s[6:7], 0, v29, s[6:7]
	v_addc_co_u32_e32 v63, vcc, 0, v37, vcc
	v_cndmask_b32_e64 v42, v44, v42, s[0:1]
	v_cndmask_b32_e64 v44, v43, v45, s[0:1]
	v_cndmask_b32_e64 v45, v48, v46, s[0:1]
	v_add_co_u32_e32 v46, vcc, s18, v56
	v_cndmask_b32_e64 v43, v49, v47, s[0:1]
	v_addc_co_u32_e32 v47, vcc, v55, v57, vcc
	v_add_co_u32_e32 v48, vcc, s18, v58
	v_addc_co_u32_e32 v49, vcc, v55, v59, vcc
	v_add_co_u32_e32 v50, vcc, s12, v60
	v_addc_co_u32_e32 v51, vcc, v54, v61, vcc
	v_add_co_u32_e32 v52, vcc, s12, v62
	v_add_u32_e32 v57, 2, v34
	v_addc_co_u32_e32 v53, vcc, v54, v63, vcc
	v_add_u32_e32 v56, 2, v32
	global_store_dword v[50:51], v57, off
	global_store_dword v[52:53], v56, off
	s_waitcnt vmcnt(3)
	global_store_dword v[46:47], v33, off
	s_waitcnt vmcnt(3)
	global_store_dword v[48:49], v35, off
	global_load_dword v33, v[44:45], off
	s_nop 0
	global_load_dword v35, v[42:43], off
	v_add_co_u32_e32 v42, vcc, 12, v30
	v_add_co_u32_e64 v43, s[2:3], s30, v26
	v_add_co_u32_e64 v44, s[4:5], s30, v24
	v_addc_co_u32_e32 v47, vcc, 0, v31, vcc
	v_addc_co_u32_e64 v48, vcc, 0, v27, s[2:3]
	v_addc_co_u32_e64 v49, vcc, 0, v25, s[4:5]
	v_add_co_u32_e32 v56, vcc, 12, v38
	v_addc_co_u32_e32 v57, vcc, 0, v39, vcc
	v_add_co_u32_e64 v45, s[6:7], 12, v28
	v_add_co_u32_e32 v58, vcc, 12, v36
	v_addc_co_u32_e64 v46, s[6:7], 0, v29, s[6:7]
	v_addc_co_u32_e32 v59, vcc, 0, v37, vcc
	v_cndmask_b32_e64 v42, v44, v42, s[0:1]
	v_cndmask_b32_e64 v44, v43, v45, s[0:1]
	v_cndmask_b32_e64 v45, v48, v46, s[0:1]
	v_add_co_u32_e32 v46, vcc, s18, v60
	v_cndmask_b32_e64 v43, v49, v47, s[0:1]
	v_addc_co_u32_e32 v47, vcc, v55, v61, vcc
	v_add_co_u32_e32 v48, vcc, s18, v62
	v_addc_co_u32_e32 v49, vcc, v55, v63, vcc
	v_add_co_u32_e32 v50, vcc, s12, v56
	v_addc_co_u32_e32 v51, vcc, v54, v57, vcc
	v_add_co_u32_e32 v52, vcc, s12, v58
	;; [unrolled: 35-line block ×4, first 2 shown]
	v_add_u32_e32 v61, 5, v34
	v_addc_co_u32_e32 v53, vcc, v54, v59, vcc
	v_add_u32_e32 v60, 5, v32
	v_add_co_u32_e32 v30, vcc, 24, v30
	v_add_co_u32_e64 v26, s[2:3], s41, v26
	v_add_co_u32_e64 v24, s[4:5], s41, v24
	v_addc_co_u32_e32 v31, vcc, 0, v31, vcc
	v_addc_co_u32_e64 v27, vcc, 0, v27, s[2:3]
	v_addc_co_u32_e64 v25, vcc, 0, v25, s[4:5]
	v_add_co_u32_e64 v28, s[6:7], 24, v28
	v_addc_co_u32_e64 v29, s[6:7], 0, v29, s[6:7]
	v_cndmask_b32_e64 v26, v26, v28, s[0:1]
	v_cndmask_b32_e64 v27, v27, v29, s[0:1]
	;; [unrolled: 1-line block ×4, first 2 shown]
	v_add_u32_e32 v34, 6, v34
	v_add_u32_e32 v32, 6, v32
	v_add_co_u32_e64 v22, s[4:5], -2, v22
	v_addc_co_u32_e64 v23, s[4:5], -1, v23, s[4:5]
	v_add_co_u32_e64 v2, s[2:3], 64, v2
	v_add_co_u32_e64 v4, s[4:5], 64, v4
	global_store_dword v[50:51], v61, off
	global_store_dword v[52:53], v60, off
	s_waitcnt vmcnt(3)
	global_store_dword v[46:47], v33, off
	s_waitcnt vmcnt(3)
	global_store_dword v[48:49], v35, off
	global_load_dword v33, v[44:45], off
	s_nop 0
	global_load_dword v35, v[42:43], off
	v_add_co_u32_e32 v42, vcc, 24, v38
	v_addc_co_u32_e32 v43, vcc, 0, v39, vcc
	v_add_co_u32_e32 v44, vcc, 24, v36
	v_addc_co_u32_e32 v45, vcc, 0, v37, vcc
	;; [unrolled: 2-line block ×7, first 2 shown]
	v_cmp_eq_u64_e32 vcc, 0, v[22:23]
	s_or_b64 s[22:23], vcc, s[22:23]
	v_addc_co_u32_e64 v5, s[4:5], 0, v5, s[4:5]
	v_addc_co_u32_e64 v3, s[2:3], 0, v3, s[2:3]
	global_store_dword v[36:37], v34, off
	global_store_dword v[38:39], v32, off
	s_waitcnt vmcnt(3)
	global_store_dword v[28:29], v33, off
	s_waitcnt vmcnt(3)
	global_store_dword v[30:31], v35, off
	global_load_dword v28, v[26:27], off
	global_load_dword v29, v[24:25], off
	v_add_co_u32_e32 v24, vcc, s18, v42
	v_addc_co_u32_e32 v25, vcc, v55, v43, vcc
	v_add_co_u32_e32 v26, vcc, s18, v44
	v_addc_co_u32_e32 v27, vcc, v55, v45, vcc
	s_waitcnt vmcnt(1)
	global_store_dword v[24:25], v28, off
	s_waitcnt vmcnt(1)
	global_store_dword v[26:27], v29, off
	s_andn2_b64 exec, exec, s[22:23]
	s_cbranch_execnz .LBB19_9
; %bb.10:
	s_or_b64 exec, exec, s[22:23]
	v_lshlrev_b64 v[2:3], 5, v[16:17]
	v_add_co_u32_e32 v0, vcc, v0, v2
	v_addc_co_u32_e32 v1, vcc, v1, v3, vcc
	v_cmp_ne_u64_e32 vcc, v[12:13], v[16:17]
	s_orn2_b64 s[2:3], vcc, exec
.LBB19_11:
	s_or_b64 exec, exec, s[24:25]
	s_and_b64 s[2:3], s[2:3], exec
	s_andn2_saveexec_b64 s[4:5], s[20:21]
	s_cbranch_execz .LBB19_6
.LBB19_12:
	v_mad_u64_u32 v[2:3], s[6:7], s36, v40, 0
	v_mov_b32_e32 v4, v3
	v_mad_u64_u32 v[8:9], s[6:7], v2, 28, 0
	v_mad_u64_u32 v[4:5], s[6:7], s35, v40, v[4:5]
	v_mov_b32_e32 v2, v9
	v_mad_u64_u32 v[2:3], s[6:7], v4, 28, v[2:3]
	v_mov_b32_e32 v9, v2
	s_or_b64 s[2:3], s[2:3], exec
	s_or_b64 exec, exec, s[4:5]
	s_and_b64 exec, exec, s[2:3]
	s_cbranch_execz .LBB19_15
.LBB19_13:
	v_mov_b32_e32 v2, 0xa8
	v_mad_u64_u32 v[2:3], s[2:3], s8, v2, v[8:9]
	s_mul_i32 s2, s9, 0xa8
	v_add_u32_e32 v3, s2, v3
	v_mad_u64_u32 v[2:3], s[2:3], v0, 28, v[2:3]
	v_mov_b32_e32 v4, v3
	v_mad_u64_u32 v[4:5], s[2:3], v1, 28, v[4:5]
	s_mul_hi_u32 s2, s33, 0xa8
	s_mul_i32 s3, s33, 0xa8
	v_mov_b32_e32 v3, v4
	v_mov_b32_e32 v4, s2
	v_subrev_co_u32_e32 v10, vcc, s3, v2
	v_subb_co_u32_e32 v14, vcc, v3, v4, vcc
	v_mov_b32_e32 v2, s19
	v_add_co_u32_e32 v9, vcc, s18, v10
	v_addc_co_u32_e32 v11, vcc, v2, v14, vcc
	v_lshlrev_b64 v[2:3], 2, v[0:1]
	s_movk_i32 s4, 0xc4
	v_pk_mov_b32 v[6:7], s[16:17], s[16:17] op_sel:[0,1]
	v_mov_b32_e32 v4, s15
	v_add_co_u32_e32 v2, vcc, s14, v2
	v_mad_u64_u32 v[6:7], s[2:3], v0, s4, v[6:7]
	v_addc_co_u32_e32 v3, vcc, v4, v3, vcc
	v_mov_b32_e32 v8, v7
	v_mad_u64_u32 v[12:13], s[2:3], v1, s4, v[8:9]
	v_mov_b32_e32 v8, s13
	v_add_co_u32_e32 v7, vcc, s12, v10
	v_lshlrev_b32_e32 v4, 2, v40
	v_mov_b32_e32 v5, v12
	v_addc_co_u32_e32 v12, vcc, v8, v14, vcc
	v_lshlrev_b32_e32 v8, 2, v41
	s_mov_b64 s[4:5], 0
	v_mov_b32_e32 v10, s34
	s_movk_i32 s8, 0x54
	s_movk_i32 s9, 0x70
	;; [unrolled: 1-line block ×4, first 2 shown]
	s_mov_b64 s[6:7], 0
.LBB19_14:                              ; =>This Inner Loop Header: Depth=1
	v_add_co_u32_e32 v16, vcc, v6, v4
	v_addc_co_u32_e32 v17, vcc, 0, v5, vcc
	v_add_co_u32_e32 v18, vcc, v6, v8
	v_addc_co_u32_e32 v19, vcc, 0, v5, vcc
	;; [unrolled: 2-line block ×12, first 2 shown]
	global_load_dword v13, v[2:3], off
	v_add_co_u32_e32 v40, vcc, 24, v18
	v_addc_co_u32_e32 v41, vcc, 0, v19, vcc
	v_cndmask_b32_e64 v15, v17, v19, s[0:1]
	v_cndmask_b32_e64 v14, v16, v18, s[0:1]
	v_add_co_u32_e32 v16, vcc, s13, v16
	v_cndmask_b32_e64 v19, v23, v21, s[0:1]
	v_cndmask_b32_e64 v18, v22, v20, s[0:1]
	global_load_dword v14, v[14:15], off
	v_cndmask_b32_e64 v21, v27, v25, s[0:1]
	v_cndmask_b32_e64 v20, v26, v24, s[0:1]
	;; [unrolled: 1-line block ×8, first 2 shown]
	v_addc_co_u32_e32 v31, vcc, 0, v17, vcc
	v_cndmask_b32_e64 v30, v16, v40, s[0:1]
	global_load_dword v15, v[18:19], off
	global_load_dword v16, v[20:21], off
	;; [unrolled: 1-line block ×5, first 2 shown]
	v_cndmask_b32_e64 v31, v31, v41, s[0:1]
	global_load_dword v24, v[30:31], off
	v_add_co_u32_e64 v0, s[2:3], 32, v0
	v_mov_b32_e32 v18, s7
	v_add_co_u32_e32 v30, vcc, s6, v9
	v_addc_co_u32_e64 v1, s[2:3], 0, v1, s[2:3]
	v_add_co_u32_e64 v32, s[2:3], s6, v7
	v_addc_co_u32_e32 v31, vcc, v11, v18, vcc
	s_add_u32 s6, s6, 0x380
	v_addc_co_u32_e64 v33, s[2:3], v12, v18, s[2:3]
	v_add_co_u32_e32 v2, vcc, 0x80, v2
	s_addc_u32 s7, s7, 0
	v_cmp_le_i64_e64 s[2:3], s[10:11], v[0:1]
	v_addc_co_u32_e32 v3, vcc, 0, v3, vcc
	s_or_b64 s[4:5], s[2:3], s[4:5]
	v_add_co_u32_e32 v6, vcc, 0x1880, v6
	v_addc_co_u32_e32 v5, vcc, 0, v5, vcc
	s_waitcnt vmcnt(7)
	v_subrev_u32_e32 v13, s33, v13
	v_mad_u64_u32 v[26:27], s[2:3], v13, 7, v[10:11]
	v_add_u32_e32 v28, 2, v26
	v_add_u32_e32 v27, 1, v26
	;; [unrolled: 1-line block ×6, first 2 shown]
	global_store_dwordx3 v[32:33], v[26:28], off
	s_waitcnt vmcnt(4)
	global_store_dwordx4 v[30:31], v[14:17], off
	global_store_dwordx4 v[32:33], v[18:21], off offset:12
	s_waitcnt vmcnt(3)
	global_store_dwordx3 v[30:31], v[22:24], off offset:16
	s_andn2_b64 exec, exec, s[4:5]
	s_cbranch_execnz .LBB19_14
.LBB19_15:
	s_endpgm
	.section	.rodata,"a",@progbits
	.p2align	6, 0x0
	.amdhsa_kernel _ZN9rocsparseL32bsr2csr_block_per_row_2_7_kernelILj256ELj7EiliEEv20rocsparse_direction_T3_S2_21rocsparse_index_base_PKT1_PKT2_PKS2_S2_S3_PS4_PS7_PS2_
		.amdhsa_group_segment_fixed_size 0
		.amdhsa_private_segment_fixed_size 0
		.amdhsa_kernarg_size 72
		.amdhsa_user_sgpr_count 6
		.amdhsa_user_sgpr_private_segment_buffer 1
		.amdhsa_user_sgpr_dispatch_ptr 0
		.amdhsa_user_sgpr_queue_ptr 0
		.amdhsa_user_sgpr_kernarg_segment_ptr 1
		.amdhsa_user_sgpr_dispatch_id 0
		.amdhsa_user_sgpr_flat_scratch_init 0
		.amdhsa_user_sgpr_kernarg_preload_length 0
		.amdhsa_user_sgpr_kernarg_preload_offset 0
		.amdhsa_user_sgpr_private_segment_size 0
		.amdhsa_uses_dynamic_stack 0
		.amdhsa_system_sgpr_private_segment_wavefront_offset 0
		.amdhsa_system_sgpr_workgroup_id_x 1
		.amdhsa_system_sgpr_workgroup_id_y 0
		.amdhsa_system_sgpr_workgroup_id_z 0
		.amdhsa_system_sgpr_workgroup_info 0
		.amdhsa_system_vgpr_workitem_id 0
		.amdhsa_next_free_vgpr 64
		.amdhsa_next_free_sgpr 54
		.amdhsa_accum_offset 64
		.amdhsa_reserve_vcc 1
		.amdhsa_reserve_flat_scratch 0
		.amdhsa_float_round_mode_32 0
		.amdhsa_float_round_mode_16_64 0
		.amdhsa_float_denorm_mode_32 3
		.amdhsa_float_denorm_mode_16_64 3
		.amdhsa_dx10_clamp 1
		.amdhsa_ieee_mode 1
		.amdhsa_fp16_overflow 0
		.amdhsa_tg_split 0
		.amdhsa_exception_fp_ieee_invalid_op 0
		.amdhsa_exception_fp_denorm_src 0
		.amdhsa_exception_fp_ieee_div_zero 0
		.amdhsa_exception_fp_ieee_overflow 0
		.amdhsa_exception_fp_ieee_underflow 0
		.amdhsa_exception_fp_ieee_inexact 0
		.amdhsa_exception_int_div_zero 0
	.end_amdhsa_kernel
	.section	.text._ZN9rocsparseL32bsr2csr_block_per_row_2_7_kernelILj256ELj7EiliEEv20rocsparse_direction_T3_S2_21rocsparse_index_base_PKT1_PKT2_PKS2_S2_S3_PS4_PS7_PS2_,"axG",@progbits,_ZN9rocsparseL32bsr2csr_block_per_row_2_7_kernelILj256ELj7EiliEEv20rocsparse_direction_T3_S2_21rocsparse_index_base_PKT1_PKT2_PKS2_S2_S3_PS4_PS7_PS2_,comdat
.Lfunc_end19:
	.size	_ZN9rocsparseL32bsr2csr_block_per_row_2_7_kernelILj256ELj7EiliEEv20rocsparse_direction_T3_S2_21rocsparse_index_base_PKT1_PKT2_PKS2_S2_S3_PS4_PS7_PS2_, .Lfunc_end19-_ZN9rocsparseL32bsr2csr_block_per_row_2_7_kernelILj256ELj7EiliEEv20rocsparse_direction_T3_S2_21rocsparse_index_base_PKT1_PKT2_PKS2_S2_S3_PS4_PS7_PS2_
                                        ; -- End function
	.section	.AMDGPU.csdata,"",@progbits
; Kernel info:
; codeLenInByte = 4060
; NumSgprs: 58
; NumVgprs: 64
; NumAgprs: 0
; TotalNumVgprs: 64
; ScratchSize: 0
; MemoryBound: 0
; FloatMode: 240
; IeeeMode: 1
; LDSByteSize: 0 bytes/workgroup (compile time only)
; SGPRBlocks: 7
; VGPRBlocks: 7
; NumSGPRsForWavesPerEU: 58
; NumVGPRsForWavesPerEU: 64
; AccumOffset: 64
; Occupancy: 8
; WaveLimiterHint : 1
; COMPUTE_PGM_RSRC2:SCRATCH_EN: 0
; COMPUTE_PGM_RSRC2:USER_SGPR: 6
; COMPUTE_PGM_RSRC2:TRAP_HANDLER: 0
; COMPUTE_PGM_RSRC2:TGID_X_EN: 1
; COMPUTE_PGM_RSRC2:TGID_Y_EN: 0
; COMPUTE_PGM_RSRC2:TGID_Z_EN: 0
; COMPUTE_PGM_RSRC2:TIDIG_COMP_CNT: 0
; COMPUTE_PGM_RSRC3_GFX90A:ACCUM_OFFSET: 15
; COMPUTE_PGM_RSRC3_GFX90A:TG_SPLIT: 0
	.section	.text._ZN9rocsparseL33bsr2csr_block_per_row_8_32_kernelILj1024ELj8EiliEEv20rocsparse_direction_T3_S2_21rocsparse_index_base_PKT1_PKT2_PKS2_S2_S3_PS4_PS7_PS2_,"axG",@progbits,_ZN9rocsparseL33bsr2csr_block_per_row_8_32_kernelILj1024ELj8EiliEEv20rocsparse_direction_T3_S2_21rocsparse_index_base_PKT1_PKT2_PKS2_S2_S3_PS4_PS7_PS2_,comdat
	.globl	_ZN9rocsparseL33bsr2csr_block_per_row_8_32_kernelILj1024ELj8EiliEEv20rocsparse_direction_T3_S2_21rocsparse_index_base_PKT1_PKT2_PKS2_S2_S3_PS4_PS7_PS2_ ; -- Begin function _ZN9rocsparseL33bsr2csr_block_per_row_8_32_kernelILj1024ELj8EiliEEv20rocsparse_direction_T3_S2_21rocsparse_index_base_PKT1_PKT2_PKS2_S2_S3_PS4_PS7_PS2_
	.p2align	8
	.type	_ZN9rocsparseL33bsr2csr_block_per_row_8_32_kernelILj1024ELj8EiliEEv20rocsparse_direction_T3_S2_21rocsparse_index_base_PKT1_PKT2_PKS2_S2_S3_PS4_PS7_PS2_,@function
_ZN9rocsparseL33bsr2csr_block_per_row_8_32_kernelILj1024ELj8EiliEEv20rocsparse_direction_T3_S2_21rocsparse_index_base_PKT1_PKT2_PKS2_S2_S3_PS4_PS7_PS2_: ; @_ZN9rocsparseL33bsr2csr_block_per_row_8_32_kernelILj1024ELj8EiliEEv20rocsparse_direction_T3_S2_21rocsparse_index_base_PKT1_PKT2_PKS2_S2_S3_PS4_PS7_PS2_
; %bb.0:
	s_load_dwordx2 s[2:3], s[4:5], 0x18
	s_load_dwordx2 s[12:13], s[4:5], 0x28
	;; [unrolled: 1-line block ×3, first 2 shown]
	s_ashr_i32 s7, s6, 31
	s_lshl_b64 s[8:9], s[6:7], 3
	s_waitcnt lgkmcnt(0)
	s_add_u32 s2, s2, s8
	v_or_b32_e32 v1, s6, v0
	s_addc_u32 s3, s3, s9
	v_cmp_eq_u32_e32 vcc, 0, v1
	s_and_saveexec_b64 s[8:9], vcc
	s_cbranch_execz .LBB20_2
; %bb.1:
	v_mov_b32_e32 v2, s13
	v_mov_b32_e32 v3, 0
	global_store_dwordx2 v3, v[2:3], s[0:1]
.LBB20_2:
	s_or_b64 exec, exec, s[8:9]
	v_and_b32_e32 v22, 7, v0
	v_bfe_u32 v23, v0, 3, 3
	v_max_i32_e32 v1, v23, v22
	v_cmp_gt_i32_e32 vcc, s12, v1
	s_and_saveexec_b64 s[8:9], vcc
	s_cbranch_execz .LBB20_11
; %bb.3:
	s_load_dwordx4 s[8:11], s[2:3], 0x0
	s_load_dword s28, s[4:5], 0xc
	s_mul_i32 s18, s12, s12
	v_lshrrev_b32_e32 v2, 6, v0
	s_mov_b32 s29, 0
	v_mov_b32_e32 v9, 0
	s_waitcnt lgkmcnt(0)
	s_sub_u32 s33, s8, s28
	s_subb_u32 s34, s9, 0
	s_sub_u32 s10, s10, s28
	s_mul_i32 s2, s34, s18
	s_mul_hi_u32 s3, s33, s18
	s_subb_u32 s11, s11, 0
	s_add_i32 s17, s3, s2
	s_sub_u32 s31, s10, s33
	s_mul_i32 s16, s33, s18
	s_subb_u32 s30, s11, s34
	s_mul_i32 s2, s30, s12
	s_mul_hi_u32 s3, s31, s12
	s_mul_i32 s14, s31, s12
	v_pk_mov_b32 v[0:1], s[16:17], s[16:17] op_sel:[0,1]
	s_add_i32 s7, s3, s2
	v_mad_u64_u32 v[4:5], s[2:3], s14, v23, v[0:1]
	v_mov_b32_e32 v0, v5
	v_mad_u64_u32 v[0:1], s[2:3], s7, v23, v[0:1]
	s_add_u32 s2, s14, s13
	v_mov_b32_e32 v3, v0
	v_add_co_u32_e32 v0, vcc, s2, v4
	s_mul_i32 s2, s6, s12
	s_addc_u32 s3, s7, 0
	v_add_u32_e32 v6, s2, v23
	v_mov_b32_e32 v1, s3
	v_ashrrev_i32_e32 v7, 31, v6
	v_addc_co_u32_e32 v1, vcc, v1, v3, vcc
	v_lshlrev_b64 v[6:7], 3, v[6:7]
	v_mov_b32_e32 v5, s1
	v_add_co_u32_e32 v6, vcc, s0, v6
	v_addc_co_u32_e32 v7, vcc, v5, v7, vcc
	global_store_dwordx2 v[6:7], v[0:1], off offset:8
	v_mov_b32_e32 v1, s34
	v_add_co_u32_e32 v0, vcc, s33, v2
	v_addc_co_u32_e32 v1, vcc, 0, v1, vcc
	v_cmp_gt_i64_e32 vcc, s[10:11], v[0:1]
	s_and_b64 exec, exec, vcc
	s_cbranch_execz .LBB20_11
; %bb.4:
	s_load_dwordx2 s[20:21], s[4:5], 0x20
	s_load_dwordx2 s[6:7], s[4:5], 0x30
	;; [unrolled: 1-line block ×4, first 2 shown]
	s_load_dword s2, s[4:5], 0x0
	v_mul_lo_u32 v8, v22, s12
	v_lshlrev_b64 v[10:11], 2, v[8:9]
	s_mov_b32 s19, s29
	s_waitcnt lgkmcnt(0)
	v_mov_b32_e32 v5, s1
	v_add_co_u32_e32 v7, vcc, s0, v10
	v_addc_co_u32_e32 v8, vcc, v5, v11, vcc
	v_lshlrev_b32_e32 v10, 2, v23
	v_add_co_u32_e32 v7, vcc, v7, v10
	v_addc_co_u32_e32 v12, vcc, 0, v8, vcc
	v_mul_lo_u32 v8, v23, s12
	v_lshlrev_b64 v[8:9], 2, v[8:9]
	v_add_co_u32_e32 v8, vcc, s0, v8
	v_addc_co_u32_e32 v5, vcc, v5, v9, vcc
	v_lshlrev_b32_e32 v9, 2, v22
	v_add_co_u32_e32 v13, vcc, v8, v9
	v_mov_b32_e32 v8, s9
	v_add_co_u32_e64 v9, s[0:1], s8, v2
	v_addc_co_u32_e64 v8, s[0:1], 0, v8, s[0:1]
	v_mov_b32_e32 v10, s29
	v_subrev_co_u32_e64 v9, s[0:1], s28, v9
	v_subb_co_u32_e64 v10, s[0:1], v8, v10, s[0:1]
	v_add_co_u32_e64 v8, s[0:1], 16, v9
	v_addc_co_u32_e64 v9, s[0:1], 0, v10, s[0:1]
	v_mov_b32_e32 v10, s11
	v_cmp_lt_i64_e64 s[0:1], s[10:11], v[8:9]
	s_cmp_eq_u32 s2, 0
	v_addc_co_u32_e32 v5, vcc, 0, v5, vcc
	v_cndmask_b32_e64 v9, v10, v9, s[0:1]
	v_mov_b32_e32 v10, s10
	s_cselect_b64 vcc, -1, 0
	v_cndmask_b32_e64 v8, v10, v8, s[0:1]
	s_not_b64 s[0:1], s[8:9]
	s_add_u32 s0, s0, s28
	s_addc_u32 s1, s1, 0
	v_mov_b32_e32 v10, s1
	v_add_co_u32_e64 v8, s[0:1], s0, v8
	v_addc_co_u32_e64 v9, s[0:1], v10, v9, s[0:1]
	v_sub_co_u32_e64 v10, s[0:1], v8, v2
	v_subbrev_co_u32_e64 v11, s[0:1], 0, v9, s[0:1]
	s_mov_b32 s22, s12
	s_mov_b32 s23, s29
	v_add_u32_e32 v6, s13, v22
	v_cmp_lt_u64_e64 s[0:1], 15, v[10:11]
	s_mov_b64 s[2:3], -1
	v_cndmask_b32_e32 v9, v12, v5, vcc
	v_cndmask_b32_e32 v8, v7, v13, vcc
	s_and_saveexec_b64 s[24:25], s[0:1]
	s_cbranch_execz .LBB20_8
; %bb.5:
	v_add_co_u32_e32 v14, vcc, v4, v22
	v_addc_co_u32_e32 v15, vcc, 0, v3, vcc
	v_lshrrev_b64 v[2:3], 4, v[10:11]
	v_add_co_u32_e32 v10, vcc, 1, v2
	v_addc_co_u32_e32 v11, vcc, 0, v3, vcc
	v_add_co_u32_e32 v2, vcc, 16, v0
	v_addc_co_u32_e32 v3, vcc, 0, v1, vcc
	v_lshlrev_b64 v[4:5], 2, v[0:1]
	v_mov_b32_e32 v18, s21
	v_add_co_u32_e32 v4, vcc, s20, v4
	v_addc_co_u32_e32 v5, vcc, v5, v18, vcc
	v_add_co_u32_e32 v18, vcc, 64, v4
	v_and_b32_e32 v12, -2, v10
	v_mov_b32_e32 v13, v11
	v_addc_co_u32_e32 v19, vcc, 0, v5, vcc
	v_pk_mov_b32 v[4:5], v[2:3], v[2:3] op_sel:[0,1]
	s_mov_b32 s13, s28
	s_mov_b32 s35, s28
	;; [unrolled: 1-line block ×5, first 2 shown]
	v_mov_b32_e32 v16, v14
	v_mov_b32_e32 v17, v15
	s_mov_b32 s39, s12
	v_mov_b32_e32 v7, v6
	s_mov_b32 s40, s18
	s_mov_b64 s[26:27], 0
	v_mov_b32_e32 v24, s34
	v_pk_mov_b32 v[20:21], v[12:13], v[12:13] op_sel:[0,1]
	v_pk_mov_b32 v[2:3], v[0:1], v[0:1] op_sel:[0,1]
.LBB20_6:                               ; =>This Inner Loop Header: Depth=1
	global_load_dword v25, v[18:19], off offset:-64
	global_load_dword v27, v[18:19], off
	v_mad_u64_u32 v[30:31], s[0:1], v2, s18, 0
	v_subrev_co_u32_e32 v34, vcc, s33, v2
	v_mov_b32_e32 v38, v31
	v_subb_co_u32_e32 v43, vcc, v3, v24, vcc
	v_mad_u64_u32 v[28:29], s[0:1], v4, s40, 0
	v_mad_u64_u32 v[38:39], s[0:1], v3, s18, v[38:39]
	v_mov_b32_e32 v32, s37
	v_subrev_co_u32_e32 v33, vcc, s36, v4
	v_mov_b32_e32 v36, v29
	v_mov_b32_e32 v31, v38
	v_subb_co_u32_e32 v41, vcc, v5, v32, vcc
	v_mad_u64_u32 v[34:35], s[0:1], v34, s22, v[14:15]
	v_mad_u64_u32 v[36:37], s[0:1], v5, s40, v[36:37]
	v_lshlrev_b64 v[30:31], 2, v[30:31]
	v_mov_b32_e32 v42, v35
	v_mov_b32_e32 v29, v36
	v_add_co_u32_e32 v30, vcc, v8, v30
	v_mad_u64_u32 v[32:33], s[0:1], v33, s38, v[16:17]
	v_mad_u64_u32 v[42:43], s[0:1], v43, s22, v[42:43]
	v_lshlrev_b64 v[28:29], 2, v[28:29]
	v_addc_co_u32_e32 v31, vcc, v9, v31, vcc
	v_mov_b32_e32 v40, v33
	v_mov_b32_e32 v35, v42
	v_add_co_u32_e32 v28, vcc, v8, v28
	v_mad_u64_u32 v[40:41], s[0:1], v41, s38, v[40:41]
	v_lshlrev_b64 v[34:35], 2, v[34:35]
	v_addc_co_u32_e32 v29, vcc, v9, v29, vcc
	v_mov_b32_e32 v44, s15
	v_mov_b32_e32 v33, v40
	v_add_co_u32_e32 v36, vcc, s14, v34
	v_lshlrev_b64 v[32:33], 2, v[32:33]
	v_addc_co_u32_e32 v37, vcc, v44, v35, vcc
	v_mov_b32_e32 v26, v7
	v_add_co_u32_e32 v38, vcc, s14, v32
	v_addc_co_u32_e32 v39, vcc, v44, v33, vcc
	v_add_co_u32_e32 v18, vcc, 0x80, v18
	v_add_co_u32_e64 v20, s[4:5], -2, v20
	v_addc_co_u32_e64 v21, s[4:5], -1, v21, s[4:5]
	v_addc_co_u32_e32 v19, vcc, 0, v19, vcc
	v_cmp_eq_u64_e32 vcc, 0, v[20:21]
	s_or_b64 s[26:27], vcc, s[26:27]
	v_add_co_u32_e64 v2, s[2:3], 32, v2
	s_waitcnt vmcnt(1)
	v_subrev_u32_e32 v25, s13, v25
	s_waitcnt vmcnt(0)
	v_subrev_u32_e32 v27, s35, v27
	v_mad_u64_u32 v[40:41], s[0:1], v25, s12, v[6:7]
	v_mad_u64_u32 v[26:27], s[0:1], v27, s39, v[26:27]
	global_store_dword v[36:37], v40, off
	global_store_dword v[38:39], v26, off
	global_load_dword v25, v[30:31], off
	s_nop 0
	global_load_dword v36, v[28:29], off
	v_mov_b32_e32 v29, s7
	v_add_co_u32_e32 v26, vcc, s6, v34
	v_add_co_u32_e64 v4, s[0:1], 32, v4
	v_addc_co_u32_e32 v27, vcc, v29, v35, vcc
	v_addc_co_u32_e64 v5, s[0:1], 0, v5, s[0:1]
	v_addc_co_u32_e64 v3, s[0:1], 0, v3, s[2:3]
	v_add_co_u32_e32 v28, vcc, s6, v32
	v_addc_co_u32_e32 v29, vcc, v29, v33, vcc
	s_waitcnt vmcnt(1)
	global_store_dword v[26:27], v25, off
	s_waitcnt vmcnt(1)
	global_store_dword v[28:29], v36, off
	s_andn2_b64 exec, exec, s[26:27]
	s_cbranch_execnz .LBB20_6
; %bb.7:
	s_or_b64 exec, exec, s[26:27]
	v_lshlrev_b64 v[2:3], 4, v[12:13]
	v_add_co_u32_e32 v0, vcc, v0, v2
	v_addc_co_u32_e32 v1, vcc, v1, v3, vcc
	v_cmp_ne_u64_e32 vcc, v[10:11], v[12:13]
	s_orn2_b64 s[2:3], vcc, exec
.LBB20_8:
	s_or_b64 exec, exec, s[24:25]
	s_and_b64 exec, exec, s[2:3]
	s_cbranch_execz .LBB20_11
; %bb.9:
	v_mad_u64_u32 v[2:3], s[0:1], v0, s18, 0
	v_mov_b32_e32 v4, v3
	v_mad_u64_u32 v[4:5], s[0:1], v1, s18, v[4:5]
	v_mov_b32_e32 v3, v4
	v_lshlrev_b64 v[2:3], 2, v[2:3]
	v_mad_u64_u32 v[4:5], s[2:3], s31, v23, v[0:1]
	v_add_co_u32_e32 v2, vcc, v8, v2
	v_mov_b32_e32 v8, v5
	v_addc_co_u32_e32 v3, vcc, v9, v3, vcc
	v_mad_u64_u32 v[8:9], s[2:3], s30, v23, v[8:9]
	v_mov_b32_e32 v5, v8
	v_mov_b32_e32 v7, s29
	v_add_co_u32_e32 v4, vcc, s28, v4
	v_addc_co_u32_e32 v5, vcc, v5, v7, vcc
	v_mov_b32_e32 v7, s9
	v_subrev_co_u32_e32 v8, vcc, s8, v4
	v_subb_co_u32_e32 v7, vcc, v5, v7, vcc
	v_pk_mov_b32 v[4:5], s[16:17], s[16:17] op_sel:[0,1]
	v_mad_u64_u32 v[4:5], s[2:3], v8, s22, v[4:5]
	v_mov_b32_e32 v8, v5
	v_mad_u64_u32 v[8:9], s[2:3], v7, s22, v[8:9]
	v_mov_b32_e32 v5, v8
	v_add_co_u32_e32 v4, vcc, v4, v22
	v_addc_co_u32_e32 v5, vcc, 0, v5, vcc
	v_lshlrev_b64 v[8:9], 2, v[0:1]
	s_lshl_b64 s[0:1], s[18:19], 6
	s_lshl_b64 s[2:3], s[22:23], 6
	v_mov_b32_e32 v7, s21
	v_add_co_u32_e32 v8, vcc, s20, v8
	v_lshlrev_b64 v[4:5], 2, v[4:5]
	v_addc_co_u32_e32 v9, vcc, v7, v9, vcc
	s_mov_b64 s[4:5], 0
	v_mov_b32_e32 v7, s15
	v_mov_b32_e32 v10, s7
	;; [unrolled: 1-line block ×4, first 2 shown]
.LBB20_10:                              ; =>This Inner Loop Header: Depth=1
	global_load_dword v13, v[8:9], off
	global_load_dword v18, v[2:3], off
	v_add_co_u32_e32 v14, vcc, s14, v4
	v_addc_co_u32_e32 v15, vcc, v7, v5, vcc
	v_add_co_u32_e32 v16, vcc, s6, v4
	v_addc_co_u32_e32 v17, vcc, v10, v5, vcc
	;; [unrolled: 2-line block ×6, first 2 shown]
	v_cmp_le_i64_e32 vcc, s[10:11], v[0:1]
	s_or_b64 s[4:5], vcc, s[4:5]
	s_waitcnt vmcnt(1)
	v_subrev_u32_e32 v13, s28, v13
	s_waitcnt vmcnt(0)
	global_store_dword v[16:17], v18, off
	v_mad_u64_u32 v[16:17], s[8:9], v13, s12, v[6:7]
	global_store_dword v[14:15], v16, off
	s_andn2_b64 exec, exec, s[4:5]
	s_cbranch_execnz .LBB20_10
.LBB20_11:
	s_endpgm
	.section	.rodata,"a",@progbits
	.p2align	6, 0x0
	.amdhsa_kernel _ZN9rocsparseL33bsr2csr_block_per_row_8_32_kernelILj1024ELj8EiliEEv20rocsparse_direction_T3_S2_21rocsparse_index_base_PKT1_PKT2_PKS2_S2_S3_PS4_PS7_PS2_
		.amdhsa_group_segment_fixed_size 0
		.amdhsa_private_segment_fixed_size 0
		.amdhsa_kernarg_size 72
		.amdhsa_user_sgpr_count 6
		.amdhsa_user_sgpr_private_segment_buffer 1
		.amdhsa_user_sgpr_dispatch_ptr 0
		.amdhsa_user_sgpr_queue_ptr 0
		.amdhsa_user_sgpr_kernarg_segment_ptr 1
		.amdhsa_user_sgpr_dispatch_id 0
		.amdhsa_user_sgpr_flat_scratch_init 0
		.amdhsa_user_sgpr_kernarg_preload_length 0
		.amdhsa_user_sgpr_kernarg_preload_offset 0
		.amdhsa_user_sgpr_private_segment_size 0
		.amdhsa_uses_dynamic_stack 0
		.amdhsa_system_sgpr_private_segment_wavefront_offset 0
		.amdhsa_system_sgpr_workgroup_id_x 1
		.amdhsa_system_sgpr_workgroup_id_y 0
		.amdhsa_system_sgpr_workgroup_id_z 0
		.amdhsa_system_sgpr_workgroup_info 0
		.amdhsa_system_vgpr_workitem_id 0
		.amdhsa_next_free_vgpr 45
		.amdhsa_next_free_sgpr 41
		.amdhsa_accum_offset 48
		.amdhsa_reserve_vcc 1
		.amdhsa_reserve_flat_scratch 0
		.amdhsa_float_round_mode_32 0
		.amdhsa_float_round_mode_16_64 0
		.amdhsa_float_denorm_mode_32 3
		.amdhsa_float_denorm_mode_16_64 3
		.amdhsa_dx10_clamp 1
		.amdhsa_ieee_mode 1
		.amdhsa_fp16_overflow 0
		.amdhsa_tg_split 0
		.amdhsa_exception_fp_ieee_invalid_op 0
		.amdhsa_exception_fp_denorm_src 0
		.amdhsa_exception_fp_ieee_div_zero 0
		.amdhsa_exception_fp_ieee_overflow 0
		.amdhsa_exception_fp_ieee_underflow 0
		.amdhsa_exception_fp_ieee_inexact 0
		.amdhsa_exception_int_div_zero 0
	.end_amdhsa_kernel
	.section	.text._ZN9rocsparseL33bsr2csr_block_per_row_8_32_kernelILj1024ELj8EiliEEv20rocsparse_direction_T3_S2_21rocsparse_index_base_PKT1_PKT2_PKS2_S2_S3_PS4_PS7_PS2_,"axG",@progbits,_ZN9rocsparseL33bsr2csr_block_per_row_8_32_kernelILj1024ELj8EiliEEv20rocsparse_direction_T3_S2_21rocsparse_index_base_PKT1_PKT2_PKS2_S2_S3_PS4_PS7_PS2_,comdat
.Lfunc_end20:
	.size	_ZN9rocsparseL33bsr2csr_block_per_row_8_32_kernelILj1024ELj8EiliEEv20rocsparse_direction_T3_S2_21rocsparse_index_base_PKT1_PKT2_PKS2_S2_S3_PS4_PS7_PS2_, .Lfunc_end20-_ZN9rocsparseL33bsr2csr_block_per_row_8_32_kernelILj1024ELj8EiliEEv20rocsparse_direction_T3_S2_21rocsparse_index_base_PKT1_PKT2_PKS2_S2_S3_PS4_PS7_PS2_
                                        ; -- End function
	.section	.AMDGPU.csdata,"",@progbits
; Kernel info:
; codeLenInByte = 1500
; NumSgprs: 45
; NumVgprs: 45
; NumAgprs: 0
; TotalNumVgprs: 45
; ScratchSize: 0
; MemoryBound: 0
; FloatMode: 240
; IeeeMode: 1
; LDSByteSize: 0 bytes/workgroup (compile time only)
; SGPRBlocks: 5
; VGPRBlocks: 5
; NumSGPRsForWavesPerEU: 45
; NumVGPRsForWavesPerEU: 45
; AccumOffset: 48
; Occupancy: 8
; WaveLimiterHint : 0
; COMPUTE_PGM_RSRC2:SCRATCH_EN: 0
; COMPUTE_PGM_RSRC2:USER_SGPR: 6
; COMPUTE_PGM_RSRC2:TRAP_HANDLER: 0
; COMPUTE_PGM_RSRC2:TGID_X_EN: 1
; COMPUTE_PGM_RSRC2:TGID_Y_EN: 0
; COMPUTE_PGM_RSRC2:TGID_Z_EN: 0
; COMPUTE_PGM_RSRC2:TIDIG_COMP_CNT: 0
; COMPUTE_PGM_RSRC3_GFX90A:ACCUM_OFFSET: 11
; COMPUTE_PGM_RSRC3_GFX90A:TG_SPLIT: 0
	.section	.text._ZN9rocsparseL33bsr2csr_block_per_row_8_32_kernelILj1024ELj16EiliEEv20rocsparse_direction_T3_S2_21rocsparse_index_base_PKT1_PKT2_PKS2_S2_S3_PS4_PS7_PS2_,"axG",@progbits,_ZN9rocsparseL33bsr2csr_block_per_row_8_32_kernelILj1024ELj16EiliEEv20rocsparse_direction_T3_S2_21rocsparse_index_base_PKT1_PKT2_PKS2_S2_S3_PS4_PS7_PS2_,comdat
	.globl	_ZN9rocsparseL33bsr2csr_block_per_row_8_32_kernelILj1024ELj16EiliEEv20rocsparse_direction_T3_S2_21rocsparse_index_base_PKT1_PKT2_PKS2_S2_S3_PS4_PS7_PS2_ ; -- Begin function _ZN9rocsparseL33bsr2csr_block_per_row_8_32_kernelILj1024ELj16EiliEEv20rocsparse_direction_T3_S2_21rocsparse_index_base_PKT1_PKT2_PKS2_S2_S3_PS4_PS7_PS2_
	.p2align	8
	.type	_ZN9rocsparseL33bsr2csr_block_per_row_8_32_kernelILj1024ELj16EiliEEv20rocsparse_direction_T3_S2_21rocsparse_index_base_PKT1_PKT2_PKS2_S2_S3_PS4_PS7_PS2_,@function
_ZN9rocsparseL33bsr2csr_block_per_row_8_32_kernelILj1024ELj16EiliEEv20rocsparse_direction_T3_S2_21rocsparse_index_base_PKT1_PKT2_PKS2_S2_S3_PS4_PS7_PS2_: ; @_ZN9rocsparseL33bsr2csr_block_per_row_8_32_kernelILj1024ELj16EiliEEv20rocsparse_direction_T3_S2_21rocsparse_index_base_PKT1_PKT2_PKS2_S2_S3_PS4_PS7_PS2_
; %bb.0:
	s_load_dwordx2 s[2:3], s[4:5], 0x18
	s_load_dwordx2 s[12:13], s[4:5], 0x28
	;; [unrolled: 1-line block ×3, first 2 shown]
	s_ashr_i32 s7, s6, 31
	s_lshl_b64 s[8:9], s[6:7], 3
	s_waitcnt lgkmcnt(0)
	s_add_u32 s2, s2, s8
	v_or_b32_e32 v1, s6, v0
	s_addc_u32 s3, s3, s9
	v_cmp_eq_u32_e32 vcc, 0, v1
	s_and_saveexec_b64 s[8:9], vcc
	s_cbranch_execz .LBB21_2
; %bb.1:
	v_mov_b32_e32 v2, s13
	v_mov_b32_e32 v3, 0
	global_store_dwordx2 v3, v[2:3], s[0:1]
.LBB21_2:
	s_or_b64 exec, exec, s[8:9]
	v_and_b32_e32 v22, 15, v0
	v_bfe_u32 v23, v0, 4, 4
	v_max_i32_e32 v1, v23, v22
	v_cmp_gt_i32_e32 vcc, s12, v1
	s_and_saveexec_b64 s[8:9], vcc
	s_cbranch_execz .LBB21_11
; %bb.3:
	s_load_dwordx4 s[8:11], s[2:3], 0x0
	s_load_dword s26, s[4:5], 0xc
	s_mul_i32 s18, s12, s12
	v_lshrrev_b32_e32 v2, 8, v0
	s_mov_b32 s27, 0
	v_mov_b32_e32 v9, 0
	s_waitcnt lgkmcnt(0)
	s_sub_u32 s30, s8, s26
	s_subb_u32 s31, s9, 0
	s_sub_u32 s10, s10, s26
	s_mul_i32 s2, s31, s18
	s_mul_hi_u32 s3, s30, s18
	s_subb_u32 s11, s11, 0
	s_add_i32 s17, s3, s2
	s_sub_u32 s29, s10, s30
	s_mul_i32 s16, s30, s18
	s_subb_u32 s28, s11, s31
	s_mul_i32 s2, s28, s12
	s_mul_hi_u32 s3, s29, s12
	s_mul_i32 s14, s29, s12
	v_pk_mov_b32 v[0:1], s[16:17], s[16:17] op_sel:[0,1]
	s_add_i32 s7, s3, s2
	v_mad_u64_u32 v[4:5], s[2:3], s14, v23, v[0:1]
	v_mov_b32_e32 v0, v5
	v_mad_u64_u32 v[0:1], s[2:3], s7, v23, v[0:1]
	s_add_u32 s2, s14, s13
	v_mov_b32_e32 v3, v0
	v_add_co_u32_e32 v0, vcc, s2, v4
	s_mul_i32 s2, s6, s12
	s_addc_u32 s3, s7, 0
	v_add_u32_e32 v6, s2, v23
	v_mov_b32_e32 v1, s3
	v_ashrrev_i32_e32 v7, 31, v6
	v_addc_co_u32_e32 v1, vcc, v1, v3, vcc
	v_lshlrev_b64 v[6:7], 3, v[6:7]
	v_mov_b32_e32 v5, s1
	v_add_co_u32_e32 v6, vcc, s0, v6
	v_addc_co_u32_e32 v7, vcc, v5, v7, vcc
	global_store_dwordx2 v[6:7], v[0:1], off offset:8
	v_mov_b32_e32 v1, s31
	v_add_co_u32_e32 v0, vcc, s30, v2
	v_addc_co_u32_e32 v1, vcc, 0, v1, vcc
	v_cmp_gt_i64_e32 vcc, s[10:11], v[0:1]
	s_and_b64 exec, exec, vcc
	s_cbranch_execz .LBB21_11
; %bb.4:
	s_load_dwordx2 s[20:21], s[4:5], 0x20
	s_load_dwordx2 s[6:7], s[4:5], 0x30
	;; [unrolled: 1-line block ×4, first 2 shown]
	s_load_dword s2, s[4:5], 0x0
	v_mul_lo_u32 v8, v22, s12
	v_lshlrev_b64 v[10:11], 2, v[8:9]
	s_mov_b32 s19, s27
	s_waitcnt lgkmcnt(0)
	v_mov_b32_e32 v5, s1
	v_add_co_u32_e32 v7, vcc, s0, v10
	v_addc_co_u32_e32 v8, vcc, v5, v11, vcc
	v_lshlrev_b32_e32 v10, 2, v23
	v_add_co_u32_e32 v7, vcc, v7, v10
	v_addc_co_u32_e32 v12, vcc, 0, v8, vcc
	v_mul_lo_u32 v8, v23, s12
	v_lshlrev_b64 v[8:9], 2, v[8:9]
	v_add_co_u32_e32 v8, vcc, s0, v8
	v_addc_co_u32_e32 v5, vcc, v5, v9, vcc
	v_lshlrev_b32_e32 v9, 2, v22
	v_add_co_u32_e32 v13, vcc, v8, v9
	v_mov_b32_e32 v8, s9
	v_add_co_u32_e64 v9, s[0:1], s8, v2
	v_addc_co_u32_e64 v8, s[0:1], 0, v8, s[0:1]
	v_mov_b32_e32 v10, s27
	v_subrev_co_u32_e64 v9, s[0:1], s26, v9
	v_subb_co_u32_e64 v10, s[0:1], v8, v10, s[0:1]
	v_add_co_u32_e64 v8, s[0:1], 4, v9
	v_addc_co_u32_e64 v9, s[0:1], 0, v10, s[0:1]
	v_mov_b32_e32 v10, s11
	v_cmp_lt_i64_e64 s[0:1], s[10:11], v[8:9]
	s_cmp_eq_u32 s2, 0
	v_addc_co_u32_e32 v5, vcc, 0, v5, vcc
	v_cndmask_b32_e64 v9, v10, v9, s[0:1]
	v_mov_b32_e32 v10, s10
	s_cselect_b64 vcc, -1, 0
	v_cndmask_b32_e64 v8, v10, v8, s[0:1]
	s_not_b64 s[0:1], s[8:9]
	s_add_u32 s0, s0, s26
	s_addc_u32 s1, s1, 0
	v_mov_b32_e32 v10, s1
	v_add_co_u32_e64 v8, s[0:1], s0, v8
	v_addc_co_u32_e64 v9, s[0:1], v10, v9, s[0:1]
	v_sub_co_u32_e64 v10, s[0:1], v8, v2
	v_subbrev_co_u32_e64 v11, s[0:1], 0, v9, s[0:1]
	s_mov_b32 s4, s12
	s_mov_b32 s5, s27
	v_add_u32_e32 v6, s13, v22
	v_cmp_lt_u64_e64 s[0:1], 3, v[10:11]
	s_mov_b64 s[2:3], -1
	v_cndmask_b32_e32 v9, v12, v5, vcc
	v_cndmask_b32_e32 v8, v7, v13, vcc
	s_and_saveexec_b64 s[22:23], s[0:1]
	s_cbranch_execz .LBB21_8
; %bb.5:
	v_add_co_u32_e32 v14, vcc, v4, v22
	v_addc_co_u32_e32 v15, vcc, 0, v3, vcc
	v_lshrrev_b64 v[2:3], 2, v[10:11]
	v_add_co_u32_e32 v10, vcc, 1, v2
	v_addc_co_u32_e32 v11, vcc, 0, v3, vcc
	v_add_co_u32_e32 v2, vcc, 4, v0
	v_addc_co_u32_e32 v3, vcc, 0, v1, vcc
	v_lshlrev_b64 v[4:5], 2, v[0:1]
	v_mov_b32_e32 v18, s21
	v_add_co_u32_e32 v4, vcc, s20, v4
	v_addc_co_u32_e32 v5, vcc, v5, v18, vcc
	v_add_co_u32_e32 v18, vcc, 16, v4
	v_and_b32_e32 v12, -2, v10
	v_mov_b32_e32 v13, v11
	v_addc_co_u32_e32 v19, vcc, 0, v5, vcc
	v_pk_mov_b32 v[4:5], v[2:3], v[2:3] op_sel:[0,1]
	s_mov_b32 s13, s26
	s_mov_b32 s33, s26
	;; [unrolled: 1-line block ×5, first 2 shown]
	v_mov_b32_e32 v16, v14
	v_mov_b32_e32 v17, v15
	s_mov_b32 s37, s12
	v_mov_b32_e32 v7, v6
	s_mov_b32 s38, s18
	s_mov_b64 s[24:25], 0
	v_mov_b32_e32 v24, s31
	v_pk_mov_b32 v[20:21], v[12:13], v[12:13] op_sel:[0,1]
	v_pk_mov_b32 v[2:3], v[0:1], v[0:1] op_sel:[0,1]
.LBB21_6:                               ; =>This Inner Loop Header: Depth=1
	global_load_dword v25, v[18:19], off offset:-16
	global_load_dword v27, v[18:19], off
	v_mad_u64_u32 v[30:31], s[0:1], v2, s18, 0
	v_subrev_co_u32_e32 v34, vcc, s30, v2
	v_mov_b32_e32 v38, v31
	v_subb_co_u32_e32 v43, vcc, v3, v24, vcc
	v_mad_u64_u32 v[28:29], s[0:1], v4, s38, 0
	v_mad_u64_u32 v[38:39], s[0:1], v3, s18, v[38:39]
	v_mov_b32_e32 v32, s35
	v_subrev_co_u32_e32 v33, vcc, s34, v4
	v_mov_b32_e32 v36, v29
	v_mov_b32_e32 v31, v38
	v_subb_co_u32_e32 v41, vcc, v5, v32, vcc
	v_mad_u64_u32 v[34:35], s[0:1], v34, s4, v[14:15]
	v_mad_u64_u32 v[36:37], s[0:1], v5, s38, v[36:37]
	v_lshlrev_b64 v[30:31], 2, v[30:31]
	v_mov_b32_e32 v42, v35
	v_mov_b32_e32 v29, v36
	v_add_co_u32_e32 v30, vcc, v8, v30
	v_mad_u64_u32 v[32:33], s[0:1], v33, s36, v[16:17]
	v_mad_u64_u32 v[42:43], s[0:1], v43, s4, v[42:43]
	v_lshlrev_b64 v[28:29], 2, v[28:29]
	v_addc_co_u32_e32 v31, vcc, v9, v31, vcc
	v_mov_b32_e32 v40, v33
	v_mov_b32_e32 v35, v42
	v_add_co_u32_e32 v28, vcc, v8, v28
	v_mad_u64_u32 v[40:41], s[0:1], v41, s36, v[40:41]
	v_lshlrev_b64 v[34:35], 2, v[34:35]
	v_addc_co_u32_e32 v29, vcc, v9, v29, vcc
	v_mov_b32_e32 v44, s15
	v_mov_b32_e32 v33, v40
	v_add_co_u32_e32 v36, vcc, s14, v34
	v_lshlrev_b64 v[32:33], 2, v[32:33]
	v_addc_co_u32_e32 v37, vcc, v44, v35, vcc
	v_mov_b32_e32 v26, v7
	v_add_co_u32_e32 v38, vcc, s14, v32
	v_addc_co_u32_e32 v39, vcc, v44, v33, vcc
	v_add_co_u32_e32 v2, vcc, 8, v2
	v_addc_co_u32_e32 v3, vcc, 0, v3, vcc
	s_waitcnt vmcnt(1)
	v_subrev_u32_e32 v25, s13, v25
	s_waitcnt vmcnt(0)
	v_subrev_u32_e32 v27, s33, v27
	v_mad_u64_u32 v[40:41], s[0:1], v25, s12, v[6:7]
	v_mad_u64_u32 v[26:27], s[0:1], v27, s37, v[26:27]
	global_store_dword v[36:37], v40, off
	global_store_dword v[38:39], v26, off
	global_load_dword v25, v[30:31], off
	s_nop 0
	global_load_dword v36, v[28:29], off
	v_add_co_u32_e64 v18, s[0:1], 32, v18
	v_addc_co_u32_e64 v19, s[0:1], 0, v19, s[0:1]
	v_add_co_u32_e64 v20, s[0:1], -2, v20
	v_mov_b32_e32 v29, s7
	v_addc_co_u32_e64 v21, s[0:1], -1, v21, s[0:1]
	v_add_co_u32_e32 v26, vcc, s6, v34
	v_add_co_u32_e64 v4, s[0:1], 8, v4
	v_cmp_eq_u64_e64 s[2:3], 0, v[20:21]
	v_addc_co_u32_e32 v27, vcc, v29, v35, vcc
	v_addc_co_u32_e64 v5, s[0:1], 0, v5, s[0:1]
	s_or_b64 s[24:25], s[2:3], s[24:25]
	v_add_co_u32_e32 v28, vcc, s6, v32
	v_addc_co_u32_e32 v29, vcc, v29, v33, vcc
	s_waitcnt vmcnt(1)
	global_store_dword v[26:27], v25, off
	s_waitcnt vmcnt(1)
	global_store_dword v[28:29], v36, off
	s_andn2_b64 exec, exec, s[24:25]
	s_cbranch_execnz .LBB21_6
; %bb.7:
	s_or_b64 exec, exec, s[24:25]
	v_lshlrev_b64 v[2:3], 2, v[12:13]
	v_add_co_u32_e32 v0, vcc, v0, v2
	v_addc_co_u32_e32 v1, vcc, v1, v3, vcc
	v_cmp_ne_u64_e32 vcc, v[10:11], v[12:13]
	s_orn2_b64 s[2:3], vcc, exec
.LBB21_8:
	s_or_b64 exec, exec, s[22:23]
	s_and_b64 exec, exec, s[2:3]
	s_cbranch_execz .LBB21_11
; %bb.9:
	v_mad_u64_u32 v[2:3], s[0:1], v0, s18, 0
	v_mov_b32_e32 v4, v3
	v_mad_u64_u32 v[4:5], s[0:1], v1, s18, v[4:5]
	v_mov_b32_e32 v3, v4
	v_lshlrev_b64 v[2:3], 2, v[2:3]
	v_mad_u64_u32 v[4:5], s[2:3], s29, v23, v[0:1]
	v_add_co_u32_e32 v2, vcc, v8, v2
	v_mov_b32_e32 v8, v5
	v_addc_co_u32_e32 v3, vcc, v9, v3, vcc
	v_mad_u64_u32 v[8:9], s[2:3], s28, v23, v[8:9]
	v_mov_b32_e32 v5, v8
	v_mov_b32_e32 v7, s27
	v_add_co_u32_e32 v4, vcc, s26, v4
	v_addc_co_u32_e32 v5, vcc, v5, v7, vcc
	v_mov_b32_e32 v7, s9
	v_subrev_co_u32_e32 v8, vcc, s8, v4
	v_subb_co_u32_e32 v7, vcc, v5, v7, vcc
	v_pk_mov_b32 v[4:5], s[16:17], s[16:17] op_sel:[0,1]
	v_mad_u64_u32 v[4:5], s[2:3], v8, s4, v[4:5]
	v_mov_b32_e32 v8, v5
	v_mad_u64_u32 v[8:9], s[2:3], v7, s4, v[8:9]
	v_mov_b32_e32 v5, v8
	v_add_co_u32_e32 v4, vcc, v4, v22
	v_addc_co_u32_e32 v5, vcc, 0, v5, vcc
	v_lshlrev_b64 v[8:9], 2, v[0:1]
	s_lshl_b64 s[0:1], s[18:19], 4
	s_lshl_b64 s[2:3], s[4:5], 4
	v_mov_b32_e32 v7, s21
	v_add_co_u32_e32 v8, vcc, s20, v8
	v_lshlrev_b64 v[4:5], 2, v[4:5]
	v_addc_co_u32_e32 v9, vcc, v7, v9, vcc
	s_mov_b64 s[4:5], 0
	v_mov_b32_e32 v7, s15
	v_mov_b32_e32 v10, s7
	;; [unrolled: 1-line block ×4, first 2 shown]
.LBB21_10:                              ; =>This Inner Loop Header: Depth=1
	global_load_dword v13, v[8:9], off
	global_load_dword v18, v[2:3], off
	v_add_co_u32_e32 v14, vcc, s14, v4
	v_addc_co_u32_e32 v15, vcc, v7, v5, vcc
	v_add_co_u32_e32 v16, vcc, s6, v4
	v_addc_co_u32_e32 v17, vcc, v10, v5, vcc
	;; [unrolled: 2-line block ×6, first 2 shown]
	v_cmp_le_i64_e32 vcc, s[10:11], v[0:1]
	s_or_b64 s[4:5], vcc, s[4:5]
	s_waitcnt vmcnt(1)
	v_subrev_u32_e32 v13, s26, v13
	s_waitcnt vmcnt(0)
	global_store_dword v[16:17], v18, off
	v_mad_u64_u32 v[16:17], s[8:9], v13, s12, v[6:7]
	global_store_dword v[14:15], v16, off
	s_andn2_b64 exec, exec, s[4:5]
	s_cbranch_execnz .LBB21_10
.LBB21_11:
	s_endpgm
	.section	.rodata,"a",@progbits
	.p2align	6, 0x0
	.amdhsa_kernel _ZN9rocsparseL33bsr2csr_block_per_row_8_32_kernelILj1024ELj16EiliEEv20rocsparse_direction_T3_S2_21rocsparse_index_base_PKT1_PKT2_PKS2_S2_S3_PS4_PS7_PS2_
		.amdhsa_group_segment_fixed_size 0
		.amdhsa_private_segment_fixed_size 0
		.amdhsa_kernarg_size 72
		.amdhsa_user_sgpr_count 6
		.amdhsa_user_sgpr_private_segment_buffer 1
		.amdhsa_user_sgpr_dispatch_ptr 0
		.amdhsa_user_sgpr_queue_ptr 0
		.amdhsa_user_sgpr_kernarg_segment_ptr 1
		.amdhsa_user_sgpr_dispatch_id 0
		.amdhsa_user_sgpr_flat_scratch_init 0
		.amdhsa_user_sgpr_kernarg_preload_length 0
		.amdhsa_user_sgpr_kernarg_preload_offset 0
		.amdhsa_user_sgpr_private_segment_size 0
		.amdhsa_uses_dynamic_stack 0
		.amdhsa_system_sgpr_private_segment_wavefront_offset 0
		.amdhsa_system_sgpr_workgroup_id_x 1
		.amdhsa_system_sgpr_workgroup_id_y 0
		.amdhsa_system_sgpr_workgroup_id_z 0
		.amdhsa_system_sgpr_workgroup_info 0
		.amdhsa_system_vgpr_workitem_id 0
		.amdhsa_next_free_vgpr 45
		.amdhsa_next_free_sgpr 39
		.amdhsa_accum_offset 48
		.amdhsa_reserve_vcc 1
		.amdhsa_reserve_flat_scratch 0
		.amdhsa_float_round_mode_32 0
		.amdhsa_float_round_mode_16_64 0
		.amdhsa_float_denorm_mode_32 3
		.amdhsa_float_denorm_mode_16_64 3
		.amdhsa_dx10_clamp 1
		.amdhsa_ieee_mode 1
		.amdhsa_fp16_overflow 0
		.amdhsa_tg_split 0
		.amdhsa_exception_fp_ieee_invalid_op 0
		.amdhsa_exception_fp_denorm_src 0
		.amdhsa_exception_fp_ieee_div_zero 0
		.amdhsa_exception_fp_ieee_overflow 0
		.amdhsa_exception_fp_ieee_underflow 0
		.amdhsa_exception_fp_ieee_inexact 0
		.amdhsa_exception_int_div_zero 0
	.end_amdhsa_kernel
	.section	.text._ZN9rocsparseL33bsr2csr_block_per_row_8_32_kernelILj1024ELj16EiliEEv20rocsparse_direction_T3_S2_21rocsparse_index_base_PKT1_PKT2_PKS2_S2_S3_PS4_PS7_PS2_,"axG",@progbits,_ZN9rocsparseL33bsr2csr_block_per_row_8_32_kernelILj1024ELj16EiliEEv20rocsparse_direction_T3_S2_21rocsparse_index_base_PKT1_PKT2_PKS2_S2_S3_PS4_PS7_PS2_,comdat
.Lfunc_end21:
	.size	_ZN9rocsparseL33bsr2csr_block_per_row_8_32_kernelILj1024ELj16EiliEEv20rocsparse_direction_T3_S2_21rocsparse_index_base_PKT1_PKT2_PKS2_S2_S3_PS4_PS7_PS2_, .Lfunc_end21-_ZN9rocsparseL33bsr2csr_block_per_row_8_32_kernelILj1024ELj16EiliEEv20rocsparse_direction_T3_S2_21rocsparse_index_base_PKT1_PKT2_PKS2_S2_S3_PS4_PS7_PS2_
                                        ; -- End function
	.section	.AMDGPU.csdata,"",@progbits
; Kernel info:
; codeLenInByte = 1500
; NumSgprs: 43
; NumVgprs: 45
; NumAgprs: 0
; TotalNumVgprs: 45
; ScratchSize: 0
; MemoryBound: 0
; FloatMode: 240
; IeeeMode: 1
; LDSByteSize: 0 bytes/workgroup (compile time only)
; SGPRBlocks: 5
; VGPRBlocks: 5
; NumSGPRsForWavesPerEU: 43
; NumVGPRsForWavesPerEU: 45
; AccumOffset: 48
; Occupancy: 8
; WaveLimiterHint : 0
; COMPUTE_PGM_RSRC2:SCRATCH_EN: 0
; COMPUTE_PGM_RSRC2:USER_SGPR: 6
; COMPUTE_PGM_RSRC2:TRAP_HANDLER: 0
; COMPUTE_PGM_RSRC2:TGID_X_EN: 1
; COMPUTE_PGM_RSRC2:TGID_Y_EN: 0
; COMPUTE_PGM_RSRC2:TGID_Z_EN: 0
; COMPUTE_PGM_RSRC2:TIDIG_COMP_CNT: 0
; COMPUTE_PGM_RSRC3_GFX90A:ACCUM_OFFSET: 11
; COMPUTE_PGM_RSRC3_GFX90A:TG_SPLIT: 0
	.section	.text._ZN9rocsparseL33bsr2csr_block_per_row_8_32_kernelILj1024ELj32EiliEEv20rocsparse_direction_T3_S2_21rocsparse_index_base_PKT1_PKT2_PKS2_S2_S3_PS4_PS7_PS2_,"axG",@progbits,_ZN9rocsparseL33bsr2csr_block_per_row_8_32_kernelILj1024ELj32EiliEEv20rocsparse_direction_T3_S2_21rocsparse_index_base_PKT1_PKT2_PKS2_S2_S3_PS4_PS7_PS2_,comdat
	.globl	_ZN9rocsparseL33bsr2csr_block_per_row_8_32_kernelILj1024ELj32EiliEEv20rocsparse_direction_T3_S2_21rocsparse_index_base_PKT1_PKT2_PKS2_S2_S3_PS4_PS7_PS2_ ; -- Begin function _ZN9rocsparseL33bsr2csr_block_per_row_8_32_kernelILj1024ELj32EiliEEv20rocsparse_direction_T3_S2_21rocsparse_index_base_PKT1_PKT2_PKS2_S2_S3_PS4_PS7_PS2_
	.p2align	8
	.type	_ZN9rocsparseL33bsr2csr_block_per_row_8_32_kernelILj1024ELj32EiliEEv20rocsparse_direction_T3_S2_21rocsparse_index_base_PKT1_PKT2_PKS2_S2_S3_PS4_PS7_PS2_,@function
_ZN9rocsparseL33bsr2csr_block_per_row_8_32_kernelILj1024ELj32EiliEEv20rocsparse_direction_T3_S2_21rocsparse_index_base_PKT1_PKT2_PKS2_S2_S3_PS4_PS7_PS2_: ; @_ZN9rocsparseL33bsr2csr_block_per_row_8_32_kernelILj1024ELj32EiliEEv20rocsparse_direction_T3_S2_21rocsparse_index_base_PKT1_PKT2_PKS2_S2_S3_PS4_PS7_PS2_
; %bb.0:
	s_load_dwordx2 s[8:9], s[4:5], 0x18
	s_load_dwordx2 s[2:3], s[4:5], 0x28
	;; [unrolled: 1-line block ×3, first 2 shown]
	s_ashr_i32 s7, s6, 31
	s_lshl_b64 s[10:11], s[6:7], 3
	s_waitcnt lgkmcnt(0)
	s_add_u32 s8, s8, s10
	v_or_b32_e32 v1, s6, v0
	s_addc_u32 s9, s9, s11
	v_cmp_eq_u32_e32 vcc, 0, v1
	s_and_saveexec_b64 s[10:11], vcc
	s_cbranch_execz .LBB22_2
; %bb.1:
	v_mov_b32_e32 v2, s3
	v_mov_b32_e32 v3, 0
	global_store_dwordx2 v3, v[2:3], s[0:1]
.LBB22_2:
	s_or_b64 exec, exec, s[10:11]
	v_and_b32_e32 v8, 31, v0
	v_lshrrev_b32_e32 v9, 5, v0
	v_max_i32_e32 v0, v9, v8
	v_cmp_gt_i32_e32 vcc, s2, v0
	s_and_saveexec_b64 s[10:11], vcc
	s_cbranch_execz .LBB22_13
; %bb.3:
	s_load_dwordx4 s[12:15], s[8:9], 0x0
	s_load_dword s33, s[4:5], 0xc
	s_mul_i32 s20, s2, s2
	s_mul_i32 s6, s6, s2
	v_add_u32_e32 v2, s6, v9
	v_ashrrev_i32_e32 v3, 31, v2
	s_waitcnt lgkmcnt(0)
	s_sub_u32 s8, s12, s33
	s_subb_u32 s9, s13, 0
	s_sub_u32 s16, s14, s33
	s_mul_i32 s7, s9, s20
	s_mul_hi_u32 s10, s8, s20
	s_subb_u32 s17, s15, 0
	s_add_i32 s23, s10, s7
	s_sub_u32 s37, s16, s8
	s_mul_i32 s22, s8, s20
	s_subb_u32 s36, s17, s9
	s_mul_i32 s7, s36, s2
	s_mul_hi_u32 s10, s37, s2
	s_mul_i32 s18, s37, s2
	v_pk_mov_b32 v[0:1], s[22:23], s[22:23] op_sel:[0,1]
	s_add_i32 s7, s10, s7
	v_mad_u64_u32 v[4:5], s[10:11], s18, v9, v[0:1]
	v_mov_b32_e32 v0, v5
	v_mad_u64_u32 v[0:1], s[10:11], s7, v9, v[0:1]
	s_add_u32 s10, s18, s3
	s_addc_u32 s7, s7, 0
	v_mov_b32_e32 v5, v0
	v_mov_b32_e32 v1, s7
	v_add_co_u32_e32 v0, vcc, s10, v4
	v_addc_co_u32_e32 v1, vcc, v1, v5, vcc
	v_lshlrev_b64 v[2:3], 3, v[2:3]
	v_mov_b32_e32 v6, s1
	v_add_co_u32_e32 v2, vcc, s0, v2
	v_addc_co_u32_e32 v3, vcc, v6, v3, vcc
	global_store_dwordx2 v[2:3], v[0:1], off offset:8
	v_pk_mov_b32 v[0:1], s[14:15], s[14:15] op_sel:[0,1]
	v_cmp_ge_i64_e32 vcc, s[12:13], v[0:1]
	s_mov_b32 s21, 0
	s_cbranch_vccnz .LBB22_13
; %bb.4:
	s_load_dwordx2 s[24:25], s[4:5], 0x20
	s_load_dwordx2 s[14:15], s[4:5], 0x30
	s_load_dword s6, s[4:5], 0x0
	s_load_dwordx2 s[0:1], s[4:5], 0x10
	s_load_dwordx2 s[18:19], s[4:5], 0x40
	v_mov_b32_e32 v3, 0
	v_mul_lo_u32 v2, v8, s2
	v_lshlrev_b64 v[6:7], 2, v[2:3]
	s_waitcnt lgkmcnt(0)
	v_mov_b32_e32 v1, s1
	v_add_co_u32_e32 v2, vcc, s0, v6
	v_addc_co_u32_e32 v6, vcc, v1, v7, vcc
	v_lshlrev_b32_e32 v7, 2, v9
	v_add_co_u32_e32 v7, vcc, v2, v7
	v_mul_lo_u32 v2, v9, s2
	v_addc_co_u32_e32 v6, vcc, 0, v6, vcc
	v_lshlrev_b64 v[2:3], 2, v[2:3]
	v_add_co_u32_e32 v2, vcc, s0, v2
	v_addc_co_u32_e32 v1, vcc, v1, v3, vcc
	v_lshlrev_b32_e32 v3, 2, v8
	v_add_co_u32_e32 v10, vcc, v2, v3
	s_cmp_eq_u32 s6, 0
	v_addc_co_u32_e32 v1, vcc, 0, v1, vcc
	s_cselect_b64 vcc, -1, 0
	s_sub_u32 s0, s12, s33
	s_subb_u32 s1, s13, 0
	s_add_u32 s4, s0, 1
	s_addc_u32 s5, s1, 0
	v_pk_mov_b32 v[2:3], s[16:17], s[16:17] op_sel:[0,1]
	v_cmp_gt_i64_e64 s[0:1], s[4:5], v[2:3]
	s_and_b64 s[0:1], s[0:1], exec
	s_cselect_b32 s1, s4, s16
	s_cselect_b32 s0, s5, s17
	s_add_u32 s1, s1, s33
	s_addc_u32 s0, s0, 0
	s_sub_u32 s26, s1, s12
	s_subb_u32 s27, s0, s13
	s_cmp_lg_u32 s2, 1
	v_cmp_lt_u64_e64 s[0:1], s[26:27], 2
	s_cselect_b64 s[6:7], -1, 0
	s_or_b64 s[0:1], s[0:1], s[6:7]
	s_and_b64 s[0:1], exec, s[0:1]
	v_add_u32_e32 v0, s3, v8
	s_mov_b64 s[4:5], -1
	v_cndmask_b32_e32 v1, v6, v1, vcc
	v_cndmask_b32_e32 v2, v7, v10, vcc
	s_mov_b64 vcc, s[0:1]
	s_cbranch_vccnz .LBB22_9
; %bb.5:
	v_add_co_u32_e32 v4, vcc, v4, v8
	v_addc_co_u32_e32 v5, vcc, 0, v5, vcc
	s_and_b32 s28, s26, -2
	v_lshlrev_b64 v[6:7], 2, v[4:5]
	s_add_u32 s10, s8, 1
	v_mov_b32_e32 v5, s15
	v_add_co_u32_e32 v4, vcc, s14, v6
	s_addc_u32 s11, s9, 0
	s_lshl_b64 s[0:1], s[8:9], 2
	v_addc_co_u32_e32 v5, vcc, v5, v7, vcc
	s_mov_b32 s29, s27
	s_add_u32 s30, s24, s0
	v_mov_b32_e32 v10, s19
	v_add_co_u32_e32 v6, vcc, s18, v6
	s_mov_b64 s[4:5], s[8:9]
	s_mov_b32 s3, s33
	v_mov_b32_e32 v3, v0
	s_mov_b32 s38, s20
	s_addc_u32 s31, s25, s1
	v_addc_co_u32_e32 v7, vcc, v10, v7, vcc
	s_mov_b64 s[34:35], s[28:29]
	s_mov_b64 s[6:7], s[10:11]
.LBB22_6:                               ; =>This Inner Loop Header: Depth=1
	s_load_dwordx2 s[10:11], s[30:31], 0x0
	s_mul_i32 s1, s7, s38
	s_mul_hi_u32 s39, s6, s38
	s_mul_i32 s41, s5, s20
	s_mul_hi_u32 s42, s4, s20
	s_mul_i32 s0, s6, s38
	s_mul_i32 s40, s4, s20
	s_add_i32 s1, s39, s1
	s_add_i32 s41, s42, s41
	s_lshl_b64 s[40:41], s[40:41], 2
	s_lshl_b64 s[0:1], s[0:1], 2
	v_mov_b32_e32 v11, s41
	v_mov_b32_e32 v14, s1
	v_add_co_u32_e32 v10, vcc, s0, v2
	v_add_co_u32_e64 v12, s[0:1], s40, v2
	v_addc_co_u32_e64 v13, s[0:1], v1, v11, s[0:1]
	s_waitcnt lgkmcnt(0)
	s_sub_i32 s0, s10, s33
	s_sub_i32 s1, s11, s3
	v_addc_co_u32_e32 v11, vcc, v1, v14, vcc
	v_add_u32_e32 v15, s1, v3
	v_add_u32_e32 v14, s0, v0
	global_store_dwordx2 v[6:7], v[14:15], off
	global_load_dword v14, v[12:13], off
	s_nop 0
	global_load_dword v15, v[10:11], off
	s_add_u32 s6, s6, 2
	s_addc_u32 s7, s7, 0
	s_add_u32 s4, s4, 2
	s_addc_u32 s5, s5, 0
	s_add_u32 s30, s30, 8
	v_add_co_u32_e32 v6, vcc, 8, v6
	s_addc_u32 s31, s31, 0
	v_addc_co_u32_e32 v7, vcc, 0, v7, vcc
	s_add_u32 s34, s34, -2
	s_addc_u32 s35, s35, -1
	s_cmp_lg_u64 s[34:35], 0
	s_waitcnt vmcnt(0)
	global_store_dwordx2 v[4:5], v[14:15], off
	v_add_co_u32_e32 v4, vcc, 8, v4
	v_addc_co_u32_e32 v5, vcc, 0, v5, vcc
	s_cbranch_scc1 .LBB22_6
; %bb.7:
	s_cmp_eq_u64 s[26:27], s[28:29]
	s_cbranch_scc1 .LBB22_10
; %bb.8:
	s_add_u32 s8, s8, s28
	s_addc_u32 s9, s9, s29
	s_mul_i32 s0, s9, s20
	s_mul_hi_u32 s1, s8, s20
	s_add_i32 s1, s1, s0
	s_mul_i32 s0, s8, s20
	s_cbranch_execnz .LBB22_11
	s_branch .LBB22_13
.LBB22_9:
	s_mov_b64 s[0:1], s[22:23]
	s_and_b64 vcc, exec, s[4:5]
	s_cbranch_vccnz .LBB22_11
	s_branch .LBB22_13
.LBB22_10:
                                        ; implicit-def: $sgpr8_sgpr9
                                        ; implicit-def: $sgpr0_sgpr1
	s_branch .LBB22_13
.LBB22_11:
	s_lshl_b64 s[0:1], s[0:1], 2
	v_mov_b32_e32 v3, s1
	v_add_co_u32_e32 v2, vcc, s0, v2
	s_lshl_b64 s[0:1], s[20:21], 2
	s_add_u32 s4, s33, s8
	s_addc_u32 s5, 0, s9
	v_pk_mov_b32 v[4:5], s[4:5], s[4:5] op_sel:[0,1]
	v_mad_u64_u32 v[4:5], s[4:5], v9, s37, v[4:5]
	v_mov_b32_e32 v6, v5
	v_addc_co_u32_e32 v3, vcc, v1, v3, vcc
	v_mad_u64_u32 v[6:7], s[4:5], v9, s36, v[6:7]
	v_mov_b32_e32 v1, v6
	v_mov_b32_e32 v5, s13
	v_subrev_co_u32_e32 v6, vcc, s12, v4
	v_subb_co_u32_e32 v1, vcc, v1, v5, vcc
	v_pk_mov_b32 v[4:5], s[22:23], s[22:23] op_sel:[0,1]
	v_mad_u64_u32 v[4:5], s[4:5], v6, s2, v[4:5]
	v_mov_b32_e32 v6, v5
	s_mov_b32 s3, s21
	v_mad_u64_u32 v[6:7], s[4:5], v1, s2, v[6:7]
	v_mov_b32_e32 v1, v6
	v_add_co_u32_e32 v4, vcc, v4, v8
	s_lshl_b64 s[4:5], s[2:3], 2
	s_lshl_b64 s[6:7], s[8:9], 2
	v_addc_co_u32_e32 v5, vcc, 0, v1, vcc
	s_add_u32 s6, s24, s6
	v_lshlrev_b64 v[4:5], 2, v[4:5]
	s_addc_u32 s7, s25, s7
	v_mov_b32_e32 v1, s19
	v_mov_b32_e32 v8, s15
	;; [unrolled: 1-line block ×4, first 2 shown]
	v_pk_mov_b32 v[6:7], s[16:17], s[16:17] op_sel:[0,1]
.LBB22_12:                              ; =>This Inner Loop Header: Depth=1
	global_load_dword v11, v[2:3], off
	s_load_dword s1, s[6:7], 0x0
	v_add_co_u32_e32 v12, vcc, s18, v4
	v_addc_co_u32_e32 v13, vcc, v1, v5, vcc
	v_add_co_u32_e32 v14, vcc, s14, v4
	v_addc_co_u32_e32 v15, vcc, v8, v5, vcc
	;; [unrolled: 2-line block ×3, first 2 shown]
	s_waitcnt lgkmcnt(0)
	s_sub_i32 s1, s1, s33
	v_add_co_u32_e32 v4, vcc, s4, v4
	s_add_u32 s8, s8, 1
	v_addc_co_u32_e32 v5, vcc, v5, v10, vcc
	s_addc_u32 s9, s9, 0
	s_mul_i32 s1, s1, s2
	s_add_u32 s6, s6, 4
	v_cmp_lt_i64_e32 vcc, s[8:9], v[6:7]
	v_add_u32_e32 v16, s1, v0
	s_addc_u32 s7, s7, 0
	global_store_dword v[12:13], v16, off
	s_waitcnt vmcnt(1)
	global_store_dword v[14:15], v11, off
	s_cbranch_vccnz .LBB22_12
.LBB22_13:
	s_endpgm
	.section	.rodata,"a",@progbits
	.p2align	6, 0x0
	.amdhsa_kernel _ZN9rocsparseL33bsr2csr_block_per_row_8_32_kernelILj1024ELj32EiliEEv20rocsparse_direction_T3_S2_21rocsparse_index_base_PKT1_PKT2_PKS2_S2_S3_PS4_PS7_PS2_
		.amdhsa_group_segment_fixed_size 0
		.amdhsa_private_segment_fixed_size 0
		.amdhsa_kernarg_size 72
		.amdhsa_user_sgpr_count 6
		.amdhsa_user_sgpr_private_segment_buffer 1
		.amdhsa_user_sgpr_dispatch_ptr 0
		.amdhsa_user_sgpr_queue_ptr 0
		.amdhsa_user_sgpr_kernarg_segment_ptr 1
		.amdhsa_user_sgpr_dispatch_id 0
		.amdhsa_user_sgpr_flat_scratch_init 0
		.amdhsa_user_sgpr_kernarg_preload_length 0
		.amdhsa_user_sgpr_kernarg_preload_offset 0
		.amdhsa_user_sgpr_private_segment_size 0
		.amdhsa_uses_dynamic_stack 0
		.amdhsa_system_sgpr_private_segment_wavefront_offset 0
		.amdhsa_system_sgpr_workgroup_id_x 1
		.amdhsa_system_sgpr_workgroup_id_y 0
		.amdhsa_system_sgpr_workgroup_id_z 0
		.amdhsa_system_sgpr_workgroup_info 0
		.amdhsa_system_vgpr_workitem_id 0
		.amdhsa_next_free_vgpr 17
		.amdhsa_next_free_sgpr 43
		.amdhsa_accum_offset 20
		.amdhsa_reserve_vcc 1
		.amdhsa_reserve_flat_scratch 0
		.amdhsa_float_round_mode_32 0
		.amdhsa_float_round_mode_16_64 0
		.amdhsa_float_denorm_mode_32 3
		.amdhsa_float_denorm_mode_16_64 3
		.amdhsa_dx10_clamp 1
		.amdhsa_ieee_mode 1
		.amdhsa_fp16_overflow 0
		.amdhsa_tg_split 0
		.amdhsa_exception_fp_ieee_invalid_op 0
		.amdhsa_exception_fp_denorm_src 0
		.amdhsa_exception_fp_ieee_div_zero 0
		.amdhsa_exception_fp_ieee_overflow 0
		.amdhsa_exception_fp_ieee_underflow 0
		.amdhsa_exception_fp_ieee_inexact 0
		.amdhsa_exception_int_div_zero 0
	.end_amdhsa_kernel
	.section	.text._ZN9rocsparseL33bsr2csr_block_per_row_8_32_kernelILj1024ELj32EiliEEv20rocsparse_direction_T3_S2_21rocsparse_index_base_PKT1_PKT2_PKS2_S2_S3_PS4_PS7_PS2_,"axG",@progbits,_ZN9rocsparseL33bsr2csr_block_per_row_8_32_kernelILj1024ELj32EiliEEv20rocsparse_direction_T3_S2_21rocsparse_index_base_PKT1_PKT2_PKS2_S2_S3_PS4_PS7_PS2_,comdat
.Lfunc_end22:
	.size	_ZN9rocsparseL33bsr2csr_block_per_row_8_32_kernelILj1024ELj32EiliEEv20rocsparse_direction_T3_S2_21rocsparse_index_base_PKT1_PKT2_PKS2_S2_S3_PS4_PS7_PS2_, .Lfunc_end22-_ZN9rocsparseL33bsr2csr_block_per_row_8_32_kernelILj1024ELj32EiliEEv20rocsparse_direction_T3_S2_21rocsparse_index_base_PKT1_PKT2_PKS2_S2_S3_PS4_PS7_PS2_
                                        ; -- End function
	.section	.AMDGPU.csdata,"",@progbits
; Kernel info:
; codeLenInByte = 1160
; NumSgprs: 47
; NumVgprs: 17
; NumAgprs: 0
; TotalNumVgprs: 17
; ScratchSize: 0
; MemoryBound: 0
; FloatMode: 240
; IeeeMode: 1
; LDSByteSize: 0 bytes/workgroup (compile time only)
; SGPRBlocks: 5
; VGPRBlocks: 2
; NumSGPRsForWavesPerEU: 47
; NumVGPRsForWavesPerEU: 17
; AccumOffset: 20
; Occupancy: 8
; WaveLimiterHint : 0
; COMPUTE_PGM_RSRC2:SCRATCH_EN: 0
; COMPUTE_PGM_RSRC2:USER_SGPR: 6
; COMPUTE_PGM_RSRC2:TRAP_HANDLER: 0
; COMPUTE_PGM_RSRC2:TGID_X_EN: 1
; COMPUTE_PGM_RSRC2:TGID_Y_EN: 0
; COMPUTE_PGM_RSRC2:TGID_Z_EN: 0
; COMPUTE_PGM_RSRC2:TIDIG_COMP_CNT: 0
; COMPUTE_PGM_RSRC3_GFX90A:ACCUM_OFFSET: 4
; COMPUTE_PGM_RSRC3_GFX90A:TG_SPLIT: 0
	.section	.text._ZN9rocsparseL35bsr2csr_block_per_row_33_256_kernelILj1024ELj64ELj32EiliEEv20rocsparse_direction_T4_S2_21rocsparse_index_base_PKT2_PKT3_PKS2_S2_S3_PS4_PS7_PS2_,"axG",@progbits,_ZN9rocsparseL35bsr2csr_block_per_row_33_256_kernelILj1024ELj64ELj32EiliEEv20rocsparse_direction_T4_S2_21rocsparse_index_base_PKT2_PKT3_PKS2_S2_S3_PS4_PS7_PS2_,comdat
	.globl	_ZN9rocsparseL35bsr2csr_block_per_row_33_256_kernelILj1024ELj64ELj32EiliEEv20rocsparse_direction_T4_S2_21rocsparse_index_base_PKT2_PKT3_PKS2_S2_S3_PS4_PS7_PS2_ ; -- Begin function _ZN9rocsparseL35bsr2csr_block_per_row_33_256_kernelILj1024ELj64ELj32EiliEEv20rocsparse_direction_T4_S2_21rocsparse_index_base_PKT2_PKT3_PKS2_S2_S3_PS4_PS7_PS2_
	.p2align	8
	.type	_ZN9rocsparseL35bsr2csr_block_per_row_33_256_kernelILj1024ELj64ELj32EiliEEv20rocsparse_direction_T4_S2_21rocsparse_index_base_PKT2_PKT3_PKS2_S2_S3_PS4_PS7_PS2_,@function
_ZN9rocsparseL35bsr2csr_block_per_row_33_256_kernelILj1024ELj64ELj32EiliEEv20rocsparse_direction_T4_S2_21rocsparse_index_base_PKT2_PKT3_PKS2_S2_S3_PS4_PS7_PS2_: ; @_ZN9rocsparseL35bsr2csr_block_per_row_33_256_kernelILj1024ELj64ELj32EiliEEv20rocsparse_direction_T4_S2_21rocsparse_index_base_PKT2_PKT3_PKS2_S2_S3_PS4_PS7_PS2_
; %bb.0:
	s_load_dwordx2 s[2:3], s[4:5], 0x18
	s_load_dwordx2 s[12:13], s[4:5], 0x28
	;; [unrolled: 1-line block ×3, first 2 shown]
	s_ashr_i32 s7, s6, 31
	s_lshl_b64 s[8:9], s[6:7], 3
	s_waitcnt lgkmcnt(0)
	s_add_u32 s2, s2, s8
	s_addc_u32 s3, s3, s9
	s_load_dwordx4 s[8:11], s[2:3], 0x0
	v_or_b32_e32 v1, s6, v0
	s_mov_b32 s15, 0
	v_cmp_eq_u32_e32 vcc, 0, v1
	s_mov_b32 s16, s13
	s_and_saveexec_b64 s[2:3], vcc
	s_cbranch_execz .LBB23_2
; %bb.1:
	s_mov_b32 s17, s15
	v_mov_b32_e32 v1, 0
	v_pk_mov_b32 v[2:3], s[16:17], s[16:17] op_sel:[0,1]
	global_store_dwordx2 v1, v[2:3], s[0:1]
.LBB23_2:
	s_or_b64 exec, exec, s[2:3]
	s_load_dword s14, s[4:5], 0xc
	s_mul_i32 s24, s12, s12
	v_lshrrev_b32_e32 v1, 5, v0
	s_mul_i32 s25, s6, s12
	s_waitcnt lgkmcnt(0)
	s_sub_u32 s18, s8, s14
	s_subb_u32 s19, s9, 0
	s_mul_hi_u32 s2, s18, s24
	s_sub_u32 s20, s10, s14
	s_mul_i32 s3, s19, s24
	s_subb_u32 s21, s11, 0
	s_add_i32 s27, s2, s3
	s_sub_u32 s33, s20, s18
	s_subb_u32 s31, s21, s19
	s_mul_i32 s2, s31, s12
	s_mul_hi_u32 s3, s33, s12
	s_mul_i32 s26, s18, s24
	s_add_i32 s13, s3, s2
	s_add_u32 s2, s26, s16
	s_mul_i32 s17, s33, s12
	s_addc_u32 s3, s27, 0
	s_add_u32 s22, s2, s17
	s_addc_u32 s23, s3, s13
	v_cmp_gt_i32_e64 s[2:3], s12, v1
	s_and_saveexec_b64 s[6:7], s[2:3]
	s_cbranch_execz .LBB23_4
; %bb.3:
	v_pk_mov_b32 v[2:3], s[22:23], s[22:23] op_sel:[0,1]
	v_mad_u64_u32 v[2:3], s[28:29], s17, v1, v[2:3]
	v_mov_b32_e32 v4, v3
	v_mad_u64_u32 v[4:5], s[28:29], s13, v1, v[4:5]
	v_mov_b32_e32 v3, v4
	v_add_u32_e32 v4, s25, v1
	v_ashrrev_i32_e32 v5, 31, v4
	v_lshlrev_b64 v[4:5], 3, v[4:5]
	v_mov_b32_e32 v6, s1
	v_add_co_u32_e32 v4, vcc, s0, v4
	v_addc_co_u32_e32 v5, vcc, v6, v5, vcc
	global_store_dwordx2 v[4:5], v[2:3], off offset:8
.LBB23_4:
	s_or_b64 exec, exec, s[6:7]
	v_or_b32_e32 v14, 32, v1
	v_cmp_gt_i32_e64 s[6:7], s12, v14
	s_and_saveexec_b64 s[28:29], s[6:7]
	s_cbranch_execz .LBB23_6
; %bb.5:
	s_add_u32 s30, s0, 8
	v_pk_mov_b32 v[2:3], s[22:23], s[22:23] op_sel:[0,1]
	s_addc_u32 s34, s1, 0
	v_mad_u64_u32 v[2:3], s[0:1], s17, v14, v[2:3]
	v_mov_b32_e32 v4, v3
	v_mad_u64_u32 v[4:5], s[0:1], s13, v14, v[4:5]
	s_ashr_i32 s0, s25, 31
	v_mov_b32_e32 v3, v4
	v_mov_b32_e32 v5, s0
	v_add_co_u32_e32 v4, vcc, s25, v1
	v_addc_co_u32_e32 v5, vcc, 0, v5, vcc
	v_lshlrev_b64 v[4:5], 3, v[4:5]
	v_mov_b32_e32 v6, s34
	v_add_co_u32_e32 v4, vcc, s30, v4
	v_addc_co_u32_e32 v5, vcc, v6, v5, vcc
	global_store_dwordx2 v[4:5], v[2:3], off offset:256
.LBB23_6:
	s_or_b64 exec, exec, s[28:29]
	v_pk_mov_b32 v[2:3], s[10:11], s[10:11] op_sel:[0,1]
	v_cmp_lt_i64_e32 vcc, s[8:9], v[2:3]
	s_cbranch_vccz .LBB23_17
; %bb.7:
	s_load_dwordx2 s[34:35], s[4:5], 0x20
	s_load_dwordx2 s[28:29], s[4:5], 0x30
	;; [unrolled: 1-line block ×3, first 2 shown]
	s_load_dword s0, s[4:5], 0x0
	s_load_dwordx2 s[38:39], s[4:5], 0x40
	v_and_b32_e32 v2, 31, v0
	v_mul_lo_u32 v4, v1, s12
	v_mov_b32_e32 v5, 0
	s_waitcnt lgkmcnt(0)
	s_cmp_eq_u32 s0, 0
	s_cselect_b64 s[0:1], -1, 0
	s_lshl_b32 s17, s12, 5
	v_cmp_gt_i32_e32 vcc, s12, v2
	v_mov_b32_e32 v9, v5
	v_or_b32_e32 v3, 32, v2
	v_mov_b32_e32 v11, v5
	v_add_u32_e32 v6, s17, v4
	v_mov_b32_e32 v7, v5
	v_lshlrev_b64 v[4:5], 2, v[4:5]
	v_lshlrev_b32_e32 v15, 2, v2
	s_and_b64 s[10:11], s[2:3], vcc
	v_cmp_gt_i32_e64 s[4:5], s12, v3
	s_and_b64 s[22:23], s[6:7], vcc
	v_add_co_u32_e32 v4, vcc, v4, v15
	v_mul_lo_u32 v8, v2, s12
	s_and_b64 s[2:3], s[2:3], s[4:5]
	s_and_b64 s[4:5], s[6:7], s[4:5]
	v_addc_co_u32_e32 v5, vcc, 0, v5, vcc
	s_lshl_b64 s[26:27], s[26:27], 2
	v_lshlrev_b64 v[6:7], 2, v[6:7]
	s_mov_b32 s25, s15
	v_add_u32_e32 v10, s17, v8
	s_add_u32 s17, s36, s26
	v_add_co_u32_e32 v6, vcc, v6, v15
	s_addc_u32 s30, s37, s27
	s_lshl_b64 s[6:7], s[24:25], 2
	v_addc_co_u32_e32 v7, vcc, 0, v7, vcc
	v_lshlrev_b32_e32 v0, 2, v1
	v_lshlrev_b64 v[8:9], 2, v[8:9]
	s_lshl_b64 s[8:9], s[8:9], 2
	s_lshl_b64 s[24:25], s[14:15], 2
	v_add_co_u32_e32 v8, vcc, v0, v8
	s_sub_u32 s8, s8, s24
	v_addc_co_u32_e32 v9, vcc, 0, v9, vcc
	v_lshlrev_b64 v[10:11], 2, v[10:11]
	s_subb_u32 s9, s9, s25
	v_mad_u64_u32 v[12:13], s[24:25], v1, s33, 0
	v_add_co_u32_e32 v10, vcc, v0, v10
	v_mov_b32_e32 v0, v13
	v_mad_u64_u32 v[12:13], s[24:25], v12, s12, 0
	v_mad_u64_u32 v[0:1], s[24:25], v1, s31, v[0:1]
	v_mov_b32_e32 v16, v13
	v_mad_u64_u32 v[0:1], s[24:25], v0, s12, v[16:17]
	v_mov_b32_e32 v13, v0
	s_mov_b32 s13, s15
	v_addc_co_u32_e32 v11, vcc, 0, v11, vcc
	v_lshlrev_b64 v[0:1], 2, v[12:13]
	s_movk_i32 s15, 0x80
	v_add_co_u32_e32 v19, vcc, s15, v0
	v_addc_co_u32_e32 v20, vcc, 0, v1, vcc
	v_mov_b32_e32 v21, s39
	v_add_co_u32_e32 v12, vcc, s38, v19
	v_addc_co_u32_e32 v13, vcc, v21, v20, vcc
	v_mov_b32_e32 v1, s27
	v_add_co_u32_e32 v0, vcc, s26, v15
	v_mad_u64_u32 v[16:17], s[26:27], s33, v14, 0
	v_mov_b32_e32 v18, v17
	v_mad_u64_u32 v[16:17], s[26:27], v16, s12, 0
	v_mad_u64_u32 v[14:15], s[26:27], s31, v14, v[18:19]
	v_mov_b32_e32 v18, v17
	v_mad_u64_u32 v[14:15], s[26:27], v14, s12, v[18:19]
	v_mov_b32_e32 v17, v14
	v_addc_co_u32_e32 v1, vcc, 0, v1, vcc
	v_lshlrev_b64 v[16:17], 2, v[16:17]
	v_mov_b32_e32 v22, s29
	v_add_co_u32_e32 v14, vcc, s28, v16
	v_addc_co_u32_e32 v15, vcc, v22, v17, vcc
	v_add_co_u32_e32 v16, vcc, s38, v16
	v_addc_co_u32_e32 v17, vcc, v21, v17, vcc
	s_add_u32 s8, s34, s8
	v_add_co_u32_e32 v18, vcc, s28, v19
	s_addc_u32 s9, s35, s9
	s_lshl_b64 s[24:25], s[12:13], 2
	v_addc_co_u32_e32 v19, vcc, v22, v20, vcc
	s_branch .LBB23_9
.LBB23_8:                               ;   in Loop: Header=BB23_9 Depth=1
	s_or_b64 exec, exec, s[26:27]
	s_add_u32 s18, s18, 1
	s_addc_u32 s19, s19, 0
	s_add_u32 s17, s17, s6
	v_mov_b32_e32 v20, s25
	v_add_co_u32_e32 v0, vcc, s24, v0
	s_addc_u32 s30, s30, s7
	v_addc_co_u32_e32 v1, vcc, v1, v20, vcc
	v_pk_mov_b32 v[20:21], s[20:21], s[20:21] op_sel:[0,1]
	s_add_u32 s8, s8, 4
	v_cmp_ge_i64_e32 vcc, s[18:19], v[20:21]
	s_addc_u32 s9, s9, 0
	s_cbranch_vccnz .LBB23_17
.LBB23_9:                               ; =>This Inner Loop Header: Depth=1
	s_load_dword s13, s[8:9], 0x0
	s_waitcnt lgkmcnt(0)
	s_sub_i32 s13, s13, s14
	s_mul_i32 s13, s13, s12
	s_add_i32 s13, s13, s16
	v_add_u32_e32 v20, s13, v2
	s_and_saveexec_b64 s[26:27], s[10:11]
	s_cbranch_execnz .LBB23_13
; %bb.10:                               ;   in Loop: Header=BB23_9 Depth=1
	s_or_b64 exec, exec, s[26:27]
	v_add_u32_e32 v21, s13, v3
	s_and_saveexec_b64 s[26:27], s[2:3]
	s_cbranch_execnz .LBB23_14
.LBB23_11:                              ;   in Loop: Header=BB23_9 Depth=1
	s_or_b64 exec, exec, s[26:27]
	s_and_saveexec_b64 s[26:27], s[22:23]
	s_cbranch_execnz .LBB23_15
.LBB23_12:                              ;   in Loop: Header=BB23_9 Depth=1
	s_or_b64 exec, exec, s[26:27]
	s_and_saveexec_b64 s[26:27], s[4:5]
	s_cbranch_execz .LBB23_8
	s_branch .LBB23_16
.LBB23_13:                              ;   in Loop: Header=BB23_9 Depth=1
	v_cndmask_b32_e64 v22, v8, v4, s[0:1]
	v_cndmask_b32_e64 v21, v9, v5, s[0:1]
	v_mov_b32_e32 v23, s30
	v_add_co_u32_e32 v22, vcc, s17, v22
	v_addc_co_u32_e32 v23, vcc, v23, v21, vcc
	global_load_dword v21, v[22:23], off
	v_add_co_u32_e32 v22, vcc, v12, v0
	v_addc_co_u32_e32 v23, vcc, v13, v1, vcc
	global_store_dword v[22:23], v20, off offset:-128
	v_add_co_u32_e32 v22, vcc, v18, v0
	v_addc_co_u32_e32 v23, vcc, v19, v1, vcc
	s_waitcnt vmcnt(1)
	global_store_dword v[22:23], v21, off offset:-128
	s_or_b64 exec, exec, s[26:27]
	v_add_u32_e32 v21, s13, v3
	s_and_saveexec_b64 s[26:27], s[2:3]
	s_cbranch_execz .LBB23_11
.LBB23_14:                              ;   in Loop: Header=BB23_9 Depth=1
	v_mov_b32_e32 v22, s30
	v_add_co_u32_e32 v23, vcc, s17, v4
	v_addc_co_u32_e32 v24, vcc, v22, v5, vcc
	v_add_co_u32_e32 v25, vcc, 0x80, v23
	v_addc_co_u32_e32 v23, vcc, 0, v24, vcc
	;; [unrolled: 2-line block ×3, first 2 shown]
	v_cndmask_b32_e64 v23, v22, v23, s[0:1]
	v_cndmask_b32_e64 v22, v24, v25, s[0:1]
	global_load_dword v24, v[22:23], off
	v_add_co_u32_e32 v22, vcc, v12, v0
	v_addc_co_u32_e32 v23, vcc, v13, v1, vcc
	global_store_dword v[22:23], v21, off
	v_add_co_u32_e32 v22, vcc, v18, v0
	v_addc_co_u32_e32 v23, vcc, v19, v1, vcc
	s_waitcnt vmcnt(1)
	global_store_dword v[22:23], v24, off
	s_or_b64 exec, exec, s[26:27]
	s_and_saveexec_b64 s[26:27], s[22:23]
	s_cbranch_execz .LBB23_12
.LBB23_15:                              ;   in Loop: Header=BB23_9 Depth=1
	v_mov_b32_e32 v22, s30
	v_add_co_u32_e32 v24, vcc, s17, v6
	v_addc_co_u32_e32 v23, vcc, v22, v7, vcc
	v_add_co_u32_e32 v25, vcc, s17, v8
	v_addc_co_u32_e32 v22, vcc, v22, v9, vcc
	;; [unrolled: 2-line block ×3, first 2 shown]
	v_cndmask_b32_e64 v23, v22, v23, s[0:1]
	v_cndmask_b32_e64 v22, v25, v24, s[0:1]
	global_load_dword v24, v[22:23], off
	v_add_co_u32_e32 v22, vcc, v16, v0
	v_addc_co_u32_e32 v23, vcc, v17, v1, vcc
	global_store_dword v[22:23], v20, off
	v_add_co_u32_e32 v22, vcc, v14, v0
	v_addc_co_u32_e32 v23, vcc, v15, v1, vcc
	s_waitcnt vmcnt(1)
	global_store_dword v[22:23], v24, off
	s_or_b64 exec, exec, s[26:27]
	s_and_saveexec_b64 s[26:27], s[4:5]
	s_cbranch_execz .LBB23_8
.LBB23_16:                              ;   in Loop: Header=BB23_9 Depth=1
	v_cndmask_b32_e64 v22, v10, v6, s[0:1]
	v_cndmask_b32_e64 v20, v11, v7, s[0:1]
	v_mov_b32_e32 v23, s30
	v_add_co_u32_e32 v22, vcc, s17, v22
	v_addc_co_u32_e32 v23, vcc, v23, v20, vcc
	global_load_dword v24, v[22:23], off offset:128
	v_add_co_u32_e32 v22, vcc, v16, v0
	v_addc_co_u32_e32 v23, vcc, v17, v1, vcc
	v_add_co_u32_e32 v20, vcc, v14, v0
	global_store_dword v[22:23], v21, off offset:128
	v_addc_co_u32_e32 v21, vcc, v15, v1, vcc
	s_waitcnt vmcnt(1)
	global_store_dword v[20:21], v24, off offset:128
	s_branch .LBB23_8
.LBB23_17:
	s_endpgm
	.section	.rodata,"a",@progbits
	.p2align	6, 0x0
	.amdhsa_kernel _ZN9rocsparseL35bsr2csr_block_per_row_33_256_kernelILj1024ELj64ELj32EiliEEv20rocsparse_direction_T4_S2_21rocsparse_index_base_PKT2_PKT3_PKS2_S2_S3_PS4_PS7_PS2_
		.amdhsa_group_segment_fixed_size 0
		.amdhsa_private_segment_fixed_size 0
		.amdhsa_kernarg_size 72
		.amdhsa_user_sgpr_count 6
		.amdhsa_user_sgpr_private_segment_buffer 1
		.amdhsa_user_sgpr_dispatch_ptr 0
		.amdhsa_user_sgpr_queue_ptr 0
		.amdhsa_user_sgpr_kernarg_segment_ptr 1
		.amdhsa_user_sgpr_dispatch_id 0
		.amdhsa_user_sgpr_flat_scratch_init 0
		.amdhsa_user_sgpr_kernarg_preload_length 0
		.amdhsa_user_sgpr_kernarg_preload_offset 0
		.amdhsa_user_sgpr_private_segment_size 0
		.amdhsa_uses_dynamic_stack 0
		.amdhsa_system_sgpr_private_segment_wavefront_offset 0
		.amdhsa_system_sgpr_workgroup_id_x 1
		.amdhsa_system_sgpr_workgroup_id_y 0
		.amdhsa_system_sgpr_workgroup_id_z 0
		.amdhsa_system_sgpr_workgroup_info 0
		.amdhsa_system_vgpr_workitem_id 0
		.amdhsa_next_free_vgpr 26
		.amdhsa_next_free_sgpr 40
		.amdhsa_accum_offset 28
		.amdhsa_reserve_vcc 1
		.amdhsa_reserve_flat_scratch 0
		.amdhsa_float_round_mode_32 0
		.amdhsa_float_round_mode_16_64 0
		.amdhsa_float_denorm_mode_32 3
		.amdhsa_float_denorm_mode_16_64 3
		.amdhsa_dx10_clamp 1
		.amdhsa_ieee_mode 1
		.amdhsa_fp16_overflow 0
		.amdhsa_tg_split 0
		.amdhsa_exception_fp_ieee_invalid_op 0
		.amdhsa_exception_fp_denorm_src 0
		.amdhsa_exception_fp_ieee_div_zero 0
		.amdhsa_exception_fp_ieee_overflow 0
		.amdhsa_exception_fp_ieee_underflow 0
		.amdhsa_exception_fp_ieee_inexact 0
		.amdhsa_exception_int_div_zero 0
	.end_amdhsa_kernel
	.section	.text._ZN9rocsparseL35bsr2csr_block_per_row_33_256_kernelILj1024ELj64ELj32EiliEEv20rocsparse_direction_T4_S2_21rocsparse_index_base_PKT2_PKT3_PKS2_S2_S3_PS4_PS7_PS2_,"axG",@progbits,_ZN9rocsparseL35bsr2csr_block_per_row_33_256_kernelILj1024ELj64ELj32EiliEEv20rocsparse_direction_T4_S2_21rocsparse_index_base_PKT2_PKT3_PKS2_S2_S3_PS4_PS7_PS2_,comdat
.Lfunc_end23:
	.size	_ZN9rocsparseL35bsr2csr_block_per_row_33_256_kernelILj1024ELj64ELj32EiliEEv20rocsparse_direction_T4_S2_21rocsparse_index_base_PKT2_PKT3_PKS2_S2_S3_PS4_PS7_PS2_, .Lfunc_end23-_ZN9rocsparseL35bsr2csr_block_per_row_33_256_kernelILj1024ELj64ELj32EiliEEv20rocsparse_direction_T4_S2_21rocsparse_index_base_PKT2_PKT3_PKS2_S2_S3_PS4_PS7_PS2_
                                        ; -- End function
	.section	.AMDGPU.csdata,"",@progbits
; Kernel info:
; codeLenInByte = 1352
; NumSgprs: 44
; NumVgprs: 26
; NumAgprs: 0
; TotalNumVgprs: 26
; ScratchSize: 0
; MemoryBound: 0
; FloatMode: 240
; IeeeMode: 1
; LDSByteSize: 0 bytes/workgroup (compile time only)
; SGPRBlocks: 5
; VGPRBlocks: 3
; NumSGPRsForWavesPerEU: 44
; NumVGPRsForWavesPerEU: 26
; AccumOffset: 28
; Occupancy: 8
; WaveLimiterHint : 1
; COMPUTE_PGM_RSRC2:SCRATCH_EN: 0
; COMPUTE_PGM_RSRC2:USER_SGPR: 6
; COMPUTE_PGM_RSRC2:TRAP_HANDLER: 0
; COMPUTE_PGM_RSRC2:TGID_X_EN: 1
; COMPUTE_PGM_RSRC2:TGID_Y_EN: 0
; COMPUTE_PGM_RSRC2:TGID_Z_EN: 0
; COMPUTE_PGM_RSRC2:TIDIG_COMP_CNT: 0
; COMPUTE_PGM_RSRC3_GFX90A:ACCUM_OFFSET: 6
; COMPUTE_PGM_RSRC3_GFX90A:TG_SPLIT: 0
	.section	.text._ZN9rocsparseL35bsr2csr_block_per_row_33_256_kernelILj1024ELj128ELj32EiliEEv20rocsparse_direction_T4_S2_21rocsparse_index_base_PKT2_PKT3_PKS2_S2_S3_PS4_PS7_PS2_,"axG",@progbits,_ZN9rocsparseL35bsr2csr_block_per_row_33_256_kernelILj1024ELj128ELj32EiliEEv20rocsparse_direction_T4_S2_21rocsparse_index_base_PKT2_PKT3_PKS2_S2_S3_PS4_PS7_PS2_,comdat
	.globl	_ZN9rocsparseL35bsr2csr_block_per_row_33_256_kernelILj1024ELj128ELj32EiliEEv20rocsparse_direction_T4_S2_21rocsparse_index_base_PKT2_PKT3_PKS2_S2_S3_PS4_PS7_PS2_ ; -- Begin function _ZN9rocsparseL35bsr2csr_block_per_row_33_256_kernelILj1024ELj128ELj32EiliEEv20rocsparse_direction_T4_S2_21rocsparse_index_base_PKT2_PKT3_PKS2_S2_S3_PS4_PS7_PS2_
	.p2align	8
	.type	_ZN9rocsparseL35bsr2csr_block_per_row_33_256_kernelILj1024ELj128ELj32EiliEEv20rocsparse_direction_T4_S2_21rocsparse_index_base_PKT2_PKT3_PKS2_S2_S3_PS4_PS7_PS2_,@function
_ZN9rocsparseL35bsr2csr_block_per_row_33_256_kernelILj1024ELj128ELj32EiliEEv20rocsparse_direction_T4_S2_21rocsparse_index_base_PKT2_PKT3_PKS2_S2_S3_PS4_PS7_PS2_: ; @_ZN9rocsparseL35bsr2csr_block_per_row_33_256_kernelILj1024ELj128ELj32EiliEEv20rocsparse_direction_T4_S2_21rocsparse_index_base_PKT2_PKT3_PKS2_S2_S3_PS4_PS7_PS2_
; %bb.0:
	s_load_dwordx2 s[0:1], s[4:5], 0x18
	s_load_dwordx2 s[20:21], s[4:5], 0x28
	;; [unrolled: 1-line block ×3, first 2 shown]
	s_ashr_i32 s7, s6, 31
	s_lshl_b64 s[2:3], s[6:7], 3
	s_waitcnt lgkmcnt(0)
	s_add_u32 s0, s0, s2
	s_addc_u32 s1, s1, s3
	s_load_dwordx4 s[16:19], s[0:1], 0x0
	v_or_b32_e32 v1, s6, v0
	s_mov_b32 s23, 0
	v_cmp_eq_u32_e32 vcc, 0, v1
	s_mov_b32 s24, s21
	s_and_saveexec_b64 s[0:1], vcc
	s_cbranch_execz .LBB24_2
; %bb.1:
	s_mov_b32 s25, s23
	v_mov_b32_e32 v1, 0
	v_pk_mov_b32 v[2:3], s[24:25], s[24:25] op_sel:[0,1]
	global_store_dwordx2 v1, v[2:3], s[8:9]
.LBB24_2:
	s_or_b64 exec, exec, s[0:1]
	s_load_dword s22, s[4:5], 0xc
	s_mul_i32 s52, s20, s20
	v_lshrrev_b32_e32 v20, 5, v0
	s_mul_i32 s21, s6, s20
	v_cmp_gt_i32_e64 s[2:3], s20, v20
	s_waitcnt lgkmcnt(0)
	s_sub_u32 s26, s16, s22
	s_subb_u32 s27, s17, 0
	s_mul_hi_u32 s0, s26, s52
	s_sub_u32 s28, s18, s22
	s_mul_i32 s1, s27, s52
	s_subb_u32 s29, s19, 0
	s_add_i32 s51, s0, s1
	s_sub_u32 s61, s28, s26
	s_subb_u32 s60, s29, s27
	s_mul_i32 s0, s60, s20
	s_mul_hi_u32 s1, s61, s20
	s_mul_i32 s50, s26, s52
	s_add_i32 s14, s1, s0
	s_add_u32 s0, s50, s24
	s_mul_i32 s15, s61, s20
	s_addc_u32 s1, s51, 0
	s_add_u32 s0, s0, s15
	s_addc_u32 s1, s1, s14
	s_and_saveexec_b64 s[6:7], s[2:3]
	s_cbranch_execz .LBB24_4
; %bb.3:
	v_pk_mov_b32 v[2:3], s[0:1], s[0:1] op_sel:[0,1]
	v_mad_u64_u32 v[2:3], s[10:11], s15, v20, v[2:3]
	v_mov_b32_e32 v4, v3
	v_mad_u64_u32 v[4:5], s[10:11], s14, v20, v[4:5]
	v_mov_b32_e32 v3, v4
	v_add_u32_e32 v4, s21, v20
	v_ashrrev_i32_e32 v5, 31, v4
	v_lshlrev_b64 v[4:5], 3, v[4:5]
	v_mov_b32_e32 v1, s9
	v_add_co_u32_e32 v4, vcc, s8, v4
	v_addc_co_u32_e32 v5, vcc, v1, v5, vcc
	global_store_dwordx2 v[4:5], v[2:3], off offset:8
.LBB24_4:
	s_or_b64 exec, exec, s[6:7]
	s_add_u32 s25, s8, 8
	v_or_b32_e32 v28, 32, v20
	s_addc_u32 s30, s9, 0
	v_cmp_gt_i32_e64 s[6:7], s20, v28
	s_and_saveexec_b64 s[8:9], s[6:7]
	s_cbranch_execz .LBB24_6
; %bb.5:
	v_pk_mov_b32 v[2:3], s[0:1], s[0:1] op_sel:[0,1]
	v_mad_u64_u32 v[2:3], s[10:11], s15, v28, v[2:3]
	v_mov_b32_e32 v4, v3
	v_mad_u64_u32 v[4:5], s[10:11], s14, v28, v[4:5]
	s_ashr_i32 s10, s21, 31
	v_mov_b32_e32 v3, v4
	v_mov_b32_e32 v1, s10
	v_add_co_u32_e32 v4, vcc, s21, v20
	v_addc_co_u32_e32 v5, vcc, 0, v1, vcc
	v_lshlrev_b64 v[4:5], 3, v[4:5]
	v_mov_b32_e32 v1, s30
	v_add_co_u32_e32 v4, vcc, s25, v4
	v_addc_co_u32_e32 v5, vcc, v1, v5, vcc
	global_store_dwordx2 v[4:5], v[2:3], off offset:256
.LBB24_6:
	s_or_b64 exec, exec, s[8:9]
	v_or_b32_e32 v32, 64, v20
	v_cmp_gt_i32_e64 s[8:9], s20, v32
	s_and_saveexec_b64 s[10:11], s[8:9]
	s_cbranch_execz .LBB24_8
; %bb.7:
	v_pk_mov_b32 v[2:3], s[0:1], s[0:1] op_sel:[0,1]
	v_mad_u64_u32 v[2:3], s[12:13], s15, v32, v[2:3]
	v_mov_b32_e32 v4, v3
	v_mad_u64_u32 v[4:5], s[12:13], s14, v32, v[4:5]
	s_ashr_i32 s12, s21, 31
	v_mov_b32_e32 v3, v4
	v_mov_b32_e32 v1, s12
	v_add_co_u32_e32 v4, vcc, s21, v20
	v_addc_co_u32_e32 v5, vcc, 0, v1, vcc
	v_lshlrev_b64 v[4:5], 3, v[4:5]
	v_mov_b32_e32 v1, s30
	v_add_co_u32_e32 v4, vcc, s25, v4
	v_addc_co_u32_e32 v5, vcc, v1, v5, vcc
	global_store_dwordx2 v[4:5], v[2:3], off offset:512
.LBB24_8:
	s_or_b64 exec, exec, s[10:11]
	v_or_b32_e32 v24, 0x60, v20
	v_cmp_gt_i32_e64 s[10:11], s20, v24
	s_and_saveexec_b64 s[12:13], s[10:11]
	s_cbranch_execz .LBB24_10
; %bb.9:
	v_pk_mov_b32 v[2:3], s[0:1], s[0:1] op_sel:[0,1]
	v_mad_u64_u32 v[2:3], s[0:1], s15, v24, v[2:3]
	v_mov_b32_e32 v4, v3
	v_mad_u64_u32 v[4:5], s[0:1], s14, v24, v[4:5]
	s_ashr_i32 s0, s21, 31
	v_mov_b32_e32 v3, v4
	v_mov_b32_e32 v1, s0
	v_add_co_u32_e32 v4, vcc, s21, v20
	v_addc_co_u32_e32 v5, vcc, 0, v1, vcc
	v_lshlrev_b64 v[4:5], 3, v[4:5]
	v_mov_b32_e32 v1, s30
	v_add_co_u32_e32 v4, vcc, s25, v4
	v_addc_co_u32_e32 v5, vcc, v1, v5, vcc
	global_store_dwordx2 v[4:5], v[2:3], off offset:768
.LBB24_10:
	s_or_b64 exec, exec, s[12:13]
	v_pk_mov_b32 v[2:3], s[18:19], s[18:19] op_sel:[0,1]
	v_cmp_lt_i64_e32 vcc, s[16:17], v[2:3]
	s_cbranch_vccz .LBB24_45
; %bb.11:
	s_load_dwordx2 s[58:59], s[4:5], 0x20
	s_load_dwordx2 s[54:55], s[4:5], 0x30
	;; [unrolled: 1-line block ×3, first 2 shown]
	s_load_dword s0, s[4:5], 0x0
	s_load_dwordx2 s[56:57], s[4:5], 0x40
	v_and_b32_e32 v0, 31, v0
	v_mul_lo_u32 v4, v20, s20
	v_mov_b32_e32 v5, 0
	s_waitcnt lgkmcnt(0)
	s_cmp_eq_u32 s0, 0
	s_cselect_b64 s[0:1], -1, 0
	s_lshl_b32 s25, s20, 5
	v_cmp_gt_i32_e32 vcc, s20, v0
	v_mov_b32_e32 v13, v5
	v_mov_b32_e32 v15, v5
	;; [unrolled: 1-line block ×4, first 2 shown]
	v_add_u32_e32 v6, s25, v4
	v_mov_b32_e32 v7, v5
	v_mov_b32_e32 v9, v5
	;; [unrolled: 1-line block ×3, first 2 shown]
	v_lshlrev_b64 v[4:5], 2, v[4:5]
	v_lshlrev_b32_e32 v21, 2, v0
	s_and_b64 s[18:19], s[2:3], vcc
	s_and_b64 s[36:37], s[6:7], vcc
	;; [unrolled: 1-line block ×4, first 2 shown]
	v_add_co_u32_e32 v4, vcc, v4, v21
	v_add_u32_e32 v8, s25, v6
	v_addc_co_u32_e32 v5, vcc, 0, v5, vcc
	v_lshlrev_b64 v[6:7], 2, v[6:7]
	v_add_co_u32_e32 v6, vcc, v6, v21
	v_add_u32_e32 v10, s25, v8
	v_addc_co_u32_e32 v7, vcc, 0, v7, vcc
	v_lshlrev_b64 v[8:9], 2, v[8:9]
	v_add_co_u32_e32 v8, vcc, v8, v21
	v_addc_co_u32_e32 v9, vcc, 0, v9, vcc
	v_lshlrev_b64 v[10:11], 2, v[10:11]
	v_mul_lo_u32 v12, v0, s20
	v_or_b32_e32 v1, 32, v0
	v_or_b32_e32 v2, 64, v0
	v_or_b32_e32 v3, 0x60, v0
	v_add_co_u32_e32 v10, vcc, v10, v21
	v_cmp_gt_i32_e64 s[4:5], s20, v1
	v_add_u32_e32 v14, s25, v12
	v_cmp_gt_i32_e64 s[12:13], s20, v2
	v_cmp_gt_i32_e64 s[14:15], s20, v3
	v_addc_co_u32_e32 v11, vcc, 0, v11, vcc
	v_lshlrev_b32_e32 v21, 2, v20
	v_lshlrev_b64 v[12:13], 2, v[12:13]
	s_and_b64 s[30:31], s[2:3], s[4:5]
	s_and_b64 s[34:35], s[2:3], s[12:13]
	v_add_u32_e32 v16, s25, v14
	s_and_b64 s[2:3], s[2:3], s[14:15]
	s_and_b64 s[38:39], s[6:7], s[4:5]
	;; [unrolled: 1-line block ×10, first 2 shown]
	s_lshl_b64 s[14:15], s[50:51], 2
	v_add_co_u32_e32 v12, vcc, v21, v12
	s_mov_b32 s53, s23
	v_add_u32_e32 v18, s25, v16
	s_add_u32 s25, s62, s14
	v_addc_co_u32_e32 v13, vcc, 0, v13, vcc
	v_lshlrev_b64 v[14:15], 2, v[14:15]
	s_addc_u32 s33, s63, s15
	s_lshl_b64 s[14:15], s[52:53], 2
	v_add_co_u32_e32 v14, vcc, v21, v14
	s_lshl_b64 s[16:17], s[16:17], 2
	s_lshl_b64 s[52:53], s[22:23], 2
	v_addc_co_u32_e32 v15, vcc, 0, v15, vcc
	v_lshlrev_b64 v[16:17], 2, v[16:17]
	s_sub_u32 s16, s16, s52
	v_add_co_u32_e32 v16, vcc, v21, v16
	s_subb_u32 s17, s17, s53
	v_mad_u64_u32 v[22:23], s[52:53], v20, s61, 0
	v_pk_mov_b32 v[34:35], s[50:51], s[50:51] op_sel:[0,1]
	v_addc_co_u32_e32 v17, vcc, 0, v17, vcc
	v_lshlrev_b64 v[18:19], 2, v[18:19]
	v_mov_b32_e32 v26, v23
	v_mad_u64_u32 v[22:23], s[50:51], v22, s20, v[34:35]
	v_add_co_u32_e32 v18, vcc, v21, v18
	v_mad_u64_u32 v[20:21], s[52:53], v20, s60, v[26:27]
	v_mov_b32_e32 v26, v23
	v_addc_co_u32_e32 v19, vcc, 0, v19, vcc
	v_mad_u64_u32 v[20:21], s[50:51], v20, s20, v[26:27]
	v_mov_b32_e32 v21, v20
	v_add_co_u32_e32 v20, vcc, v22, v0
	v_addc_co_u32_e32 v21, vcc, 0, v21, vcc
	v_lshlrev_b64 v[22:23], 2, v[20:21]
	v_mov_b32_e32 v39, s57
	v_add_co_u32_e32 v20, vcc, s56, v22
	v_mad_u64_u32 v[26:27], s[52:53], s61, v24, 0
	v_addc_co_u32_e32 v21, vcc, v39, v23, vcc
	v_mov_b32_e32 v30, v27
	v_mad_u64_u32 v[26:27], s[52:53], v26, s20, v[34:35]
	v_mov_b32_e32 v40, s55
	v_add_co_u32_e32 v22, vcc, s54, v22
	v_mad_u64_u32 v[24:25], s[52:53], s60, v24, v[30:31]
	v_mov_b32_e32 v30, v27
	v_addc_co_u32_e32 v23, vcc, v40, v23, vcc
	v_mad_u64_u32 v[24:25], s[52:53], v24, s20, v[30:31]
	v_mov_b32_e32 v25, v24
	v_add_co_u32_e32 v24, vcc, v26, v0
	v_addc_co_u32_e32 v25, vcc, 0, v25, vcc
	v_lshlrev_b64 v[26:27], 2, v[24:25]
	v_add_co_u32_e32 v24, vcc, s54, v26
	v_mad_u64_u32 v[30:31], s[52:53], s61, v28, 0
	v_addc_co_u32_e32 v25, vcc, v40, v27, vcc
	v_mov_b32_e32 v36, v31
	v_mad_u64_u32 v[30:31], s[52:53], v30, s20, v[34:35]
	v_add_co_u32_e32 v26, vcc, s56, v26
	v_mad_u64_u32 v[28:29], s[52:53], s60, v28, v[36:37]
	v_mov_b32_e32 v36, v31
	v_addc_co_u32_e32 v27, vcc, v39, v27, vcc
	v_mad_u64_u32 v[28:29], s[52:53], v28, s20, v[36:37]
	v_mov_b32_e32 v29, v28
	v_add_co_u32_e32 v28, vcc, v30, v0
	v_addc_co_u32_e32 v29, vcc, 0, v29, vcc
	v_lshlrev_b64 v[30:31], 2, v[28:29]
	v_add_co_u32_e32 v28, vcc, s56, v30
	v_mad_u64_u32 v[36:37], s[52:53], s61, v32, 0
	v_addc_co_u32_e32 v29, vcc, v39, v31, vcc
	v_mov_b32_e32 v38, v37
	v_mad_u64_u32 v[34:35], s[52:53], v36, s20, v[34:35]
	v_add_co_u32_e32 v30, vcc, s54, v30
	v_mad_u64_u32 v[32:33], s[52:53], s60, v32, v[38:39]
	v_mov_b32_e32 v36, v35
	v_addc_co_u32_e32 v31, vcc, v40, v31, vcc
	v_mad_u64_u32 v[32:33], s[52:53], v32, s20, v[36:37]
	v_mov_b32_e32 v33, v32
	v_add_co_u32_e32 v32, vcc, v34, v0
	v_addc_co_u32_e32 v33, vcc, 0, v33, vcc
	v_lshlrev_b64 v[34:35], 2, v[32:33]
	v_add_co_u32_e32 v32, vcc, s54, v34
	v_addc_co_u32_e32 v33, vcc, v40, v35, vcc
	s_mov_b32 s21, s23
	s_add_u32 s16, s58, s16
	v_add_co_u32_e32 v34, vcc, s56, v34
	s_addc_u32 s17, s59, s17
	s_lshl_b64 s[50:51], s[20:21], 2
	v_addc_co_u32_e32 v35, vcc, v39, v35, vcc
	s_mov_b64 s[52:53], 0
	s_branch .LBB24_13
.LBB24_12:                              ;   in Loop: Header=BB24_13 Depth=1
	s_or_b64 exec, exec, s[54:55]
	s_add_u32 s26, s26, 1
	s_addc_u32 s27, s27, 0
	s_add_u32 s25, s25, s14
	s_addc_u32 s33, s33, s15
	;; [unrolled: 2-line block ×3, first 2 shown]
	v_pk_mov_b32 v[36:37], s[28:29], s[28:29] op_sel:[0,1]
	s_add_u32 s52, s52, s50
	v_cmp_ge_i64_e32 vcc, s[26:27], v[36:37]
	s_addc_u32 s53, s53, s51
	s_cbranch_vccnz .LBB24_45
.LBB24_13:                              ; =>This Inner Loop Header: Depth=1
	s_load_dword s21, s[16:17], 0x0
	s_waitcnt lgkmcnt(0)
	s_sub_i32 s21, s21, s22
	s_mul_i32 s21, s21, s20
	s_add_i32 s21, s21, s24
	v_add_u32_e32 v39, s21, v0
	s_and_saveexec_b64 s[54:55], s[18:19]
	s_cbranch_execnz .LBB24_29
; %bb.14:                               ;   in Loop: Header=BB24_13 Depth=1
	s_or_b64 exec, exec, s[54:55]
	v_add_u32_e32 v37, s21, v1
	s_and_saveexec_b64 s[54:55], s[30:31]
	s_cbranch_execnz .LBB24_30
.LBB24_15:                              ;   in Loop: Header=BB24_13 Depth=1
	s_or_b64 exec, exec, s[54:55]
	v_add_u32_e32 v36, s21, v2
	s_and_saveexec_b64 s[54:55], s[34:35]
	s_cbranch_execnz .LBB24_31
.LBB24_16:                              ;   in Loop: Header=BB24_13 Depth=1
	s_or_b64 exec, exec, s[54:55]
	v_add_u32_e32 v38, s21, v3
	s_and_saveexec_b64 s[54:55], s[2:3]
	s_cbranch_execnz .LBB24_32
.LBB24_17:                              ;   in Loop: Header=BB24_13 Depth=1
	s_or_b64 exec, exec, s[54:55]
	s_and_saveexec_b64 s[54:55], s[36:37]
	s_cbranch_execnz .LBB24_33
.LBB24_18:                              ;   in Loop: Header=BB24_13 Depth=1
	s_or_b64 exec, exec, s[54:55]
	s_and_saveexec_b64 s[54:55], s[38:39]
	s_cbranch_execnz .LBB24_34
.LBB24_19:                              ;   in Loop: Header=BB24_13 Depth=1
	s_or_b64 exec, exec, s[54:55]
	s_and_saveexec_b64 s[54:55], s[40:41]
	s_cbranch_execnz .LBB24_35
.LBB24_20:                              ;   in Loop: Header=BB24_13 Depth=1
	s_or_b64 exec, exec, s[54:55]
	s_and_saveexec_b64 s[54:55], s[6:7]
	s_cbranch_execnz .LBB24_36
.LBB24_21:                              ;   in Loop: Header=BB24_13 Depth=1
	s_or_b64 exec, exec, s[54:55]
	s_and_saveexec_b64 s[54:55], s[42:43]
	s_cbranch_execnz .LBB24_37
.LBB24_22:                              ;   in Loop: Header=BB24_13 Depth=1
	s_or_b64 exec, exec, s[54:55]
	s_and_saveexec_b64 s[54:55], s[44:45]
	s_cbranch_execnz .LBB24_38
.LBB24_23:                              ;   in Loop: Header=BB24_13 Depth=1
	s_or_b64 exec, exec, s[54:55]
	s_and_saveexec_b64 s[54:55], s[46:47]
	s_cbranch_execnz .LBB24_39
.LBB24_24:                              ;   in Loop: Header=BB24_13 Depth=1
	s_or_b64 exec, exec, s[54:55]
	s_and_saveexec_b64 s[54:55], s[8:9]
	s_cbranch_execnz .LBB24_40
.LBB24_25:                              ;   in Loop: Header=BB24_13 Depth=1
	s_or_b64 exec, exec, s[54:55]
	s_and_saveexec_b64 s[54:55], s[48:49]
	s_cbranch_execnz .LBB24_41
.LBB24_26:                              ;   in Loop: Header=BB24_13 Depth=1
	s_or_b64 exec, exec, s[54:55]
	s_and_saveexec_b64 s[54:55], s[4:5]
	s_cbranch_execnz .LBB24_42
.LBB24_27:                              ;   in Loop: Header=BB24_13 Depth=1
	s_or_b64 exec, exec, s[54:55]
	s_and_saveexec_b64 s[54:55], s[12:13]
	s_cbranch_execnz .LBB24_43
.LBB24_28:                              ;   in Loop: Header=BB24_13 Depth=1
	s_or_b64 exec, exec, s[54:55]
	s_and_saveexec_b64 s[54:55], s[10:11]
	s_cbranch_execz .LBB24_12
	s_branch .LBB24_44
.LBB24_29:                              ;   in Loop: Header=BB24_13 Depth=1
	v_cndmask_b32_e64 v36, v12, v4, s[0:1]
	v_cndmask_b32_e64 v37, v13, v5, s[0:1]
	v_mov_b32_e32 v38, s33
	v_add_co_u32_e32 v36, vcc, s25, v36
	v_addc_co_u32_e32 v37, vcc, v38, v37, vcc
	global_load_dword v38, v[36:37], off
	v_mov_b32_e32 v40, s53
	v_add_co_u32_e32 v36, vcc, s52, v20
	v_addc_co_u32_e32 v37, vcc, v21, v40, vcc
	global_store_dword v[36:37], v39, off
	v_add_co_u32_e32 v36, vcc, s52, v22
	v_addc_co_u32_e32 v37, vcc, v23, v40, vcc
	s_waitcnt vmcnt(1)
	global_store_dword v[36:37], v38, off
	s_or_b64 exec, exec, s[54:55]
	v_add_u32_e32 v37, s21, v1
	s_and_saveexec_b64 s[54:55], s[30:31]
	s_cbranch_execz .LBB24_15
.LBB24_30:                              ;   in Loop: Header=BB24_13 Depth=1
	v_mov_b32_e32 v36, s33
	v_add_co_u32_e32 v38, vcc, s25, v4
	v_addc_co_u32_e32 v40, vcc, v36, v5, vcc
	v_add_co_u32_e32 v38, vcc, 0x80, v38
	v_addc_co_u32_e32 v40, vcc, 0, v40, vcc
	;; [unrolled: 2-line block ×3, first 2 shown]
	v_cndmask_b32_e64 v41, v36, v40, s[0:1]
	v_cndmask_b32_e64 v40, v42, v38, s[0:1]
	global_load_dword v36, v[40:41], off
	v_mov_b32_e32 v38, s53
	v_add_co_u32_e32 v40, vcc, s52, v20
	v_addc_co_u32_e32 v41, vcc, v21, v38, vcc
	global_store_dword v[40:41], v37, off offset:128
	v_add_co_u32_e32 v40, vcc, s52, v22
	v_addc_co_u32_e32 v41, vcc, v23, v38, vcc
	s_waitcnt vmcnt(1)
	global_store_dword v[40:41], v36, off offset:128
	s_or_b64 exec, exec, s[54:55]
	v_add_u32_e32 v36, s21, v2
	s_and_saveexec_b64 s[54:55], s[34:35]
	s_cbranch_execz .LBB24_16
.LBB24_31:                              ;   in Loop: Header=BB24_13 Depth=1
	v_mov_b32_e32 v38, s33
	v_add_co_u32_e32 v40, vcc, s25, v4
	v_addc_co_u32_e32 v41, vcc, v38, v5, vcc
	v_add_co_u32_e32 v40, vcc, 0x100, v40
	v_addc_co_u32_e32 v41, vcc, 0, v41, vcc
	;; [unrolled: 2-line block ×3, first 2 shown]
	v_cndmask_b32_e64 v41, v38, v41, s[0:1]
	v_cndmask_b32_e64 v40, v42, v40, s[0:1]
	global_load_dword v38, v[40:41], off
	v_mov_b32_e32 v42, s53
	v_add_co_u32_e32 v40, vcc, s52, v20
	v_addc_co_u32_e32 v41, vcc, v21, v42, vcc
	global_store_dword v[40:41], v36, off offset:256
	v_add_co_u32_e32 v40, vcc, s52, v22
	v_addc_co_u32_e32 v41, vcc, v23, v42, vcc
	s_waitcnt vmcnt(1)
	global_store_dword v[40:41], v38, off offset:256
	s_or_b64 exec, exec, s[54:55]
	v_add_u32_e32 v38, s21, v3
	s_and_saveexec_b64 s[54:55], s[2:3]
	s_cbranch_execz .LBB24_17
.LBB24_32:                              ;   in Loop: Header=BB24_13 Depth=1
	v_mov_b32_e32 v40, s33
	v_add_co_u32_e32 v41, vcc, s25, v4
	v_addc_co_u32_e32 v42, vcc, v40, v5, vcc
	v_add_co_u32_e32 v43, vcc, 0x180, v41
	v_addc_co_u32_e32 v41, vcc, 0, v42, vcc
	;; [unrolled: 2-line block ×3, first 2 shown]
	v_cndmask_b32_e64 v41, v40, v41, s[0:1]
	v_cndmask_b32_e64 v40, v42, v43, s[0:1]
	global_load_dword v42, v[40:41], off
	v_mov_b32_e32 v43, s53
	v_add_co_u32_e32 v40, vcc, s52, v20
	v_addc_co_u32_e32 v41, vcc, v21, v43, vcc
	global_store_dword v[40:41], v38, off offset:384
	v_add_co_u32_e32 v40, vcc, s52, v22
	v_addc_co_u32_e32 v41, vcc, v23, v43, vcc
	s_waitcnt vmcnt(1)
	global_store_dword v[40:41], v42, off offset:384
	s_or_b64 exec, exec, s[54:55]
	s_and_saveexec_b64 s[54:55], s[36:37]
	s_cbranch_execz .LBB24_18
.LBB24_33:                              ;   in Loop: Header=BB24_13 Depth=1
	v_mov_b32_e32 v40, s33
	v_add_co_u32_e32 v42, vcc, s25, v6
	v_addc_co_u32_e32 v41, vcc, v40, v7, vcc
	v_add_co_u32_e32 v43, vcc, s25, v12
	v_addc_co_u32_e32 v40, vcc, v40, v13, vcc
	;; [unrolled: 2-line block ×3, first 2 shown]
	v_cndmask_b32_e64 v41, v40, v41, s[0:1]
	v_cndmask_b32_e64 v40, v43, v42, s[0:1]
	global_load_dword v42, v[40:41], off
	v_mov_b32_e32 v43, s53
	v_add_co_u32_e32 v40, vcc, s52, v28
	v_addc_co_u32_e32 v41, vcc, v29, v43, vcc
	global_store_dword v[40:41], v39, off
	v_add_co_u32_e32 v40, vcc, s52, v30
	v_addc_co_u32_e32 v41, vcc, v31, v43, vcc
	s_waitcnt vmcnt(1)
	global_store_dword v[40:41], v42, off
	s_or_b64 exec, exec, s[54:55]
	s_and_saveexec_b64 s[54:55], s[38:39]
	s_cbranch_execz .LBB24_19
.LBB24_34:                              ;   in Loop: Header=BB24_13 Depth=1
	v_cndmask_b32_e64 v40, v14, v6, s[0:1]
	v_cndmask_b32_e64 v41, v15, v7, s[0:1]
	v_mov_b32_e32 v42, s33
	v_add_co_u32_e32 v40, vcc, s25, v40
	v_addc_co_u32_e32 v41, vcc, v42, v41, vcc
	global_load_dword v42, v[40:41], off offset:128
	v_mov_b32_e32 v43, s53
	v_add_co_u32_e32 v40, vcc, s52, v28
	v_addc_co_u32_e32 v41, vcc, v29, v43, vcc
	global_store_dword v[40:41], v37, off offset:128
	v_add_co_u32_e32 v40, vcc, s52, v30
	v_addc_co_u32_e32 v41, vcc, v31, v43, vcc
	s_waitcnt vmcnt(1)
	global_store_dword v[40:41], v42, off offset:128
	s_or_b64 exec, exec, s[54:55]
	s_and_saveexec_b64 s[54:55], s[40:41]
	s_cbranch_execz .LBB24_20
.LBB24_35:                              ;   in Loop: Header=BB24_13 Depth=1
	v_mov_b32_e32 v40, s33
	v_add_co_u32_e32 v41, vcc, s25, v6
	v_addc_co_u32_e32 v42, vcc, v40, v7, vcc
	v_add_co_u32_e32 v43, vcc, 0x100, v41
	v_addc_co_u32_e32 v41, vcc, 0, v42, vcc
	v_add_co_u32_e32 v42, vcc, s25, v16
	v_addc_co_u32_e32 v40, vcc, v40, v17, vcc
	v_add_co_u32_e32 v42, vcc, 0x80, v42
	v_addc_co_u32_e32 v40, vcc, 0, v40, vcc
	v_cndmask_b32_e64 v41, v40, v41, s[0:1]
	v_cndmask_b32_e64 v40, v42, v43, s[0:1]
	global_load_dword v42, v[40:41], off
	v_mov_b32_e32 v43, s53
	v_add_co_u32_e32 v40, vcc, s52, v28
	v_addc_co_u32_e32 v41, vcc, v29, v43, vcc
	global_store_dword v[40:41], v36, off offset:256
	v_add_co_u32_e32 v40, vcc, s52, v30
	v_addc_co_u32_e32 v41, vcc, v31, v43, vcc
	s_waitcnt vmcnt(1)
	global_store_dword v[40:41], v42, off offset:256
	s_or_b64 exec, exec, s[54:55]
	s_and_saveexec_b64 s[54:55], s[6:7]
	s_cbranch_execz .LBB24_21
.LBB24_36:                              ;   in Loop: Header=BB24_13 Depth=1
	v_mov_b32_e32 v40, s33
	v_add_co_u32_e32 v41, vcc, s25, v6
	v_addc_co_u32_e32 v42, vcc, v40, v7, vcc
	v_add_co_u32_e32 v43, vcc, 0x180, v41
	v_addc_co_u32_e32 v41, vcc, 0, v42, vcc
	v_add_co_u32_e32 v42, vcc, s25, v18
	v_addc_co_u32_e32 v40, vcc, v40, v19, vcc
	v_add_co_u32_e32 v42, vcc, 0x80, v42
	v_addc_co_u32_e32 v40, vcc, 0, v40, vcc
	v_cndmask_b32_e64 v41, v40, v41, s[0:1]
	v_cndmask_b32_e64 v40, v42, v43, s[0:1]
	global_load_dword v42, v[40:41], off
	v_mov_b32_e32 v43, s53
	v_add_co_u32_e32 v40, vcc, s52, v28
	v_addc_co_u32_e32 v41, vcc, v29, v43, vcc
	global_store_dword v[40:41], v38, off offset:384
	v_add_co_u32_e32 v40, vcc, s52, v30
	v_addc_co_u32_e32 v41, vcc, v31, v43, vcc
	s_waitcnt vmcnt(1)
	global_store_dword v[40:41], v42, off offset:384
	s_or_b64 exec, exec, s[54:55]
	s_and_saveexec_b64 s[54:55], s[42:43]
	s_cbranch_execz .LBB24_22
.LBB24_37:                              ;   in Loop: Header=BB24_13 Depth=1
	v_mov_b32_e32 v40, s33
	v_add_co_u32_e32 v42, vcc, s25, v8
	v_addc_co_u32_e32 v41, vcc, v40, v9, vcc
	v_add_co_u32_e32 v43, vcc, s25, v12
	v_addc_co_u32_e32 v40, vcc, v40, v13, vcc
	;; [unrolled: 2-line block ×3, first 2 shown]
	v_cndmask_b32_e64 v41, v40, v41, s[0:1]
	v_cndmask_b32_e64 v40, v43, v42, s[0:1]
	global_load_dword v42, v[40:41], off
	v_mov_b32_e32 v43, s53
	v_add_co_u32_e32 v40, vcc, s52, v34
	v_addc_co_u32_e32 v41, vcc, v35, v43, vcc
	global_store_dword v[40:41], v39, off
	v_add_co_u32_e32 v40, vcc, s52, v32
	v_addc_co_u32_e32 v41, vcc, v33, v43, vcc
	s_waitcnt vmcnt(1)
	global_store_dword v[40:41], v42, off
	s_or_b64 exec, exec, s[54:55]
	s_and_saveexec_b64 s[54:55], s[44:45]
	s_cbranch_execz .LBB24_23
.LBB24_38:                              ;   in Loop: Header=BB24_13 Depth=1
	v_mov_b32_e32 v40, s33
	v_add_co_u32_e32 v41, vcc, s25, v8
	v_addc_co_u32_e32 v42, vcc, v40, v9, vcc
	v_add_co_u32_e32 v43, vcc, 0x80, v41
	v_addc_co_u32_e32 v41, vcc, 0, v42, vcc
	;; [unrolled: 2-line block ×4, first 2 shown]
	v_cndmask_b32_e64 v41, v40, v41, s[0:1]
	v_cndmask_b32_e64 v40, v42, v43, s[0:1]
	global_load_dword v42, v[40:41], off
	v_mov_b32_e32 v43, s53
	v_add_co_u32_e32 v40, vcc, s52, v34
	v_addc_co_u32_e32 v41, vcc, v35, v43, vcc
	global_store_dword v[40:41], v37, off offset:128
	v_add_co_u32_e32 v40, vcc, s52, v32
	v_addc_co_u32_e32 v41, vcc, v33, v43, vcc
	s_waitcnt vmcnt(1)
	global_store_dword v[40:41], v42, off offset:128
	s_or_b64 exec, exec, s[54:55]
	s_and_saveexec_b64 s[54:55], s[46:47]
	s_cbranch_execz .LBB24_24
.LBB24_39:                              ;   in Loop: Header=BB24_13 Depth=1
	v_cndmask_b32_e64 v40, v16, v8, s[0:1]
	v_cndmask_b32_e64 v41, v17, v9, s[0:1]
	v_mov_b32_e32 v42, s33
	v_add_co_u32_e32 v40, vcc, s25, v40
	v_addc_co_u32_e32 v41, vcc, v42, v41, vcc
	global_load_dword v42, v[40:41], off offset:256
	v_mov_b32_e32 v43, s53
	v_add_co_u32_e32 v40, vcc, s52, v34
	v_addc_co_u32_e32 v41, vcc, v35, v43, vcc
	global_store_dword v[40:41], v36, off offset:256
	v_add_co_u32_e32 v40, vcc, s52, v32
	v_addc_co_u32_e32 v41, vcc, v33, v43, vcc
	s_waitcnt vmcnt(1)
	global_store_dword v[40:41], v42, off offset:256
	s_or_b64 exec, exec, s[54:55]
	s_and_saveexec_b64 s[54:55], s[8:9]
	s_cbranch_execz .LBB24_25
.LBB24_40:                              ;   in Loop: Header=BB24_13 Depth=1
	v_mov_b32_e32 v40, s33
	v_add_co_u32_e32 v41, vcc, s25, v8
	v_addc_co_u32_e32 v42, vcc, v40, v9, vcc
	v_add_co_u32_e32 v43, vcc, 0x180, v41
	v_addc_co_u32_e32 v41, vcc, 0, v42, vcc
	;; [unrolled: 2-line block ×4, first 2 shown]
	v_cndmask_b32_e64 v41, v40, v41, s[0:1]
	v_cndmask_b32_e64 v40, v42, v43, s[0:1]
	global_load_dword v42, v[40:41], off
	v_mov_b32_e32 v43, s53
	v_add_co_u32_e32 v40, vcc, s52, v34
	v_addc_co_u32_e32 v41, vcc, v35, v43, vcc
	global_store_dword v[40:41], v38, off offset:384
	v_add_co_u32_e32 v40, vcc, s52, v32
	v_addc_co_u32_e32 v41, vcc, v33, v43, vcc
	s_waitcnt vmcnt(1)
	global_store_dword v[40:41], v42, off offset:384
	s_or_b64 exec, exec, s[54:55]
	s_and_saveexec_b64 s[54:55], s[48:49]
	s_cbranch_execz .LBB24_26
.LBB24_41:                              ;   in Loop: Header=BB24_13 Depth=1
	v_mov_b32_e32 v40, s33
	v_add_co_u32_e32 v42, vcc, s25, v10
	v_addc_co_u32_e32 v41, vcc, v40, v11, vcc
	v_add_co_u32_e32 v43, vcc, s25, v12
	v_addc_co_u32_e32 v40, vcc, v40, v13, vcc
	;; [unrolled: 2-line block ×3, first 2 shown]
	v_cndmask_b32_e64 v41, v40, v41, s[0:1]
	v_cndmask_b32_e64 v40, v43, v42, s[0:1]
	global_load_dword v42, v[40:41], off
	v_mov_b32_e32 v43, s53
	v_add_co_u32_e32 v40, vcc, s52, v26
	v_addc_co_u32_e32 v41, vcc, v27, v43, vcc
	global_store_dword v[40:41], v39, off
	v_add_co_u32_e32 v40, vcc, s52, v24
	v_addc_co_u32_e32 v41, vcc, v25, v43, vcc
	s_waitcnt vmcnt(1)
	global_store_dword v[40:41], v42, off
	s_or_b64 exec, exec, s[54:55]
	s_and_saveexec_b64 s[54:55], s[4:5]
	s_cbranch_execz .LBB24_27
.LBB24_42:                              ;   in Loop: Header=BB24_13 Depth=1
	v_mov_b32_e32 v39, s33
	v_add_co_u32_e32 v40, vcc, s25, v10
	v_addc_co_u32_e32 v41, vcc, v39, v11, vcc
	v_add_co_u32_e32 v40, vcc, 0x80, v40
	v_addc_co_u32_e32 v41, vcc, 0, v41, vcc
	;; [unrolled: 2-line block ×4, first 2 shown]
	v_cndmask_b32_e64 v41, v39, v41, s[0:1]
	v_cndmask_b32_e64 v40, v42, v40, s[0:1]
	global_load_dword v39, v[40:41], off
	v_mov_b32_e32 v42, s53
	v_add_co_u32_e32 v40, vcc, s52, v26
	v_addc_co_u32_e32 v41, vcc, v27, v42, vcc
	global_store_dword v[40:41], v37, off offset:128
	v_add_co_u32_e32 v40, vcc, s52, v24
	v_addc_co_u32_e32 v41, vcc, v25, v42, vcc
	s_waitcnt vmcnt(1)
	global_store_dword v[40:41], v39, off offset:128
	s_or_b64 exec, exec, s[54:55]
	s_and_saveexec_b64 s[54:55], s[12:13]
	s_cbranch_execz .LBB24_28
.LBB24_43:                              ;   in Loop: Header=BB24_13 Depth=1
	v_mov_b32_e32 v37, s33
	v_add_co_u32_e32 v39, vcc, s25, v10
	v_addc_co_u32_e32 v40, vcc, v37, v11, vcc
	v_add_co_u32_e32 v39, vcc, 0x100, v39
	v_addc_co_u32_e32 v40, vcc, 0, v40, vcc
	;; [unrolled: 2-line block ×4, first 2 shown]
	v_cndmask_b32_e64 v41, v37, v40, s[0:1]
	v_cndmask_b32_e64 v40, v42, v39, s[0:1]
	global_load_dword v39, v[40:41], off
	v_mov_b32_e32 v37, s53
	v_add_co_u32_e32 v40, vcc, s52, v26
	v_addc_co_u32_e32 v41, vcc, v27, v37, vcc
	global_store_dword v[40:41], v36, off offset:256
	v_add_co_u32_e32 v36, vcc, s52, v24
	v_addc_co_u32_e32 v37, vcc, v25, v37, vcc
	s_waitcnt vmcnt(1)
	global_store_dword v[36:37], v39, off offset:256
	s_or_b64 exec, exec, s[54:55]
	s_and_saveexec_b64 s[54:55], s[10:11]
	s_cbranch_execz .LBB24_12
.LBB24_44:                              ;   in Loop: Header=BB24_13 Depth=1
	v_cndmask_b32_e64 v36, v18, v10, s[0:1]
	v_cndmask_b32_e64 v37, v19, v11, s[0:1]
	v_mov_b32_e32 v39, s33
	v_add_co_u32_e32 v36, vcc, s25, v36
	v_addc_co_u32_e32 v37, vcc, v39, v37, vcc
	global_load_dword v39, v[36:37], off offset:384
	v_mov_b32_e32 v40, s53
	v_add_co_u32_e32 v36, vcc, s52, v26
	v_addc_co_u32_e32 v37, vcc, v27, v40, vcc
	global_store_dword v[36:37], v38, off offset:384
	v_add_co_u32_e32 v36, vcc, s52, v24
	v_addc_co_u32_e32 v37, vcc, v25, v40, vcc
	s_waitcnt vmcnt(1)
	global_store_dword v[36:37], v39, off offset:384
	s_branch .LBB24_12
.LBB24_45:
	s_endpgm
	.section	.rodata,"a",@progbits
	.p2align	6, 0x0
	.amdhsa_kernel _ZN9rocsparseL35bsr2csr_block_per_row_33_256_kernelILj1024ELj128ELj32EiliEEv20rocsparse_direction_T4_S2_21rocsparse_index_base_PKT2_PKT3_PKS2_S2_S3_PS4_PS7_PS2_
		.amdhsa_group_segment_fixed_size 0
		.amdhsa_private_segment_fixed_size 0
		.amdhsa_kernarg_size 72
		.amdhsa_user_sgpr_count 6
		.amdhsa_user_sgpr_private_segment_buffer 1
		.amdhsa_user_sgpr_dispatch_ptr 0
		.amdhsa_user_sgpr_queue_ptr 0
		.amdhsa_user_sgpr_kernarg_segment_ptr 1
		.amdhsa_user_sgpr_dispatch_id 0
		.amdhsa_user_sgpr_flat_scratch_init 0
		.amdhsa_user_sgpr_kernarg_preload_length 0
		.amdhsa_user_sgpr_kernarg_preload_offset 0
		.amdhsa_user_sgpr_private_segment_size 0
		.amdhsa_uses_dynamic_stack 0
		.amdhsa_system_sgpr_private_segment_wavefront_offset 0
		.amdhsa_system_sgpr_workgroup_id_x 1
		.amdhsa_system_sgpr_workgroup_id_y 0
		.amdhsa_system_sgpr_workgroup_id_z 0
		.amdhsa_system_sgpr_workgroup_info 0
		.amdhsa_system_vgpr_workitem_id 0
		.amdhsa_next_free_vgpr 44
		.amdhsa_next_free_sgpr 64
		.amdhsa_accum_offset 44
		.amdhsa_reserve_vcc 1
		.amdhsa_reserve_flat_scratch 0
		.amdhsa_float_round_mode_32 0
		.amdhsa_float_round_mode_16_64 0
		.amdhsa_float_denorm_mode_32 3
		.amdhsa_float_denorm_mode_16_64 3
		.amdhsa_dx10_clamp 1
		.amdhsa_ieee_mode 1
		.amdhsa_fp16_overflow 0
		.amdhsa_tg_split 0
		.amdhsa_exception_fp_ieee_invalid_op 0
		.amdhsa_exception_fp_denorm_src 0
		.amdhsa_exception_fp_ieee_div_zero 0
		.amdhsa_exception_fp_ieee_overflow 0
		.amdhsa_exception_fp_ieee_underflow 0
		.amdhsa_exception_fp_ieee_inexact 0
		.amdhsa_exception_int_div_zero 0
	.end_amdhsa_kernel
	.section	.text._ZN9rocsparseL35bsr2csr_block_per_row_33_256_kernelILj1024ELj128ELj32EiliEEv20rocsparse_direction_T4_S2_21rocsparse_index_base_PKT2_PKT3_PKS2_S2_S3_PS4_PS7_PS2_,"axG",@progbits,_ZN9rocsparseL35bsr2csr_block_per_row_33_256_kernelILj1024ELj128ELj32EiliEEv20rocsparse_direction_T4_S2_21rocsparse_index_base_PKT2_PKT3_PKS2_S2_S3_PS4_PS7_PS2_,comdat
.Lfunc_end24:
	.size	_ZN9rocsparseL35bsr2csr_block_per_row_33_256_kernelILj1024ELj128ELj32EiliEEv20rocsparse_direction_T4_S2_21rocsparse_index_base_PKT2_PKT3_PKS2_S2_S3_PS4_PS7_PS2_, .Lfunc_end24-_ZN9rocsparseL35bsr2csr_block_per_row_33_256_kernelILj1024ELj128ELj32EiliEEv20rocsparse_direction_T4_S2_21rocsparse_index_base_PKT2_PKT3_PKS2_S2_S3_PS4_PS7_PS2_
                                        ; -- End function
	.section	.AMDGPU.csdata,"",@progbits
; Kernel info:
; codeLenInByte = 3384
; NumSgprs: 68
; NumVgprs: 44
; NumAgprs: 0
; TotalNumVgprs: 44
; ScratchSize: 0
; MemoryBound: 0
; FloatMode: 240
; IeeeMode: 1
; LDSByteSize: 0 bytes/workgroup (compile time only)
; SGPRBlocks: 8
; VGPRBlocks: 5
; NumSGPRsForWavesPerEU: 68
; NumVGPRsForWavesPerEU: 44
; AccumOffset: 44
; Occupancy: 8
; WaveLimiterHint : 1
; COMPUTE_PGM_RSRC2:SCRATCH_EN: 0
; COMPUTE_PGM_RSRC2:USER_SGPR: 6
; COMPUTE_PGM_RSRC2:TRAP_HANDLER: 0
; COMPUTE_PGM_RSRC2:TGID_X_EN: 1
; COMPUTE_PGM_RSRC2:TGID_Y_EN: 0
; COMPUTE_PGM_RSRC2:TGID_Z_EN: 0
; COMPUTE_PGM_RSRC2:TIDIG_COMP_CNT: 0
; COMPUTE_PGM_RSRC3_GFX90A:ACCUM_OFFSET: 10
; COMPUTE_PGM_RSRC3_GFX90A:TG_SPLIT: 0
	.section	.text._ZN9rocsparseL35bsr2csr_block_per_row_33_256_kernelILj1024ELj256ELj32EiliEEv20rocsparse_direction_T4_S2_21rocsparse_index_base_PKT2_PKT3_PKS2_S2_S3_PS4_PS7_PS2_,"axG",@progbits,_ZN9rocsparseL35bsr2csr_block_per_row_33_256_kernelILj1024ELj256ELj32EiliEEv20rocsparse_direction_T4_S2_21rocsparse_index_base_PKT2_PKT3_PKS2_S2_S3_PS4_PS7_PS2_,comdat
	.globl	_ZN9rocsparseL35bsr2csr_block_per_row_33_256_kernelILj1024ELj256ELj32EiliEEv20rocsparse_direction_T4_S2_21rocsparse_index_base_PKT2_PKT3_PKS2_S2_S3_PS4_PS7_PS2_ ; -- Begin function _ZN9rocsparseL35bsr2csr_block_per_row_33_256_kernelILj1024ELj256ELj32EiliEEv20rocsparse_direction_T4_S2_21rocsparse_index_base_PKT2_PKT3_PKS2_S2_S3_PS4_PS7_PS2_
	.p2align	8
	.type	_ZN9rocsparseL35bsr2csr_block_per_row_33_256_kernelILj1024ELj256ELj32EiliEEv20rocsparse_direction_T4_S2_21rocsparse_index_base_PKT2_PKT3_PKS2_S2_S3_PS4_PS7_PS2_,@function
_ZN9rocsparseL35bsr2csr_block_per_row_33_256_kernelILj1024ELj256ELj32EiliEEv20rocsparse_direction_T4_S2_21rocsparse_index_base_PKT2_PKT3_PKS2_S2_S3_PS4_PS7_PS2_: ; @_ZN9rocsparseL35bsr2csr_block_per_row_33_256_kernelILj1024ELj256ELj32EiliEEv20rocsparse_direction_T4_S2_21rocsparse_index_base_PKT2_PKT3_PKS2_S2_S3_PS4_PS7_PS2_
; %bb.0:
	s_load_dwordx2 s[0:1], s[4:5], 0x18
	s_load_dwordx2 s[36:37], s[4:5], 0x28
	;; [unrolled: 1-line block ×3, first 2 shown]
	s_ashr_i32 s7, s6, 31
	s_lshl_b64 s[2:3], s[6:7], 3
	s_waitcnt lgkmcnt(0)
	s_add_u32 s0, s0, s2
	s_addc_u32 s1, s1, s3
	s_load_dwordx4 s[20:23], s[0:1], 0x0
	v_or_b32_e32 v1, s6, v0
	s_mov_b32 s39, 0
	v_cmp_eq_u32_e32 vcc, 0, v1
	s_mov_b32 s38, s37
	s_and_saveexec_b64 s[0:1], vcc
	s_cbranch_execz .LBB25_2
; %bb.1:
	v_mov_b32_e32 v1, 0
	v_pk_mov_b32 v[2:3], s[38:39], s[38:39] op_sel:[0,1]
	global_store_dwordx2 v1, v[2:3], s[8:9]
.LBB25_2:
	s_or_b64 exec, exec, s[0:1]
	s_load_dword s1, s[4:5], 0xc
	s_mul_i32 s37, s36, s36
                                        ; implicit-def: $vgpr78 : SGPR spill to VGPR lane
	v_lshrrev_b32_e32 v18, 5, v0
	s_mul_i32 s28, s6, s36
	v_cmp_gt_i32_e64 s[2:3], s36, v18
	s_waitcnt lgkmcnt(0)
	s_sub_u32 s48, s20, s1
	s_subb_u32 s49, s21, 0
	s_mul_hi_u32 s0, s48, s37
	v_writelane_b32 v78, s1, 0
	s_sub_u32 s42, s22, s1
	s_mul_i32 s1, s49, s37
	s_subb_u32 s43, s23, 0
	s_add_i32 s45, s0, s1
	s_sub_u32 s39, s42, s48
	s_subb_u32 s33, s43, s49
	s_mul_i32 s0, s33, s36
	s_mul_hi_u32 s1, s39, s36
	s_mul_i32 s44, s48, s37
	s_add_i32 s26, s1, s0
	s_add_u32 s0, s44, s38
	s_mul_i32 s27, s39, s36
	s_addc_u32 s1, s45, 0
	s_add_u32 s0, s0, s27
	s_addc_u32 s1, s1, s26
	s_and_saveexec_b64 s[6:7], s[2:3]
	s_cbranch_execz .LBB25_4
; %bb.3:
	v_pk_mov_b32 v[2:3], s[0:1], s[0:1] op_sel:[0,1]
	v_mad_u64_u32 v[2:3], s[10:11], s27, v18, v[2:3]
	v_mov_b32_e32 v4, v3
	v_mad_u64_u32 v[4:5], s[10:11], s26, v18, v[4:5]
	v_mov_b32_e32 v3, v4
	v_add_u32_e32 v4, s28, v18
	v_ashrrev_i32_e32 v5, 31, v4
	v_lshlrev_b64 v[4:5], 3, v[4:5]
	v_mov_b32_e32 v1, s9
	v_add_co_u32_e32 v4, vcc, s8, v4
	v_addc_co_u32_e32 v5, vcc, v1, v5, vcc
	global_store_dwordx2 v[4:5], v[2:3], off offset:8
.LBB25_4:
	s_or_b64 exec, exec, s[6:7]
	s_add_u32 s29, s8, 8
	v_or_b32_e32 v1, 32, v18
	s_addc_u32 s30, s9, 0
	v_cmp_gt_i32_e64 s[6:7], s36, v1
	s_and_saveexec_b64 s[8:9], s[6:7]
	s_cbranch_execz .LBB25_6
; %bb.5:
	v_pk_mov_b32 v[2:3], s[0:1], s[0:1] op_sel:[0,1]
	v_mad_u64_u32 v[2:3], s[10:11], s27, v1, v[2:3]
	v_mov_b32_e32 v4, v3
	v_mad_u64_u32 v[4:5], s[10:11], s26, v1, v[4:5]
	s_ashr_i32 s10, s28, 31
	v_mov_b32_e32 v3, v4
	v_mov_b32_e32 v5, s10
	v_add_co_u32_e32 v4, vcc, s28, v18
	v_addc_co_u32_e32 v5, vcc, 0, v5, vcc
	v_lshlrev_b64 v[4:5], 3, v[4:5]
	v_mov_b32_e32 v6, s30
	v_add_co_u32_e32 v4, vcc, s29, v4
	v_addc_co_u32_e32 v5, vcc, v6, v5, vcc
	global_store_dwordx2 v[4:5], v[2:3], off offset:256
.LBB25_6:
	s_or_b64 exec, exec, s[8:9]
	v_or_b32_e32 v19, 64, v18
	v_cmp_gt_i32_e64 s[8:9], s36, v19
	s_and_saveexec_b64 s[10:11], s[8:9]
	s_cbranch_execz .LBB25_8
; %bb.7:
	v_pk_mov_b32 v[2:3], s[0:1], s[0:1] op_sel:[0,1]
	v_mad_u64_u32 v[2:3], s[12:13], s27, v19, v[2:3]
	v_mov_b32_e32 v4, v3
	v_mad_u64_u32 v[4:5], s[12:13], s26, v19, v[4:5]
	s_ashr_i32 s12, s28, 31
	v_mov_b32_e32 v3, v4
	v_mov_b32_e32 v5, s12
	v_add_co_u32_e32 v4, vcc, s28, v18
	v_addc_co_u32_e32 v5, vcc, 0, v5, vcc
	v_lshlrev_b64 v[4:5], 3, v[4:5]
	v_mov_b32_e32 v6, s30
	v_add_co_u32_e32 v4, vcc, s29, v4
	v_addc_co_u32_e32 v5, vcc, v6, v5, vcc
	global_store_dwordx2 v[4:5], v[2:3], off offset:512
.LBB25_8:
	s_or_b64 exec, exec, s[10:11]
	v_or_b32_e32 v20, 0x60, v18
	;; [unrolled: 21-line block ×6, first 2 shown]
	v_cmp_gt_i32_e64 s[18:19], s36, v24
	s_and_saveexec_b64 s[24:25], s[18:19]
	s_cbranch_execz .LBB25_18
; %bb.17:
	v_pk_mov_b32 v[2:3], s[0:1], s[0:1] op_sel:[0,1]
	v_mad_u64_u32 v[2:3], s[0:1], s27, v24, v[2:3]
	v_mov_b32_e32 v4, v3
	v_mad_u64_u32 v[4:5], s[0:1], s26, v24, v[4:5]
	s_ashr_i32 s0, s28, 31
	v_mov_b32_e32 v3, v4
	v_mov_b32_e32 v5, s0
	v_add_co_u32_e32 v4, vcc, s28, v18
	v_addc_co_u32_e32 v5, vcc, 0, v5, vcc
	v_lshlrev_b64 v[4:5], 3, v[4:5]
	v_mov_b32_e32 v6, s30
	v_add_co_u32_e32 v4, vcc, s29, v4
	v_addc_co_u32_e32 v5, vcc, v6, v5, vcc
	global_store_dwordx2 v[4:5], v[2:3], off offset:1792
.LBB25_18:
	s_or_b64 exec, exec, s[24:25]
	v_pk_mov_b32 v[2:3], s[22:23], s[22:23] op_sel:[0,1]
	v_cmp_lt_i64_e32 vcc, s[20:21], v[2:3]
	s_cbranch_vccz .LBB25_149
; %bb.19:
	s_load_dword s0, s[4:5], 0x0
	s_load_dwordx2 s[46:47], s[4:5], 0x30
	s_load_dwordx2 s[22:23], s[4:5], 0x10
	v_and_b32_e32 v0, 31, v0
	v_cmp_gt_i32_e32 vcc, s36, v0
	v_or_b32_e32 v52, 32, v0
	s_waitcnt lgkmcnt(0)
	s_cmp_eq_u32 s0, 0
	v_writelane_b32 v78, s22, 1
	v_writelane_b32 v78, s23, 2
	s_cselect_b64 s[0:1], -1, 0
	s_and_b64 s[40:41], s[2:3], vcc
	v_cmp_gt_i32_e64 s[20:21], s36, v52
	v_writelane_b32 v78, s40, 3
	v_or_b32_e32 v53, 64, v0
	v_writelane_b32 v78, s41, 4
	s_and_b64 s[40:41], s[2:3], s[20:21]
	v_cmp_gt_i32_e64 s[22:23], s36, v53
	v_writelane_b32 v78, s40, 5
	v_or_b32_e32 v54, 0x60, v0
	v_writelane_b32 v78, s41, 6
	s_and_b64 s[40:41], s[2:3], s[22:23]
	;; [unrolled: 5-line block ×6, first 2 shown]
	v_cmp_gt_i32_e64 s[34:35], s36, v58
	v_writelane_b32 v78, s40, 15
	v_writelane_b32 v78, s41, 16
	s_and_b64 s[2:3], s[2:3], s[34:35]
	v_writelane_b32 v78, s2, 17
	v_writelane_b32 v78, s3, 18
	s_and_b64 s[2:3], s[6:7], vcc
	v_writelane_b32 v78, s2, 19
	v_writelane_b32 v78, s3, 20
	s_and_b64 s[2:3], s[6:7], s[20:21]
	v_writelane_b32 v78, s2, 21
	v_writelane_b32 v78, s3, 22
	s_and_b64 s[2:3], s[6:7], s[22:23]
	v_writelane_b32 v78, s2, 23
	v_writelane_b32 v78, s3, 24
	s_and_b64 s[2:3], s[6:7], s[24:25]
	v_writelane_b32 v78, s2, 25
	v_writelane_b32 v78, s3, 26
	s_and_b64 s[2:3], s[6:7], s[26:27]
	v_writelane_b32 v78, s2, 27
	v_writelane_b32 v78, s3, 28
	s_and_b64 s[2:3], s[6:7], s[28:29]
	v_writelane_b32 v78, s2, 29
	v_writelane_b32 v78, s3, 30
	s_and_b64 s[2:3], s[6:7], s[30:31]
	v_writelane_b32 v78, s2, 31
	v_writelane_b32 v78, s3, 32
	s_and_b64 s[2:3], s[6:7], s[34:35]
	v_writelane_b32 v78, s2, 33
	v_writelane_b32 v78, s3, 34
	s_and_b64 s[2:3], s[8:9], vcc
	v_writelane_b32 v78, s2, 35
	v_writelane_b32 v78, s3, 36
	s_and_b64 s[2:3], s[8:9], s[20:21]
	v_writelane_b32 v78, s2, 37
	v_writelane_b32 v78, s3, 38
	s_and_b64 s[2:3], s[8:9], s[22:23]
	v_writelane_b32 v78, s2, 39
	v_writelane_b32 v78, s3, 40
	s_and_b64 s[2:3], s[8:9], s[24:25]
	v_writelane_b32 v78, s2, 41
	v_writelane_b32 v78, s3, 42
	s_and_b64 s[2:3], s[8:9], s[26:27]
	v_writelane_b32 v78, s2, 43
	v_writelane_b32 v78, s3, 44
	s_and_b64 s[2:3], s[8:9], s[28:29]
	v_writelane_b32 v78, s2, 45
	v_writelane_b32 v78, s3, 46
	s_and_b64 s[2:3], s[8:9], s[30:31]
	;; [unrolled: 24-line block ×3, first 2 shown]
                                        ; implicit-def: $vgpr77 : SGPR spill to VGPR lane
	v_writelane_b32 v78, s2, 63
	v_writelane_b32 v77, s3, 0
	s_and_b64 s[2:3], s[10:11], s[34:35]
	v_writelane_b32 v77, s2, 1
	v_writelane_b32 v77, s3, 2
	s_and_b64 s[2:3], s[12:13], vcc
	v_writelane_b32 v77, s2, 3
	v_writelane_b32 v77, s3, 4
	s_and_b64 s[2:3], s[12:13], s[20:21]
	v_writelane_b32 v77, s2, 5
	v_writelane_b32 v77, s3, 6
	s_and_b64 s[2:3], s[12:13], s[22:23]
	;; [unrolled: 3-line block ×7, first 2 shown]
	v_writelane_b32 v77, s2, 17
	v_writelane_b32 v77, s3, 18
	s_and_b64 s[2:3], s[14:15], vcc
	v_writelane_b32 v77, s2, 19
	v_writelane_b32 v77, s3, 20
	s_and_b64 s[2:3], s[14:15], s[20:21]
	v_writelane_b32 v77, s2, 21
	v_writelane_b32 v77, s3, 22
	s_and_b64 s[2:3], s[14:15], s[22:23]
	;; [unrolled: 3-line block ×7, first 2 shown]
	s_and_b64 s[82:83], s[16:17], vcc
	s_and_b64 s[84:85], s[16:17], s[20:21]
	s_and_b64 s[86:87], s[16:17], s[22:23]
	;; [unrolled: 1-line block ×7, first 2 shown]
	s_and_b64 s[94:95], s[18:19], vcc
	s_and_b64 s[20:21], s[18:19], s[20:21]
	s_and_b64 s[22:23], s[18:19], s[22:23]
	;; [unrolled: 1-line block ×7, first 2 shown]
	v_mad_u64_u32 v[8:9], s[2:3], s39, v20, 0
	v_mad_u64_u32 v[12:13], s[2:3], s39, v22, 0
	s_load_dwordx2 s[34:35], s[4:5], 0x20
	s_nop 0
	s_load_dwordx2 s[4:5], s[4:5], 0x40
	v_mad_u64_u32 v[2:3], s[2:3], s39, v18, 0
	v_mad_u64_u32 v[4:5], s[2:3], s39, v1, 0
	;; [unrolled: 1-line block ×6, first 2 shown]
	v_mov_b32_e32 v32, v9
	v_mov_b32_e32 v34, v13
	v_mov_b32_e32 v26, v3
	v_mov_b32_e32 v28, v5
	v_mov_b32_e32 v30, v7
	v_mad_u64_u32 v[32:33], s[2:3], s33, v20, v[32:33]
	v_mov_b32_e32 v20, v11
	v_mad_u64_u32 v[34:35], s[2:3], s33, v22, v[34:35]
	v_mov_b32_e32 v22, v15
	v_mov_b32_e32 v36, v17
	v_mad_u64_u32 v[26:27], s[2:3], s33, v18, v[26:27]
	v_mad_u64_u32 v[28:29], s[2:3], s33, v1, v[28:29]
	;; [unrolled: 1-line block ×6, first 2 shown]
	s_lshl_b32 s2, s36, 5
	s_waitcnt lgkmcnt(0)
	s_add_u32 s33, s4, 0x80
	s_addc_u32 s52, s5, 0
	s_add_u32 s53, s46, 0x80
	s_addc_u32 s54, s47, 0
	;; [unrolled: 2-line block ×4, first 2 shown]
	v_mul_lo_u32 v36, v0, s36
	v_mul_lo_u32 v60, v18, s36
	s_add_u32 s11, s4, 0x180
	v_add_u32_e32 v38, s2, v36
	v_add_u32_e32 v62, s2, v60
	s_addc_u32 s58, s5, 0
	v_add_u32_e32 v40, s2, v38
	v_add_u32_e32 v64, s2, v62
	s_add_u32 s59, s46, 0x180
	v_add_u32_e32 v42, s2, v40
	v_add_u32_e32 v66, s2, v64
	s_addc_u32 s60, s47, 0
	v_add_u32_e32 v44, s2, v42
	v_add_u32_e32 v68, s2, v66
	;; [unrolled: 6-line block ×3, first 2 shown]
	s_add_u32 s63, s46, 0x200
	v_add_u32_e32 v50, s2, v48
	v_add_u32_e32 v74, s2, v72
	s_addc_u32 s2, s47, 0
	s_add_u32 s3, s4, 0x280
	s_addc_u32 s64, s5, 0
	s_add_u32 s65, s46, 0x280
	;; [unrolled: 2-line block ×5, first 2 shown]
	v_mov_b32_e32 v37, 0
	s_addc_u32 s70, s5, 0
	v_mov_b32_e32 v39, v37
	v_mov_b32_e32 v41, v37
	;; [unrolled: 1-line block ×15, first 2 shown]
	s_add_u32 s71, s46, 0x380
	v_mov_b32_e32 v1, v26
	v_mov_b32_e32 v3, v28
	;; [unrolled: 1-line block ×8, first 2 shown]
	v_lshlrev_b32_e32 v59, 2, v18
	v_lshlrev_b64 v[18:19], 2, v[60:61]
	v_lshlrev_b64 v[20:21], 2, v[62:63]
	;; [unrolled: 1-line block ×16, first 2 shown]
	s_movk_i32 s39, 0x80
	s_addc_u32 s72, s47, 0
	s_movk_i32 s73, 0x100
	s_movk_i32 s74, 0x180
	s_movk_i32 s75, 0x200
	s_movk_i32 s76, 0x280
	s_movk_i32 s77, 0x300
	s_movk_i32 s6, 0x380
	s_mov_b64 s[40:41], s[48:49]
	s_branch .LBB25_21
.LBB25_20:                              ;   in Loop: Header=BB25_21 Depth=1
	s_or_b64 exec, exec, s[50:51]
	s_add_u32 s40, s40, 1
	s_addc_u32 s41, s41, 0
	v_pk_mov_b32 v[50:51], s[42:43], s[42:43] op_sel:[0,1]
	v_cmp_ge_i64_e32 vcc, s[40:41], v[50:51]
	s_cbranch_vccnz .LBB25_149
.LBB25_21:                              ; =>This Inner Loop Header: Depth=1
	s_lshl_b64 s[50:51], s[40:41], 2
	s_add_u32 s50, s34, s50
	s_addc_u32 s51, s35, s51
	s_load_dword s7, s[50:51], 0x0
	v_readlane_b32 s78, v78, 0
	s_mul_i32 s50, s41, s37
	s_mul_hi_u32 s51, s40, s37
	v_readlane_b32 vcc_lo, v78, 1
	s_waitcnt lgkmcnt(0)
	s_sub_i32 s7, s7, s78
	s_sub_u32 s78, s40, s48
	s_mul_i32 s81, s7, s36
	s_subb_u32 s80, s41, s49
	s_add_i32 s51, s51, s50
	s_mul_i32 s50, s40, s37
	s_add_i32 s81, s81, s38
	s_lshl_b64 s[50:51], s[50:51], 2
	v_readlane_b32 vcc_hi, v78, 2
	s_add_u32 s7, vcc_lo, s50
	s_addc_u32 s79, vcc_hi, s51
	v_add_co_u32_e32 v60, vcc, s78, v2
	v_pk_mov_b32 v[50:51], s[44:45], s[44:45] op_sel:[0,1]
	v_mov_b32_e32 v17, s80
	v_mad_u64_u32 v[50:51], s[50:51], v60, s36, v[50:51]
	v_addc_co_u32_e32 v17, vcc, v1, v17, vcc
	v_mov_b32_e32 v60, v51
	v_mad_u64_u32 v[60:61], s[50:51], v17, s36, v[60:61]
	v_mov_b32_e32 v17, v60
	v_mov_b32_e32 v51, s79
	v_add_co_u32_e32 v60, vcc, s7, v59
	v_addc_co_u32_e32 v61, vcc, 0, v51, vcc
	v_mov_b32_e32 v62, s79
	v_add_co_u32_e32 v51, vcc, s7, v18
	v_add_u32_e32 v63, s81, v0
	v_addc_co_u32_e32 v71, vcc, v62, v19, vcc
	v_lshlrev_b32_e32 v62, 2, v0
	s_mov_b64 s[50:51], exec
	v_readlane_b32 vcc_lo, v78, 3
	v_readlane_b32 vcc_hi, v78, 4
	s_and_b64 vcc, s[50:51], vcc
	s_mov_b64 exec, vcc
	s_cbranch_execz .LBB25_23
; %bb.22:                               ;   in Loop: Header=BB25_21 Depth=1
	v_add_co_u32_e32 v64, vcc, v51, v62
	v_addc_co_u32_e32 v65, vcc, 0, v71, vcc
	v_add_co_u32_e32 v66, vcc, v60, v34
	v_addc_co_u32_e32 v67, vcc, v61, v35, vcc
	v_cndmask_b32_e64 v65, v67, v65, s[0:1]
	v_cndmask_b32_e64 v64, v66, v64, s[0:1]
	global_load_dword v68, v[64:65], off
	v_add_co_u32_e32 v64, vcc, v50, v0
	v_addc_co_u32_e32 v65, vcc, 0, v17, vcc
	v_lshlrev_b64 v[64:65], 2, v[64:65]
	v_mov_b32_e32 v67, s5
	v_add_co_u32_e32 v66, vcc, s4, v64
	v_addc_co_u32_e32 v67, vcc, v67, v65, vcc
	global_store_dword v[66:67], v63, off
	v_mov_b32_e32 v66, s47
	v_add_co_u32_e32 v64, vcc, s46, v64
	v_addc_co_u32_e32 v65, vcc, v66, v65, vcc
	s_waitcnt vmcnt(1)
	global_store_dword v[64:65], v68, off
.LBB25_23:                              ;   in Loop: Header=BB25_21 Depth=1
	s_or_b64 exec, exec, s[50:51]
	v_add_u32_e32 v69, s81, v52
	s_mov_b64 s[50:51], exec
	v_readlane_b32 vcc_lo, v78, 5
	v_readlane_b32 vcc_hi, v78, 6
	s_and_b64 vcc, s[50:51], vcc
	s_mov_b64 exec, vcc
	s_cbranch_execz .LBB25_25
; %bb.24:                               ;   in Loop: Header=BB25_21 Depth=1
	v_add_co_u32_e32 v64, vcc, v51, v62
	v_addc_co_u32_e32 v65, vcc, 0, v71, vcc
	v_add_co_u32_e32 v64, vcc, s39, v64
	v_addc_co_u32_e32 v65, vcc, 0, v65, vcc
	v_add_co_u32_e32 v66, vcc, v60, v36
	v_addc_co_u32_e32 v67, vcc, v61, v37, vcc
	v_cndmask_b32_e64 v65, v67, v65, s[0:1]
	v_cndmask_b32_e64 v64, v66, v64, s[0:1]
	global_load_dword v68, v[64:65], off
	v_add_co_u32_e32 v64, vcc, v50, v0
	v_addc_co_u32_e32 v65, vcc, 0, v17, vcc
	v_lshlrev_b64 v[64:65], 2, v[64:65]
	v_mov_b32_e32 v67, s52
	v_add_co_u32_e32 v66, vcc, s33, v64
	v_addc_co_u32_e32 v67, vcc, v67, v65, vcc
	global_store_dword v[66:67], v69, off
	v_mov_b32_e32 v66, s54
	v_add_co_u32_e32 v64, vcc, s53, v64
	v_addc_co_u32_e32 v65, vcc, v66, v65, vcc
	s_waitcnt vmcnt(1)
	global_store_dword v[64:65], v68, off
.LBB25_25:                              ;   in Loop: Header=BB25_21 Depth=1
	s_or_b64 exec, exec, s[50:51]
	v_add_u32_e32 v68, s81, v53
	s_mov_b64 s[50:51], exec
	v_readlane_b32 vcc_lo, v78, 7
	v_readlane_b32 vcc_hi, v78, 8
	s_and_b64 vcc, s[50:51], vcc
	s_mov_b64 exec, vcc
	s_cbranch_execz .LBB25_27
; %bb.26:                               ;   in Loop: Header=BB25_21 Depth=1
	v_add_co_u32_e32 v64, vcc, v51, v62
	v_addc_co_u32_e32 v65, vcc, 0, v71, vcc
	v_add_co_u32_e32 v64, vcc, s73, v64
	v_addc_co_u32_e32 v65, vcc, 0, v65, vcc
	v_add_co_u32_e32 v66, vcc, v60, v38
	v_addc_co_u32_e32 v67, vcc, v61, v39, vcc
	v_cndmask_b32_e64 v65, v67, v65, s[0:1]
	v_cndmask_b32_e64 v64, v66, v64, s[0:1]
	global_load_dword v70, v[64:65], off
	v_add_co_u32_e32 v64, vcc, v50, v0
	v_addc_co_u32_e32 v65, vcc, 0, v17, vcc
	v_lshlrev_b64 v[64:65], 2, v[64:65]
	v_mov_b32_e32 v67, s56
	v_add_co_u32_e32 v66, vcc, s55, v64
	v_addc_co_u32_e32 v67, vcc, v67, v65, vcc
	global_store_dword v[66:67], v68, off
	v_mov_b32_e32 v66, s10
	v_add_co_u32_e32 v64, vcc, s57, v64
	v_addc_co_u32_e32 v65, vcc, v66, v65, vcc
	s_waitcnt vmcnt(1)
	global_store_dword v[64:65], v70, off
.LBB25_27:                              ;   in Loop: Header=BB25_21 Depth=1
	s_or_b64 exec, exec, s[50:51]
	v_add_u32_e32 v67, s81, v54
	s_mov_b64 s[50:51], exec
	v_readlane_b32 vcc_lo, v78, 9
	v_readlane_b32 vcc_hi, v78, 10
	s_and_b64 vcc, s[50:51], vcc
	s_mov_b64 exec, vcc
	s_cbranch_execz .LBB25_29
; %bb.28:                               ;   in Loop: Header=BB25_21 Depth=1
	v_add_co_u32_e32 v64, vcc, v51, v62
	v_addc_co_u32_e32 v65, vcc, 0, v71, vcc
	v_add_co_u32_e32 v64, vcc, s74, v64
	v_addc_co_u32_e32 v65, vcc, 0, v65, vcc
	v_add_co_u32_e32 v66, vcc, v60, v40
	v_addc_co_u32_e32 v70, vcc, v61, v41, vcc
	v_cndmask_b32_e64 v65, v70, v65, s[0:1]
	v_cndmask_b32_e64 v64, v66, v64, s[0:1]
	global_load_dword v66, v[64:65], off
	v_add_co_u32_e32 v64, vcc, v50, v0
	v_addc_co_u32_e32 v65, vcc, 0, v17, vcc
	v_lshlrev_b64 v[64:65], 2, v[64:65]
	v_mov_b32_e32 v70, s58
	v_add_co_u32_e32 v72, vcc, s11, v64
	v_addc_co_u32_e32 v73, vcc, v70, v65, vcc
	v_mov_b32_e32 v70, s60
	v_add_co_u32_e32 v64, vcc, s59, v64
	v_addc_co_u32_e32 v65, vcc, v70, v65, vcc
	global_store_dword v[72:73], v67, off
	s_waitcnt vmcnt(1)
	global_store_dword v[64:65], v66, off
.LBB25_29:                              ;   in Loop: Header=BB25_21 Depth=1
	s_or_b64 exec, exec, s[50:51]
	v_add_u32_e32 v66, s81, v55
	s_mov_b64 s[50:51], exec
	v_readlane_b32 vcc_lo, v78, 11
	v_readlane_b32 vcc_hi, v78, 12
	s_and_b64 vcc, s[50:51], vcc
	s_mov_b64 exec, vcc
	s_cbranch_execz .LBB25_31
; %bb.30:                               ;   in Loop: Header=BB25_21 Depth=1
	v_add_co_u32_e32 v64, vcc, v51, v62
	v_addc_co_u32_e32 v65, vcc, 0, v71, vcc
	v_add_co_u32_e32 v64, vcc, s75, v64
	v_addc_co_u32_e32 v65, vcc, 0, v65, vcc
	v_add_co_u32_e32 v70, vcc, v60, v42
	v_addc_co_u32_e32 v72, vcc, v61, v43, vcc
	v_cndmask_b32_e64 v65, v72, v65, s[0:1]
	v_cndmask_b32_e64 v64, v70, v64, s[0:1]
	global_load_dword v70, v[64:65], off
	v_add_co_u32_e32 v64, vcc, v50, v0
	v_addc_co_u32_e32 v65, vcc, 0, v17, vcc
	v_lshlrev_b64 v[64:65], 2, v[64:65]
	v_mov_b32_e32 v73, s62
	v_add_co_u32_e32 v72, vcc, s61, v64
	v_addc_co_u32_e32 v73, vcc, v73, v65, vcc
	global_store_dword v[72:73], v66, off
	v_mov_b32_e32 v72, s2
	v_add_co_u32_e32 v64, vcc, s63, v64
	v_addc_co_u32_e32 v65, vcc, v72, v65, vcc
	s_waitcnt vmcnt(1)
	global_store_dword v[64:65], v70, off
.LBB25_31:                              ;   in Loop: Header=BB25_21 Depth=1
	s_or_b64 exec, exec, s[50:51]
	v_add_u32_e32 v65, s81, v56
	s_mov_b64 s[50:51], exec
	v_readlane_b32 vcc_lo, v78, 13
	v_readlane_b32 vcc_hi, v78, 14
	s_and_b64 vcc, s[50:51], vcc
	s_mov_b64 exec, vcc
	s_cbranch_execz .LBB25_33
; %bb.32:                               ;   in Loop: Header=BB25_21 Depth=1
	v_add_co_u32_e32 v64, vcc, v51, v62
	v_addc_co_u32_e32 v70, vcc, 0, v71, vcc
	v_add_co_u32_e32 v64, vcc, s76, v64
	v_addc_co_u32_e32 v70, vcc, 0, v70, vcc
	v_add_co_u32_e32 v72, vcc, v60, v44
	v_addc_co_u32_e32 v73, vcc, v61, v45, vcc
	v_cndmask_b32_e64 v73, v73, v70, s[0:1]
	v_cndmask_b32_e64 v72, v72, v64, s[0:1]
	global_load_dword v64, v[72:73], off
	v_add_co_u32_e32 v72, vcc, v50, v0
	v_addc_co_u32_e32 v73, vcc, 0, v17, vcc
	v_lshlrev_b64 v[72:73], 2, v[72:73]
	v_mov_b32_e32 v70, s64
	v_add_co_u32_e32 v74, vcc, s3, v72
	v_addc_co_u32_e32 v75, vcc, v70, v73, vcc
	v_mov_b32_e32 v70, s66
	v_add_co_u32_e32 v72, vcc, s65, v72
	v_addc_co_u32_e32 v73, vcc, v70, v73, vcc
	global_store_dword v[74:75], v65, off
	s_waitcnt vmcnt(1)
	global_store_dword v[72:73], v64, off
.LBB25_33:                              ;   in Loop: Header=BB25_21 Depth=1
	;; [unrolled: 62-line block ×3, first 2 shown]
	s_or_b64 exec, exec, s[50:51]
	v_add_co_u32_e32 v71, vcc, s78, v4
	v_pk_mov_b32 v[50:51], s[44:45], s[44:45] op_sel:[0,1]
	v_mov_b32_e32 v17, s80
	v_mad_u64_u32 v[50:51], s[50:51], v71, s36, v[50:51]
	v_addc_co_u32_e32 v17, vcc, v3, v17, vcc
	v_mov_b32_e32 v72, v51
	v_mad_u64_u32 v[72:73], s[50:51], v17, s36, v[72:73]
	v_mov_b32_e32 v71, s79
	v_add_co_u32_e32 v51, vcc, s7, v20
	v_mov_b32_e32 v17, v72
	v_addc_co_u32_e32 v71, vcc, v71, v21, vcc
	s_mov_b64 s[50:51], exec
	v_readlane_b32 vcc_lo, v78, 19
	v_readlane_b32 vcc_hi, v78, 20
	s_and_b64 vcc, s[50:51], vcc
	s_mov_b64 exec, vcc
	s_cbranch_execz .LBB25_39
; %bb.38:                               ;   in Loop: Header=BB25_21 Depth=1
	v_add_co_u32_e32 v72, vcc, v51, v62
	v_addc_co_u32_e32 v73, vcc, 0, v71, vcc
	v_add_co_u32_e32 v74, vcc, v60, v34
	v_addc_co_u32_e32 v75, vcc, v61, v35, vcc
	;; [unrolled: 2-line block ×3, first 2 shown]
	v_cndmask_b32_e64 v73, v75, v73, s[0:1]
	v_cndmask_b32_e64 v72, v74, v72, s[0:1]
	global_load_dword v76, v[72:73], off
	v_add_co_u32_e32 v72, vcc, v50, v0
	v_addc_co_u32_e32 v73, vcc, 0, v17, vcc
	v_lshlrev_b64 v[72:73], 2, v[72:73]
	v_mov_b32_e32 v75, s5
	v_add_co_u32_e32 v74, vcc, s4, v72
	v_addc_co_u32_e32 v75, vcc, v75, v73, vcc
	global_store_dword v[74:75], v63, off
	v_mov_b32_e32 v74, s47
	v_add_co_u32_e32 v72, vcc, s46, v72
	v_addc_co_u32_e32 v73, vcc, v74, v73, vcc
	s_waitcnt vmcnt(1)
	global_store_dword v[72:73], v76, off
.LBB25_39:                              ;   in Loop: Header=BB25_21 Depth=1
	s_or_b64 exec, exec, s[50:51]
	s_mov_b64 s[50:51], exec
	v_readlane_b32 vcc_lo, v78, 21
	v_readlane_b32 vcc_hi, v78, 22
	s_and_b64 vcc, s[50:51], vcc
	s_mov_b64 exec, vcc
	s_cbranch_execz .LBB25_41
; %bb.40:                               ;   in Loop: Header=BB25_21 Depth=1
	v_add_co_u32_e32 v72, vcc, v51, v62
	v_addc_co_u32_e32 v73, vcc, 0, v71, vcc
	v_add_co_u32_e32 v74, vcc, v60, v36
	v_addc_co_u32_e32 v75, vcc, v61, v37, vcc
	v_cndmask_b32_e64 v73, v75, v73, s[0:1]
	v_cndmask_b32_e64 v72, v74, v72, s[0:1]
	global_load_dword v76, v[72:73], off offset:128
	v_add_co_u32_e32 v72, vcc, v50, v0
	v_addc_co_u32_e32 v73, vcc, 0, v17, vcc
	v_lshlrev_b64 v[72:73], 2, v[72:73]
	v_mov_b32_e32 v75, s52
	v_add_co_u32_e32 v74, vcc, s33, v72
	v_addc_co_u32_e32 v75, vcc, v75, v73, vcc
	global_store_dword v[74:75], v69, off
	v_mov_b32_e32 v74, s54
	v_add_co_u32_e32 v72, vcc, s53, v72
	v_addc_co_u32_e32 v73, vcc, v74, v73, vcc
	s_waitcnt vmcnt(1)
	global_store_dword v[72:73], v76, off
.LBB25_41:                              ;   in Loop: Header=BB25_21 Depth=1
	s_or_b64 exec, exec, s[50:51]
	s_mov_b64 s[50:51], exec
	v_readlane_b32 vcc_lo, v78, 23
	v_readlane_b32 vcc_hi, v78, 24
	s_and_b64 vcc, s[50:51], vcc
	s_mov_b64 exec, vcc
	s_cbranch_execz .LBB25_43
; %bb.42:                               ;   in Loop: Header=BB25_21 Depth=1
	v_add_co_u32_e32 v72, vcc, v51, v62
	v_addc_co_u32_e32 v73, vcc, 0, v71, vcc
	v_add_co_u32_e32 v72, vcc, s73, v72
	v_addc_co_u32_e32 v73, vcc, 0, v73, vcc
	v_add_co_u32_e32 v74, vcc, v60, v38
	v_addc_co_u32_e32 v75, vcc, v61, v39, vcc
	v_add_co_u32_e32 v74, vcc, 0x80, v74
	v_addc_co_u32_e32 v75, vcc, 0, v75, vcc
	v_cndmask_b32_e64 v73, v75, v73, s[0:1]
	v_cndmask_b32_e64 v72, v74, v72, s[0:1]
	global_load_dword v76, v[72:73], off
	v_add_co_u32_e32 v72, vcc, v50, v0
	v_addc_co_u32_e32 v73, vcc, 0, v17, vcc
	v_lshlrev_b64 v[72:73], 2, v[72:73]
	v_mov_b32_e32 v75, s56
	v_add_co_u32_e32 v74, vcc, s55, v72
	v_addc_co_u32_e32 v75, vcc, v75, v73, vcc
	global_store_dword v[74:75], v68, off
	v_mov_b32_e32 v74, s10
	v_add_co_u32_e32 v72, vcc, s57, v72
	v_addc_co_u32_e32 v73, vcc, v74, v73, vcc
	s_waitcnt vmcnt(1)
	global_store_dword v[72:73], v76, off
.LBB25_43:                              ;   in Loop: Header=BB25_21 Depth=1
	s_or_b64 exec, exec, s[50:51]
	s_mov_b64 s[50:51], exec
	v_readlane_b32 vcc_lo, v78, 25
	v_readlane_b32 vcc_hi, v78, 26
	s_and_b64 vcc, s[50:51], vcc
	s_mov_b64 exec, vcc
	s_cbranch_execz .LBB25_45
; %bb.44:                               ;   in Loop: Header=BB25_21 Depth=1
	v_add_co_u32_e32 v72, vcc, v51, v62
	v_addc_co_u32_e32 v73, vcc, 0, v71, vcc
	v_add_co_u32_e32 v72, vcc, s74, v72
	v_addc_co_u32_e32 v73, vcc, 0, v73, vcc
	v_add_co_u32_e32 v74, vcc, v60, v40
	v_addc_co_u32_e32 v75, vcc, v61, v41, vcc
	v_add_co_u32_e32 v74, vcc, 0x80, v74
	v_addc_co_u32_e32 v75, vcc, 0, v75, vcc
	v_cndmask_b32_e64 v73, v75, v73, s[0:1]
	v_cndmask_b32_e64 v72, v74, v72, s[0:1]
	global_load_dword v76, v[72:73], off
	v_add_co_u32_e32 v72, vcc, v50, v0
	v_addc_co_u32_e32 v73, vcc, 0, v17, vcc
	v_lshlrev_b64 v[72:73], 2, v[72:73]
	v_mov_b32_e32 v75, s58
	v_add_co_u32_e32 v74, vcc, s11, v72
	v_addc_co_u32_e32 v75, vcc, v75, v73, vcc
	global_store_dword v[74:75], v67, off
	v_mov_b32_e32 v74, s60
	v_add_co_u32_e32 v72, vcc, s59, v72
	v_addc_co_u32_e32 v73, vcc, v74, v73, vcc
	s_waitcnt vmcnt(1)
	global_store_dword v[72:73], v76, off
.LBB25_45:                              ;   in Loop: Header=BB25_21 Depth=1
	;; [unrolled: 32-line block ×5, first 2 shown]
	s_or_b64 exec, exec, s[50:51]
	s_mov_b64 s[50:51], exec
	v_readlane_b32 vcc_lo, v78, 33
	v_readlane_b32 vcc_hi, v78, 34
	s_and_b64 vcc, s[50:51], vcc
	s_mov_b64 exec, vcc
	s_cbranch_execz .LBB25_53
; %bb.52:                               ;   in Loop: Header=BB25_21 Depth=1
	v_add_co_u32_e32 v51, vcc, v51, v62
	v_addc_co_u32_e32 v71, vcc, 0, v71, vcc
	v_add_co_u32_e32 v51, vcc, s6, v51
	v_addc_co_u32_e32 v71, vcc, 0, v71, vcc
	;; [unrolled: 2-line block ×4, first 2 shown]
	v_cndmask_b32_e64 v73, v73, v71, s[0:1]
	v_cndmask_b32_e64 v72, v72, v51, s[0:1]
	global_load_dword v71, v[72:73], off
	v_add_co_u32_e32 v50, vcc, v50, v0
	v_addc_co_u32_e32 v51, vcc, 0, v17, vcc
	v_lshlrev_b64 v[50:51], 2, v[50:51]
	v_mov_b32_e32 v17, s70
	v_add_co_u32_e32 v72, vcc, s13, v50
	v_addc_co_u32_e32 v73, vcc, v17, v51, vcc
	v_mov_b32_e32 v17, s72
	v_add_co_u32_e32 v50, vcc, s71, v50
	v_addc_co_u32_e32 v51, vcc, v17, v51, vcc
	global_store_dword v[72:73], v70, off
	s_waitcnt vmcnt(1)
	global_store_dword v[50:51], v71, off
.LBB25_53:                              ;   in Loop: Header=BB25_21 Depth=1
	s_or_b64 exec, exec, s[50:51]
	v_add_co_u32_e32 v71, vcc, s78, v6
	v_pk_mov_b32 v[50:51], s[44:45], s[44:45] op_sel:[0,1]
	v_mov_b32_e32 v17, s80
	v_mad_u64_u32 v[50:51], s[50:51], v71, s36, v[50:51]
	v_addc_co_u32_e32 v17, vcc, v5, v17, vcc
	v_mov_b32_e32 v72, v51
	v_mad_u64_u32 v[72:73], s[50:51], v17, s36, v[72:73]
	v_mov_b32_e32 v71, s79
	v_add_co_u32_e32 v51, vcc, s7, v22
	v_mov_b32_e32 v17, v72
	v_addc_co_u32_e32 v71, vcc, v71, v23, vcc
	s_mov_b64 s[50:51], exec
	v_readlane_b32 vcc_lo, v78, 35
	v_readlane_b32 vcc_hi, v78, 36
	s_and_b64 vcc, s[50:51], vcc
	s_mov_b64 exec, vcc
	s_cbranch_execz .LBB25_55
; %bb.54:                               ;   in Loop: Header=BB25_21 Depth=1
	v_add_co_u32_e32 v72, vcc, v51, v62
	v_addc_co_u32_e32 v73, vcc, 0, v71, vcc
	v_add_co_u32_e32 v74, vcc, v60, v34
	v_addc_co_u32_e32 v75, vcc, v61, v35, vcc
	;; [unrolled: 2-line block ×3, first 2 shown]
	v_cndmask_b32_e64 v73, v75, v73, s[0:1]
	v_cndmask_b32_e64 v72, v74, v72, s[0:1]
	global_load_dword v76, v[72:73], off
	v_add_co_u32_e32 v72, vcc, v50, v0
	v_addc_co_u32_e32 v73, vcc, 0, v17, vcc
	v_lshlrev_b64 v[72:73], 2, v[72:73]
	v_mov_b32_e32 v75, s5
	v_add_co_u32_e32 v74, vcc, s4, v72
	v_addc_co_u32_e32 v75, vcc, v75, v73, vcc
	global_store_dword v[74:75], v63, off
	v_mov_b32_e32 v74, s47
	v_add_co_u32_e32 v72, vcc, s46, v72
	v_addc_co_u32_e32 v73, vcc, v74, v73, vcc
	s_waitcnt vmcnt(1)
	global_store_dword v[72:73], v76, off
.LBB25_55:                              ;   in Loop: Header=BB25_21 Depth=1
	s_or_b64 exec, exec, s[50:51]
	s_mov_b64 s[50:51], exec
	v_readlane_b32 vcc_lo, v78, 37
	v_readlane_b32 vcc_hi, v78, 38
	s_and_b64 vcc, s[50:51], vcc
	s_mov_b64 exec, vcc
	s_cbranch_execz .LBB25_57
; %bb.56:                               ;   in Loop: Header=BB25_21 Depth=1
	v_add_co_u32_e32 v72, vcc, v51, v62
	v_addc_co_u32_e32 v73, vcc, 0, v71, vcc
	v_add_co_u32_e32 v72, vcc, s39, v72
	v_addc_co_u32_e32 v73, vcc, 0, v73, vcc
	;; [unrolled: 2-line block ×4, first 2 shown]
	v_cndmask_b32_e64 v73, v75, v73, s[0:1]
	v_cndmask_b32_e64 v72, v74, v72, s[0:1]
	global_load_dword v76, v[72:73], off
	v_add_co_u32_e32 v72, vcc, v50, v0
	v_addc_co_u32_e32 v73, vcc, 0, v17, vcc
	v_lshlrev_b64 v[72:73], 2, v[72:73]
	v_mov_b32_e32 v75, s52
	v_add_co_u32_e32 v74, vcc, s33, v72
	v_addc_co_u32_e32 v75, vcc, v75, v73, vcc
	global_store_dword v[74:75], v69, off
	v_mov_b32_e32 v74, s54
	v_add_co_u32_e32 v72, vcc, s53, v72
	v_addc_co_u32_e32 v73, vcc, v74, v73, vcc
	s_waitcnt vmcnt(1)
	global_store_dword v[72:73], v76, off
.LBB25_57:                              ;   in Loop: Header=BB25_21 Depth=1
	s_or_b64 exec, exec, s[50:51]
	s_mov_b64 s[50:51], exec
	v_readlane_b32 vcc_lo, v78, 39
	v_readlane_b32 vcc_hi, v78, 40
	s_and_b64 vcc, s[50:51], vcc
	s_mov_b64 exec, vcc
	s_cbranch_execz .LBB25_59
; %bb.58:                               ;   in Loop: Header=BB25_21 Depth=1
	v_add_co_u32_e32 v72, vcc, v51, v62
	v_addc_co_u32_e32 v73, vcc, 0, v71, vcc
	v_add_co_u32_e32 v74, vcc, v60, v38
	v_addc_co_u32_e32 v75, vcc, v61, v39, vcc
	v_cndmask_b32_e64 v73, v75, v73, s[0:1]
	v_cndmask_b32_e64 v72, v74, v72, s[0:1]
	global_load_dword v76, v[72:73], off offset:256
	v_add_co_u32_e32 v72, vcc, v50, v0
	v_addc_co_u32_e32 v73, vcc, 0, v17, vcc
	v_lshlrev_b64 v[72:73], 2, v[72:73]
	v_mov_b32_e32 v75, s56
	v_add_co_u32_e32 v74, vcc, s55, v72
	v_addc_co_u32_e32 v75, vcc, v75, v73, vcc
	global_store_dword v[74:75], v68, off
	v_mov_b32_e32 v74, s10
	v_add_co_u32_e32 v72, vcc, s57, v72
	v_addc_co_u32_e32 v73, vcc, v74, v73, vcc
	s_waitcnt vmcnt(1)
	global_store_dword v[72:73], v76, off
.LBB25_59:                              ;   in Loop: Header=BB25_21 Depth=1
	s_or_b64 exec, exec, s[50:51]
	s_mov_b64 s[50:51], exec
	v_readlane_b32 vcc_lo, v78, 41
	v_readlane_b32 vcc_hi, v78, 42
	s_and_b64 vcc, s[50:51], vcc
	s_mov_b64 exec, vcc
	s_cbranch_execz .LBB25_61
; %bb.60:                               ;   in Loop: Header=BB25_21 Depth=1
	v_add_co_u32_e32 v72, vcc, v51, v62
	v_addc_co_u32_e32 v73, vcc, 0, v71, vcc
	v_add_co_u32_e32 v72, vcc, s74, v72
	v_addc_co_u32_e32 v73, vcc, 0, v73, vcc
	v_add_co_u32_e32 v74, vcc, v60, v40
	v_addc_co_u32_e32 v75, vcc, v61, v41, vcc
	v_add_co_u32_e32 v74, vcc, 0x100, v74
	v_addc_co_u32_e32 v75, vcc, 0, v75, vcc
	v_cndmask_b32_e64 v73, v75, v73, s[0:1]
	v_cndmask_b32_e64 v72, v74, v72, s[0:1]
	global_load_dword v76, v[72:73], off
	v_add_co_u32_e32 v72, vcc, v50, v0
	v_addc_co_u32_e32 v73, vcc, 0, v17, vcc
	v_lshlrev_b64 v[72:73], 2, v[72:73]
	v_mov_b32_e32 v75, s58
	v_add_co_u32_e32 v74, vcc, s11, v72
	v_addc_co_u32_e32 v75, vcc, v75, v73, vcc
	global_store_dword v[74:75], v67, off
	v_mov_b32_e32 v74, s60
	v_add_co_u32_e32 v72, vcc, s59, v72
	v_addc_co_u32_e32 v73, vcc, v74, v73, vcc
	s_waitcnt vmcnt(1)
	global_store_dword v[72:73], v76, off
.LBB25_61:                              ;   in Loop: Header=BB25_21 Depth=1
	s_or_b64 exec, exec, s[50:51]
	s_mov_b64 s[50:51], exec
	v_readlane_b32 vcc_lo, v78, 43
	v_readlane_b32 vcc_hi, v78, 44
	s_and_b64 vcc, s[50:51], vcc
	s_mov_b64 exec, vcc
	s_cbranch_execz .LBB25_63
; %bb.62:                               ;   in Loop: Header=BB25_21 Depth=1
	v_add_co_u32_e32 v72, vcc, v51, v62
	v_addc_co_u32_e32 v73, vcc, 0, v71, vcc
	v_add_co_u32_e32 v72, vcc, s75, v72
	v_addc_co_u32_e32 v73, vcc, 0, v73, vcc
	v_add_co_u32_e32 v74, vcc, v60, v42
	v_addc_co_u32_e32 v75, vcc, v61, v43, vcc
	v_add_co_u32_e32 v74, vcc, 0x100, v74
	v_addc_co_u32_e32 v75, vcc, 0, v75, vcc
	v_cndmask_b32_e64 v73, v75, v73, s[0:1]
	v_cndmask_b32_e64 v72, v74, v72, s[0:1]
	global_load_dword v76, v[72:73], off
	v_add_co_u32_e32 v72, vcc, v50, v0
	v_addc_co_u32_e32 v73, vcc, 0, v17, vcc
	v_lshlrev_b64 v[72:73], 2, v[72:73]
	v_mov_b32_e32 v75, s62
	v_add_co_u32_e32 v74, vcc, s61, v72
	v_addc_co_u32_e32 v75, vcc, v75, v73, vcc
	global_store_dword v[74:75], v66, off
	v_mov_b32_e32 v74, s2
	v_add_co_u32_e32 v72, vcc, s63, v72
	v_addc_co_u32_e32 v73, vcc, v74, v73, vcc
	s_waitcnt vmcnt(1)
	global_store_dword v[72:73], v76, off
.LBB25_63:                              ;   in Loop: Header=BB25_21 Depth=1
	;; [unrolled: 32-line block ×4, first 2 shown]
	s_or_b64 exec, exec, s[50:51]
	s_mov_b64 s[50:51], exec
	v_readlane_b32 vcc_lo, v78, 49
	v_readlane_b32 vcc_hi, v78, 50
	s_and_b64 vcc, s[50:51], vcc
	s_mov_b64 exec, vcc
	s_cbranch_execz .LBB25_69
; %bb.68:                               ;   in Loop: Header=BB25_21 Depth=1
	v_add_co_u32_e32 v51, vcc, v51, v62
	v_addc_co_u32_e32 v71, vcc, 0, v71, vcc
	v_add_co_u32_e32 v51, vcc, s6, v51
	v_addc_co_u32_e32 v71, vcc, 0, v71, vcc
	;; [unrolled: 2-line block ×4, first 2 shown]
	v_cndmask_b32_e64 v73, v73, v71, s[0:1]
	v_cndmask_b32_e64 v72, v72, v51, s[0:1]
	global_load_dword v71, v[72:73], off
	v_add_co_u32_e32 v50, vcc, v50, v0
	v_addc_co_u32_e32 v51, vcc, 0, v17, vcc
	v_lshlrev_b64 v[50:51], 2, v[50:51]
	v_mov_b32_e32 v17, s70
	v_add_co_u32_e32 v72, vcc, s13, v50
	v_addc_co_u32_e32 v73, vcc, v17, v51, vcc
	v_mov_b32_e32 v17, s72
	v_add_co_u32_e32 v50, vcc, s71, v50
	v_addc_co_u32_e32 v51, vcc, v17, v51, vcc
	global_store_dword v[72:73], v70, off
	s_waitcnt vmcnt(1)
	global_store_dword v[50:51], v71, off
.LBB25_69:                              ;   in Loop: Header=BB25_21 Depth=1
	s_or_b64 exec, exec, s[50:51]
	v_add_co_u32_e32 v71, vcc, s78, v8
	v_pk_mov_b32 v[50:51], s[44:45], s[44:45] op_sel:[0,1]
	v_mov_b32_e32 v17, s80
	v_mad_u64_u32 v[50:51], s[50:51], v71, s36, v[50:51]
	v_addc_co_u32_e32 v17, vcc, v7, v17, vcc
	v_mov_b32_e32 v72, v51
	v_mad_u64_u32 v[72:73], s[50:51], v17, s36, v[72:73]
	v_mov_b32_e32 v71, s79
	v_add_co_u32_e32 v51, vcc, s7, v24
	v_mov_b32_e32 v17, v72
	v_addc_co_u32_e32 v71, vcc, v71, v25, vcc
	s_mov_b64 s[50:51], exec
	v_readlane_b32 vcc_lo, v78, 51
	v_readlane_b32 vcc_hi, v78, 52
	s_and_b64 vcc, s[50:51], vcc
	s_mov_b64 exec, vcc
	s_cbranch_execz .LBB25_71
; %bb.70:                               ;   in Loop: Header=BB25_21 Depth=1
	v_add_co_u32_e32 v72, vcc, v51, v62
	v_addc_co_u32_e32 v73, vcc, 0, v71, vcc
	v_add_co_u32_e32 v74, vcc, v60, v34
	v_addc_co_u32_e32 v75, vcc, v61, v35, vcc
	;; [unrolled: 2-line block ×3, first 2 shown]
	v_cndmask_b32_e64 v73, v75, v73, s[0:1]
	v_cndmask_b32_e64 v72, v74, v72, s[0:1]
	global_load_dword v76, v[72:73], off
	v_add_co_u32_e32 v72, vcc, v50, v0
	v_addc_co_u32_e32 v73, vcc, 0, v17, vcc
	v_lshlrev_b64 v[72:73], 2, v[72:73]
	v_mov_b32_e32 v75, s5
	v_add_co_u32_e32 v74, vcc, s4, v72
	v_addc_co_u32_e32 v75, vcc, v75, v73, vcc
	global_store_dword v[74:75], v63, off
	v_mov_b32_e32 v74, s47
	v_add_co_u32_e32 v72, vcc, s46, v72
	v_addc_co_u32_e32 v73, vcc, v74, v73, vcc
	s_waitcnt vmcnt(1)
	global_store_dword v[72:73], v76, off
.LBB25_71:                              ;   in Loop: Header=BB25_21 Depth=1
	s_or_b64 exec, exec, s[50:51]
	s_mov_b64 s[50:51], exec
	v_readlane_b32 vcc_lo, v78, 53
	v_readlane_b32 vcc_hi, v78, 54
	s_and_b64 vcc, s[50:51], vcc
	s_mov_b64 exec, vcc
	s_cbranch_execz .LBB25_73
; %bb.72:                               ;   in Loop: Header=BB25_21 Depth=1
	v_add_co_u32_e32 v72, vcc, v51, v62
	v_addc_co_u32_e32 v73, vcc, 0, v71, vcc
	v_add_co_u32_e32 v72, vcc, s39, v72
	v_addc_co_u32_e32 v73, vcc, 0, v73, vcc
	;; [unrolled: 2-line block ×4, first 2 shown]
	v_cndmask_b32_e64 v73, v75, v73, s[0:1]
	v_cndmask_b32_e64 v72, v74, v72, s[0:1]
	global_load_dword v76, v[72:73], off
	v_add_co_u32_e32 v72, vcc, v50, v0
	v_addc_co_u32_e32 v73, vcc, 0, v17, vcc
	v_lshlrev_b64 v[72:73], 2, v[72:73]
	v_mov_b32_e32 v75, s52
	v_add_co_u32_e32 v74, vcc, s33, v72
	v_addc_co_u32_e32 v75, vcc, v75, v73, vcc
	global_store_dword v[74:75], v69, off
	v_mov_b32_e32 v74, s54
	v_add_co_u32_e32 v72, vcc, s53, v72
	v_addc_co_u32_e32 v73, vcc, v74, v73, vcc
	s_waitcnt vmcnt(1)
	global_store_dword v[72:73], v76, off
.LBB25_73:                              ;   in Loop: Header=BB25_21 Depth=1
	s_or_b64 exec, exec, s[50:51]
	s_mov_b64 s[50:51], exec
	v_readlane_b32 vcc_lo, v78, 55
	v_readlane_b32 vcc_hi, v78, 56
	s_and_b64 vcc, s[50:51], vcc
	s_mov_b64 exec, vcc
	s_cbranch_execz .LBB25_75
; %bb.74:                               ;   in Loop: Header=BB25_21 Depth=1
	v_add_co_u32_e32 v72, vcc, v51, v62
	v_addc_co_u32_e32 v73, vcc, 0, v71, vcc
	v_add_co_u32_e32 v72, vcc, s73, v72
	v_addc_co_u32_e32 v73, vcc, 0, v73, vcc
	v_add_co_u32_e32 v74, vcc, v60, v38
	v_addc_co_u32_e32 v75, vcc, v61, v39, vcc
	v_add_co_u32_e32 v74, vcc, 0x180, v74
	v_addc_co_u32_e32 v75, vcc, 0, v75, vcc
	v_cndmask_b32_e64 v73, v75, v73, s[0:1]
	v_cndmask_b32_e64 v72, v74, v72, s[0:1]
	global_load_dword v76, v[72:73], off
	v_add_co_u32_e32 v72, vcc, v50, v0
	v_addc_co_u32_e32 v73, vcc, 0, v17, vcc
	v_lshlrev_b64 v[72:73], 2, v[72:73]
	v_mov_b32_e32 v75, s56
	v_add_co_u32_e32 v74, vcc, s55, v72
	v_addc_co_u32_e32 v75, vcc, v75, v73, vcc
	global_store_dword v[74:75], v68, off
	v_mov_b32_e32 v74, s10
	v_add_co_u32_e32 v72, vcc, s57, v72
	v_addc_co_u32_e32 v73, vcc, v74, v73, vcc
	s_waitcnt vmcnt(1)
	global_store_dword v[72:73], v76, off
.LBB25_75:                              ;   in Loop: Header=BB25_21 Depth=1
	s_or_b64 exec, exec, s[50:51]
	s_mov_b64 s[50:51], exec
	v_readlane_b32 vcc_lo, v78, 57
	v_readlane_b32 vcc_hi, v78, 58
	s_and_b64 vcc, s[50:51], vcc
	s_mov_b64 exec, vcc
	s_cbranch_execz .LBB25_77
; %bb.76:                               ;   in Loop: Header=BB25_21 Depth=1
	v_add_co_u32_e32 v72, vcc, v51, v62
	v_addc_co_u32_e32 v73, vcc, 0, v71, vcc
	v_add_co_u32_e32 v74, vcc, v60, v40
	v_addc_co_u32_e32 v75, vcc, v61, v41, vcc
	v_cndmask_b32_e64 v73, v75, v73, s[0:1]
	v_cndmask_b32_e64 v72, v74, v72, s[0:1]
	global_load_dword v76, v[72:73], off offset:384
	v_add_co_u32_e32 v72, vcc, v50, v0
	v_addc_co_u32_e32 v73, vcc, 0, v17, vcc
	v_lshlrev_b64 v[72:73], 2, v[72:73]
	v_mov_b32_e32 v75, s58
	v_add_co_u32_e32 v74, vcc, s11, v72
	v_addc_co_u32_e32 v75, vcc, v75, v73, vcc
	global_store_dword v[74:75], v67, off
	v_mov_b32_e32 v74, s60
	v_add_co_u32_e32 v72, vcc, s59, v72
	v_addc_co_u32_e32 v73, vcc, v74, v73, vcc
	s_waitcnt vmcnt(1)
	global_store_dword v[72:73], v76, off
.LBB25_77:                              ;   in Loop: Header=BB25_21 Depth=1
	s_or_b64 exec, exec, s[50:51]
	s_mov_b64 s[50:51], exec
	v_readlane_b32 vcc_lo, v78, 59
	v_readlane_b32 vcc_hi, v78, 60
	s_and_b64 vcc, s[50:51], vcc
	s_mov_b64 exec, vcc
	s_cbranch_execz .LBB25_79
; %bb.78:                               ;   in Loop: Header=BB25_21 Depth=1
	v_add_co_u32_e32 v72, vcc, v51, v62
	v_addc_co_u32_e32 v73, vcc, 0, v71, vcc
	v_add_co_u32_e32 v72, vcc, s75, v72
	v_addc_co_u32_e32 v73, vcc, 0, v73, vcc
	v_add_co_u32_e32 v74, vcc, v60, v42
	v_addc_co_u32_e32 v75, vcc, v61, v43, vcc
	v_add_co_u32_e32 v74, vcc, 0x180, v74
	v_addc_co_u32_e32 v75, vcc, 0, v75, vcc
	v_cndmask_b32_e64 v73, v75, v73, s[0:1]
	v_cndmask_b32_e64 v72, v74, v72, s[0:1]
	global_load_dword v76, v[72:73], off
	v_add_co_u32_e32 v72, vcc, v50, v0
	v_addc_co_u32_e32 v73, vcc, 0, v17, vcc
	v_lshlrev_b64 v[72:73], 2, v[72:73]
	v_mov_b32_e32 v75, s62
	v_add_co_u32_e32 v74, vcc, s61, v72
	v_addc_co_u32_e32 v75, vcc, v75, v73, vcc
	global_store_dword v[74:75], v66, off
	v_mov_b32_e32 v74, s2
	v_add_co_u32_e32 v72, vcc, s63, v72
	v_addc_co_u32_e32 v73, vcc, v74, v73, vcc
	s_waitcnt vmcnt(1)
	global_store_dword v[72:73], v76, off
.LBB25_79:                              ;   in Loop: Header=BB25_21 Depth=1
	s_or_b64 exec, exec, s[50:51]
	s_mov_b64 s[50:51], exec
	v_readlane_b32 vcc_lo, v78, 61
	v_readlane_b32 vcc_hi, v78, 62
	s_and_b64 vcc, s[50:51], vcc
	s_mov_b64 exec, vcc
	s_cbranch_execz .LBB25_81
; %bb.80:                               ;   in Loop: Header=BB25_21 Depth=1
	v_add_co_u32_e32 v72, vcc, v51, v62
	v_addc_co_u32_e32 v73, vcc, 0, v71, vcc
	v_add_co_u32_e32 v72, vcc, s76, v72
	v_addc_co_u32_e32 v73, vcc, 0, v73, vcc
	v_add_co_u32_e32 v74, vcc, v60, v44
	v_addc_co_u32_e32 v75, vcc, v61, v45, vcc
	v_add_co_u32_e32 v74, vcc, 0x180, v74
	v_addc_co_u32_e32 v75, vcc, 0, v75, vcc
	v_cndmask_b32_e64 v73, v75, v73, s[0:1]
	v_cndmask_b32_e64 v72, v74, v72, s[0:1]
	global_load_dword v76, v[72:73], off
	v_add_co_u32_e32 v72, vcc, v50, v0
	v_addc_co_u32_e32 v73, vcc, 0, v17, vcc
	v_lshlrev_b64 v[72:73], 2, v[72:73]
	v_mov_b32_e32 v75, s64
	v_add_co_u32_e32 v74, vcc, s3, v72
	v_addc_co_u32_e32 v75, vcc, v75, v73, vcc
	global_store_dword v[74:75], v65, off
	v_mov_b32_e32 v74, s66
	v_add_co_u32_e32 v72, vcc, s65, v72
	v_addc_co_u32_e32 v73, vcc, v74, v73, vcc
	s_waitcnt vmcnt(1)
	global_store_dword v[72:73], v76, off
.LBB25_81:                              ;   in Loop: Header=BB25_21 Depth=1
	;; [unrolled: 32-line block ×3, first 2 shown]
	s_or_b64 exec, exec, s[50:51]
	s_mov_b64 s[50:51], exec
	v_readlane_b32 vcc_lo, v77, 1
	v_readlane_b32 vcc_hi, v77, 2
	s_and_b64 vcc, s[50:51], vcc
	s_mov_b64 exec, vcc
	s_cbranch_execz .LBB25_85
; %bb.84:                               ;   in Loop: Header=BB25_21 Depth=1
	v_add_co_u32_e32 v51, vcc, v51, v62
	v_addc_co_u32_e32 v71, vcc, 0, v71, vcc
	v_add_co_u32_e32 v51, vcc, s6, v51
	v_addc_co_u32_e32 v71, vcc, 0, v71, vcc
	;; [unrolled: 2-line block ×4, first 2 shown]
	v_cndmask_b32_e64 v73, v73, v71, s[0:1]
	v_cndmask_b32_e64 v72, v72, v51, s[0:1]
	global_load_dword v71, v[72:73], off
	v_add_co_u32_e32 v50, vcc, v50, v0
	v_addc_co_u32_e32 v51, vcc, 0, v17, vcc
	v_lshlrev_b64 v[50:51], 2, v[50:51]
	v_mov_b32_e32 v17, s70
	v_add_co_u32_e32 v72, vcc, s13, v50
	v_addc_co_u32_e32 v73, vcc, v17, v51, vcc
	v_mov_b32_e32 v17, s72
	v_add_co_u32_e32 v50, vcc, s71, v50
	v_addc_co_u32_e32 v51, vcc, v17, v51, vcc
	global_store_dword v[72:73], v70, off
	s_waitcnt vmcnt(1)
	global_store_dword v[50:51], v71, off
.LBB25_85:                              ;   in Loop: Header=BB25_21 Depth=1
	s_or_b64 exec, exec, s[50:51]
	v_add_co_u32_e32 v71, vcc, s78, v10
	v_pk_mov_b32 v[50:51], s[44:45], s[44:45] op_sel:[0,1]
	v_mov_b32_e32 v17, s80
	v_mad_u64_u32 v[50:51], s[50:51], v71, s36, v[50:51]
	v_addc_co_u32_e32 v17, vcc, v9, v17, vcc
	v_mov_b32_e32 v72, v51
	v_mad_u64_u32 v[72:73], s[50:51], v17, s36, v[72:73]
	v_mov_b32_e32 v71, s79
	v_add_co_u32_e32 v51, vcc, s7, v26
	v_mov_b32_e32 v17, v72
	v_addc_co_u32_e32 v71, vcc, v71, v27, vcc
	s_mov_b64 s[50:51], exec
	v_readlane_b32 vcc_lo, v77, 3
	v_readlane_b32 vcc_hi, v77, 4
	s_and_b64 vcc, s[50:51], vcc
	s_mov_b64 exec, vcc
	s_cbranch_execz .LBB25_87
; %bb.86:                               ;   in Loop: Header=BB25_21 Depth=1
	v_add_co_u32_e32 v72, vcc, v51, v62
	v_addc_co_u32_e32 v73, vcc, 0, v71, vcc
	v_add_co_u32_e32 v74, vcc, v60, v34
	v_addc_co_u32_e32 v75, vcc, v61, v35, vcc
	;; [unrolled: 2-line block ×3, first 2 shown]
	v_cndmask_b32_e64 v73, v75, v73, s[0:1]
	v_cndmask_b32_e64 v72, v74, v72, s[0:1]
	global_load_dword v76, v[72:73], off
	v_add_co_u32_e32 v72, vcc, v50, v0
	v_addc_co_u32_e32 v73, vcc, 0, v17, vcc
	v_lshlrev_b64 v[72:73], 2, v[72:73]
	v_mov_b32_e32 v75, s5
	v_add_co_u32_e32 v74, vcc, s4, v72
	v_addc_co_u32_e32 v75, vcc, v75, v73, vcc
	global_store_dword v[74:75], v63, off
	v_mov_b32_e32 v74, s47
	v_add_co_u32_e32 v72, vcc, s46, v72
	v_addc_co_u32_e32 v73, vcc, v74, v73, vcc
	s_waitcnt vmcnt(1)
	global_store_dword v[72:73], v76, off
.LBB25_87:                              ;   in Loop: Header=BB25_21 Depth=1
	s_or_b64 exec, exec, s[50:51]
	s_mov_b64 s[50:51], exec
	v_readlane_b32 vcc_lo, v77, 5
	v_readlane_b32 vcc_hi, v77, 6
	s_and_b64 vcc, s[50:51], vcc
	s_mov_b64 exec, vcc
	s_cbranch_execz .LBB25_89
; %bb.88:                               ;   in Loop: Header=BB25_21 Depth=1
	v_add_co_u32_e32 v72, vcc, v51, v62
	v_addc_co_u32_e32 v73, vcc, 0, v71, vcc
	v_add_co_u32_e32 v72, vcc, s39, v72
	v_addc_co_u32_e32 v73, vcc, 0, v73, vcc
	v_add_co_u32_e32 v74, vcc, v60, v36
	v_addc_co_u32_e32 v75, vcc, v61, v37, vcc
	v_add_co_u32_e32 v74, vcc, 0x200, v74
	v_addc_co_u32_e32 v75, vcc, 0, v75, vcc
	v_cndmask_b32_e64 v73, v75, v73, s[0:1]
	v_cndmask_b32_e64 v72, v74, v72, s[0:1]
	global_load_dword v76, v[72:73], off
	v_add_co_u32_e32 v72, vcc, v50, v0
	v_addc_co_u32_e32 v73, vcc, 0, v17, vcc
	v_lshlrev_b64 v[72:73], 2, v[72:73]
	v_mov_b32_e32 v75, s52
	v_add_co_u32_e32 v74, vcc, s33, v72
	v_addc_co_u32_e32 v75, vcc, v75, v73, vcc
	global_store_dword v[74:75], v69, off
	v_mov_b32_e32 v74, s54
	v_add_co_u32_e32 v72, vcc, s53, v72
	v_addc_co_u32_e32 v73, vcc, v74, v73, vcc
	s_waitcnt vmcnt(1)
	global_store_dword v[72:73], v76, off
.LBB25_89:                              ;   in Loop: Header=BB25_21 Depth=1
	s_or_b64 exec, exec, s[50:51]
	s_mov_b64 s[50:51], exec
	v_readlane_b32 vcc_lo, v77, 7
	v_readlane_b32 vcc_hi, v77, 8
	s_and_b64 vcc, s[50:51], vcc
	s_mov_b64 exec, vcc
	s_cbranch_execz .LBB25_91
; %bb.90:                               ;   in Loop: Header=BB25_21 Depth=1
	v_add_co_u32_e32 v72, vcc, v51, v62
	v_addc_co_u32_e32 v73, vcc, 0, v71, vcc
	v_add_co_u32_e32 v72, vcc, s73, v72
	v_addc_co_u32_e32 v73, vcc, 0, v73, vcc
	v_add_co_u32_e32 v74, vcc, v60, v38
	v_addc_co_u32_e32 v75, vcc, v61, v39, vcc
	v_add_co_u32_e32 v74, vcc, 0x200, v74
	v_addc_co_u32_e32 v75, vcc, 0, v75, vcc
	v_cndmask_b32_e64 v73, v75, v73, s[0:1]
	v_cndmask_b32_e64 v72, v74, v72, s[0:1]
	global_load_dword v76, v[72:73], off
	v_add_co_u32_e32 v72, vcc, v50, v0
	v_addc_co_u32_e32 v73, vcc, 0, v17, vcc
	v_lshlrev_b64 v[72:73], 2, v[72:73]
	v_mov_b32_e32 v75, s56
	v_add_co_u32_e32 v74, vcc, s55, v72
	v_addc_co_u32_e32 v75, vcc, v75, v73, vcc
	global_store_dword v[74:75], v68, off
	v_mov_b32_e32 v74, s10
	v_add_co_u32_e32 v72, vcc, s57, v72
	v_addc_co_u32_e32 v73, vcc, v74, v73, vcc
	s_waitcnt vmcnt(1)
	global_store_dword v[72:73], v76, off
.LBB25_91:                              ;   in Loop: Header=BB25_21 Depth=1
	s_or_b64 exec, exec, s[50:51]
	s_mov_b64 s[50:51], exec
	v_readlane_b32 vcc_lo, v77, 9
	v_readlane_b32 vcc_hi, v77, 10
	s_and_b64 vcc, s[50:51], vcc
	s_mov_b64 exec, vcc
	s_cbranch_execz .LBB25_93
; %bb.92:                               ;   in Loop: Header=BB25_21 Depth=1
	v_add_co_u32_e32 v72, vcc, v51, v62
	v_addc_co_u32_e32 v73, vcc, 0, v71, vcc
	v_add_co_u32_e32 v72, vcc, s74, v72
	v_addc_co_u32_e32 v73, vcc, 0, v73, vcc
	v_add_co_u32_e32 v74, vcc, v60, v40
	v_addc_co_u32_e32 v75, vcc, v61, v41, vcc
	v_add_co_u32_e32 v74, vcc, 0x200, v74
	v_addc_co_u32_e32 v75, vcc, 0, v75, vcc
	v_cndmask_b32_e64 v73, v75, v73, s[0:1]
	v_cndmask_b32_e64 v72, v74, v72, s[0:1]
	global_load_dword v76, v[72:73], off
	v_add_co_u32_e32 v72, vcc, v50, v0
	v_addc_co_u32_e32 v73, vcc, 0, v17, vcc
	v_lshlrev_b64 v[72:73], 2, v[72:73]
	v_mov_b32_e32 v75, s58
	v_add_co_u32_e32 v74, vcc, s11, v72
	v_addc_co_u32_e32 v75, vcc, v75, v73, vcc
	global_store_dword v[74:75], v67, off
	v_mov_b32_e32 v74, s60
	v_add_co_u32_e32 v72, vcc, s59, v72
	v_addc_co_u32_e32 v73, vcc, v74, v73, vcc
	s_waitcnt vmcnt(1)
	global_store_dword v[72:73], v76, off
.LBB25_93:                              ;   in Loop: Header=BB25_21 Depth=1
	s_or_b64 exec, exec, s[50:51]
	s_mov_b64 s[50:51], exec
	v_readlane_b32 vcc_lo, v77, 11
	v_readlane_b32 vcc_hi, v77, 12
	s_and_b64 vcc, s[50:51], vcc
	s_mov_b64 exec, vcc
	s_cbranch_execz .LBB25_95
; %bb.94:                               ;   in Loop: Header=BB25_21 Depth=1
	v_add_co_u32_e32 v72, vcc, v51, v62
	v_addc_co_u32_e32 v73, vcc, 0, v71, vcc
	v_add_co_u32_e32 v74, vcc, v60, v42
	v_addc_co_u32_e32 v75, vcc, v61, v43, vcc
	v_cndmask_b32_e64 v73, v75, v73, s[0:1]
	v_cndmask_b32_e64 v72, v74, v72, s[0:1]
	global_load_dword v76, v[72:73], off offset:512
	v_add_co_u32_e32 v72, vcc, v50, v0
	v_addc_co_u32_e32 v73, vcc, 0, v17, vcc
	v_lshlrev_b64 v[72:73], 2, v[72:73]
	v_mov_b32_e32 v75, s62
	v_add_co_u32_e32 v74, vcc, s61, v72
	v_addc_co_u32_e32 v75, vcc, v75, v73, vcc
	global_store_dword v[74:75], v66, off
	v_mov_b32_e32 v74, s2
	v_add_co_u32_e32 v72, vcc, s63, v72
	v_addc_co_u32_e32 v73, vcc, v74, v73, vcc
	s_waitcnt vmcnt(1)
	global_store_dword v[72:73], v76, off
.LBB25_95:                              ;   in Loop: Header=BB25_21 Depth=1
	s_or_b64 exec, exec, s[50:51]
	s_mov_b64 s[50:51], exec
	v_readlane_b32 vcc_lo, v77, 13
	v_readlane_b32 vcc_hi, v77, 14
	s_and_b64 vcc, s[50:51], vcc
	s_mov_b64 exec, vcc
	s_cbranch_execz .LBB25_97
; %bb.96:                               ;   in Loop: Header=BB25_21 Depth=1
	v_add_co_u32_e32 v72, vcc, v51, v62
	v_addc_co_u32_e32 v73, vcc, 0, v71, vcc
	v_add_co_u32_e32 v72, vcc, s76, v72
	v_addc_co_u32_e32 v73, vcc, 0, v73, vcc
	;; [unrolled: 2-line block ×4, first 2 shown]
	v_cndmask_b32_e64 v73, v75, v73, s[0:1]
	v_cndmask_b32_e64 v72, v74, v72, s[0:1]
	global_load_dword v76, v[72:73], off
	v_add_co_u32_e32 v72, vcc, v50, v0
	v_addc_co_u32_e32 v73, vcc, 0, v17, vcc
	v_lshlrev_b64 v[72:73], 2, v[72:73]
	v_mov_b32_e32 v75, s64
	v_add_co_u32_e32 v74, vcc, s3, v72
	v_addc_co_u32_e32 v75, vcc, v75, v73, vcc
	global_store_dword v[74:75], v65, off
	v_mov_b32_e32 v74, s66
	v_add_co_u32_e32 v72, vcc, s65, v72
	v_addc_co_u32_e32 v73, vcc, v74, v73, vcc
	s_waitcnt vmcnt(1)
	global_store_dword v[72:73], v76, off
.LBB25_97:                              ;   in Loop: Header=BB25_21 Depth=1
	s_or_b64 exec, exec, s[50:51]
	s_mov_b64 s[50:51], exec
	v_readlane_b32 vcc_lo, v77, 15
	v_readlane_b32 vcc_hi, v77, 16
	s_and_b64 vcc, s[50:51], vcc
	s_mov_b64 exec, vcc
	s_cbranch_execz .LBB25_99
; %bb.98:                               ;   in Loop: Header=BB25_21 Depth=1
	v_add_co_u32_e32 v72, vcc, v51, v62
	v_addc_co_u32_e32 v73, vcc, 0, v71, vcc
	v_add_co_u32_e32 v72, vcc, s77, v72
	v_addc_co_u32_e32 v73, vcc, 0, v73, vcc
	;; [unrolled: 2-line block ×4, first 2 shown]
	v_cndmask_b32_e64 v73, v75, v73, s[0:1]
	v_cndmask_b32_e64 v72, v74, v72, s[0:1]
	global_load_dword v76, v[72:73], off
	v_add_co_u32_e32 v72, vcc, v50, v0
	v_addc_co_u32_e32 v73, vcc, 0, v17, vcc
	v_lshlrev_b64 v[72:73], 2, v[72:73]
	v_mov_b32_e32 v75, s68
	v_add_co_u32_e32 v74, vcc, s67, v72
	v_addc_co_u32_e32 v75, vcc, v75, v73, vcc
	global_store_dword v[74:75], v64, off
	v_mov_b32_e32 v74, s12
	v_add_co_u32_e32 v72, vcc, s69, v72
	v_addc_co_u32_e32 v73, vcc, v74, v73, vcc
	s_waitcnt vmcnt(1)
	global_store_dword v[72:73], v76, off
.LBB25_99:                              ;   in Loop: Header=BB25_21 Depth=1
	s_or_b64 exec, exec, s[50:51]
	s_mov_b64 s[50:51], exec
	v_readlane_b32 vcc_lo, v77, 17
	v_readlane_b32 vcc_hi, v77, 18
	s_and_b64 vcc, s[50:51], vcc
	s_mov_b64 exec, vcc
	s_cbranch_execz .LBB25_101
; %bb.100:                              ;   in Loop: Header=BB25_21 Depth=1
	v_add_co_u32_e32 v51, vcc, v51, v62
	v_addc_co_u32_e32 v71, vcc, 0, v71, vcc
	v_add_co_u32_e32 v51, vcc, s6, v51
	v_addc_co_u32_e32 v71, vcc, 0, v71, vcc
	;; [unrolled: 2-line block ×4, first 2 shown]
	v_cndmask_b32_e64 v73, v73, v71, s[0:1]
	v_cndmask_b32_e64 v72, v72, v51, s[0:1]
	global_load_dword v71, v[72:73], off
	v_add_co_u32_e32 v50, vcc, v50, v0
	v_addc_co_u32_e32 v51, vcc, 0, v17, vcc
	v_lshlrev_b64 v[50:51], 2, v[50:51]
	v_mov_b32_e32 v17, s70
	v_add_co_u32_e32 v72, vcc, s13, v50
	v_addc_co_u32_e32 v73, vcc, v17, v51, vcc
	v_mov_b32_e32 v17, s72
	v_add_co_u32_e32 v50, vcc, s71, v50
	v_addc_co_u32_e32 v51, vcc, v17, v51, vcc
	global_store_dword v[72:73], v70, off
	s_waitcnt vmcnt(1)
	global_store_dword v[50:51], v71, off
.LBB25_101:                             ;   in Loop: Header=BB25_21 Depth=1
	s_or_b64 exec, exec, s[50:51]
	v_add_co_u32_e32 v71, vcc, s78, v12
	v_pk_mov_b32 v[50:51], s[44:45], s[44:45] op_sel:[0,1]
	v_mov_b32_e32 v17, s80
	v_mad_u64_u32 v[50:51], s[50:51], v71, s36, v[50:51]
	v_addc_co_u32_e32 v17, vcc, v11, v17, vcc
	v_mov_b32_e32 v72, v51
	v_mad_u64_u32 v[72:73], s[50:51], v17, s36, v[72:73]
	v_mov_b32_e32 v71, s79
	v_add_co_u32_e32 v51, vcc, s7, v28
	v_mov_b32_e32 v17, v72
	v_addc_co_u32_e32 v71, vcc, v71, v29, vcc
	s_mov_b64 s[50:51], exec
	v_readlane_b32 vcc_lo, v77, 19
	v_readlane_b32 vcc_hi, v77, 20
	s_and_b64 vcc, s[50:51], vcc
	s_mov_b64 exec, vcc
	s_cbranch_execz .LBB25_103
; %bb.102:                              ;   in Loop: Header=BB25_21 Depth=1
	v_add_co_u32_e32 v72, vcc, v51, v62
	v_addc_co_u32_e32 v73, vcc, 0, v71, vcc
	v_add_co_u32_e32 v74, vcc, v60, v34
	v_addc_co_u32_e32 v75, vcc, v61, v35, vcc
	;; [unrolled: 2-line block ×3, first 2 shown]
	v_cndmask_b32_e64 v73, v75, v73, s[0:1]
	v_cndmask_b32_e64 v72, v74, v72, s[0:1]
	global_load_dword v76, v[72:73], off
	v_add_co_u32_e32 v72, vcc, v50, v0
	v_addc_co_u32_e32 v73, vcc, 0, v17, vcc
	v_lshlrev_b64 v[72:73], 2, v[72:73]
	v_mov_b32_e32 v75, s5
	v_add_co_u32_e32 v74, vcc, s4, v72
	v_addc_co_u32_e32 v75, vcc, v75, v73, vcc
	global_store_dword v[74:75], v63, off
	v_mov_b32_e32 v74, s47
	v_add_co_u32_e32 v72, vcc, s46, v72
	v_addc_co_u32_e32 v73, vcc, v74, v73, vcc
	s_waitcnt vmcnt(1)
	global_store_dword v[72:73], v76, off
.LBB25_103:                             ;   in Loop: Header=BB25_21 Depth=1
	s_or_b64 exec, exec, s[50:51]
	s_mov_b64 s[50:51], exec
	v_readlane_b32 vcc_lo, v77, 21
	v_readlane_b32 vcc_hi, v77, 22
	s_and_b64 vcc, s[50:51], vcc
	s_mov_b64 exec, vcc
	s_cbranch_execz .LBB25_105
; %bb.104:                              ;   in Loop: Header=BB25_21 Depth=1
	v_add_co_u32_e32 v72, vcc, v51, v62
	v_addc_co_u32_e32 v73, vcc, 0, v71, vcc
	v_add_co_u32_e32 v72, vcc, s39, v72
	v_addc_co_u32_e32 v73, vcc, 0, v73, vcc
	v_add_co_u32_e32 v74, vcc, v60, v36
	v_addc_co_u32_e32 v75, vcc, v61, v37, vcc
	v_add_co_u32_e32 v74, vcc, 0x280, v74
	v_addc_co_u32_e32 v75, vcc, 0, v75, vcc
	v_cndmask_b32_e64 v73, v75, v73, s[0:1]
	v_cndmask_b32_e64 v72, v74, v72, s[0:1]
	global_load_dword v76, v[72:73], off
	v_add_co_u32_e32 v72, vcc, v50, v0
	v_addc_co_u32_e32 v73, vcc, 0, v17, vcc
	v_lshlrev_b64 v[72:73], 2, v[72:73]
	v_mov_b32_e32 v75, s52
	v_add_co_u32_e32 v74, vcc, s33, v72
	v_addc_co_u32_e32 v75, vcc, v75, v73, vcc
	global_store_dword v[74:75], v69, off
	v_mov_b32_e32 v74, s54
	v_add_co_u32_e32 v72, vcc, s53, v72
	v_addc_co_u32_e32 v73, vcc, v74, v73, vcc
	s_waitcnt vmcnt(1)
	global_store_dword v[72:73], v76, off
.LBB25_105:                             ;   in Loop: Header=BB25_21 Depth=1
	s_or_b64 exec, exec, s[50:51]
	s_mov_b64 s[50:51], exec
	v_readlane_b32 vcc_lo, v77, 23
	v_readlane_b32 vcc_hi, v77, 24
	s_and_b64 vcc, s[50:51], vcc
	s_mov_b64 exec, vcc
	s_cbranch_execz .LBB25_107
; %bb.106:                              ;   in Loop: Header=BB25_21 Depth=1
	v_add_co_u32_e32 v72, vcc, v51, v62
	v_addc_co_u32_e32 v73, vcc, 0, v71, vcc
	v_add_co_u32_e32 v72, vcc, s73, v72
	v_addc_co_u32_e32 v73, vcc, 0, v73, vcc
	v_add_co_u32_e32 v74, vcc, v60, v38
	v_addc_co_u32_e32 v75, vcc, v61, v39, vcc
	v_add_co_u32_e32 v74, vcc, 0x280, v74
	v_addc_co_u32_e32 v75, vcc, 0, v75, vcc
	v_cndmask_b32_e64 v73, v75, v73, s[0:1]
	v_cndmask_b32_e64 v72, v74, v72, s[0:1]
	global_load_dword v76, v[72:73], off
	v_add_co_u32_e32 v72, vcc, v50, v0
	v_addc_co_u32_e32 v73, vcc, 0, v17, vcc
	v_lshlrev_b64 v[72:73], 2, v[72:73]
	v_mov_b32_e32 v75, s56
	v_add_co_u32_e32 v74, vcc, s55, v72
	v_addc_co_u32_e32 v75, vcc, v75, v73, vcc
	global_store_dword v[74:75], v68, off
	v_mov_b32_e32 v74, s10
	v_add_co_u32_e32 v72, vcc, s57, v72
	v_addc_co_u32_e32 v73, vcc, v74, v73, vcc
	s_waitcnt vmcnt(1)
	global_store_dword v[72:73], v76, off
.LBB25_107:                             ;   in Loop: Header=BB25_21 Depth=1
	;; [unrolled: 32-line block ×4, first 2 shown]
	s_or_b64 exec, exec, s[50:51]
	s_mov_b64 s[50:51], exec
	v_readlane_b32 vcc_lo, v77, 29
	v_readlane_b32 vcc_hi, v77, 30
	s_and_b64 vcc, s[50:51], vcc
	s_mov_b64 exec, vcc
	s_cbranch_execz .LBB25_113
; %bb.112:                              ;   in Loop: Header=BB25_21 Depth=1
	v_add_co_u32_e32 v72, vcc, v51, v62
	v_addc_co_u32_e32 v73, vcc, 0, v71, vcc
	v_add_co_u32_e32 v74, vcc, v60, v44
	v_addc_co_u32_e32 v75, vcc, v61, v45, vcc
	v_cndmask_b32_e64 v73, v75, v73, s[0:1]
	v_cndmask_b32_e64 v72, v74, v72, s[0:1]
	global_load_dword v76, v[72:73], off offset:640
	v_add_co_u32_e32 v72, vcc, v50, v0
	v_addc_co_u32_e32 v73, vcc, 0, v17, vcc
	v_lshlrev_b64 v[72:73], 2, v[72:73]
	v_mov_b32_e32 v75, s64
	v_add_co_u32_e32 v74, vcc, s3, v72
	v_addc_co_u32_e32 v75, vcc, v75, v73, vcc
	global_store_dword v[74:75], v65, off
	v_mov_b32_e32 v74, s66
	v_add_co_u32_e32 v72, vcc, s65, v72
	v_addc_co_u32_e32 v73, vcc, v74, v73, vcc
	s_waitcnt vmcnt(1)
	global_store_dword v[72:73], v76, off
.LBB25_113:                             ;   in Loop: Header=BB25_21 Depth=1
	s_or_b64 exec, exec, s[50:51]
	s_mov_b64 s[50:51], exec
	v_readlane_b32 vcc_lo, v77, 31
	v_readlane_b32 vcc_hi, v77, 32
	s_and_b64 vcc, s[50:51], vcc
	s_mov_b64 exec, vcc
	s_cbranch_execz .LBB25_115
; %bb.114:                              ;   in Loop: Header=BB25_21 Depth=1
	v_add_co_u32_e32 v72, vcc, v51, v62
	v_addc_co_u32_e32 v73, vcc, 0, v71, vcc
	v_add_co_u32_e32 v72, vcc, s77, v72
	v_addc_co_u32_e32 v73, vcc, 0, v73, vcc
	;; [unrolled: 2-line block ×4, first 2 shown]
	v_cndmask_b32_e64 v73, v75, v73, s[0:1]
	v_cndmask_b32_e64 v72, v74, v72, s[0:1]
	global_load_dword v76, v[72:73], off
	v_add_co_u32_e32 v72, vcc, v50, v0
	v_addc_co_u32_e32 v73, vcc, 0, v17, vcc
	v_lshlrev_b64 v[72:73], 2, v[72:73]
	v_mov_b32_e32 v75, s68
	v_add_co_u32_e32 v74, vcc, s67, v72
	v_addc_co_u32_e32 v75, vcc, v75, v73, vcc
	global_store_dword v[74:75], v64, off
	v_mov_b32_e32 v74, s12
	v_add_co_u32_e32 v72, vcc, s69, v72
	v_addc_co_u32_e32 v73, vcc, v74, v73, vcc
	s_waitcnt vmcnt(1)
	global_store_dword v[72:73], v76, off
.LBB25_115:                             ;   in Loop: Header=BB25_21 Depth=1
	s_or_b64 exec, exec, s[50:51]
	s_and_saveexec_b64 s[50:51], s[14:15]
	s_cbranch_execz .LBB25_117
; %bb.116:                              ;   in Loop: Header=BB25_21 Depth=1
	v_add_co_u32_e32 v51, vcc, v51, v62
	v_addc_co_u32_e32 v71, vcc, 0, v71, vcc
	v_add_co_u32_e32 v51, vcc, s6, v51
	v_addc_co_u32_e32 v71, vcc, 0, v71, vcc
	;; [unrolled: 2-line block ×4, first 2 shown]
	v_cndmask_b32_e64 v73, v73, v71, s[0:1]
	v_cndmask_b32_e64 v72, v72, v51, s[0:1]
	global_load_dword v71, v[72:73], off
	v_add_co_u32_e32 v50, vcc, v50, v0
	v_addc_co_u32_e32 v51, vcc, 0, v17, vcc
	v_lshlrev_b64 v[50:51], 2, v[50:51]
	v_mov_b32_e32 v17, s70
	v_add_co_u32_e32 v72, vcc, s13, v50
	v_addc_co_u32_e32 v73, vcc, v17, v51, vcc
	v_mov_b32_e32 v17, s72
	v_add_co_u32_e32 v50, vcc, s71, v50
	v_addc_co_u32_e32 v51, vcc, v17, v51, vcc
	global_store_dword v[72:73], v70, off
	s_waitcnt vmcnt(1)
	global_store_dword v[50:51], v71, off
.LBB25_117:                             ;   in Loop: Header=BB25_21 Depth=1
	s_or_b64 exec, exec, s[50:51]
	v_add_co_u32_e32 v71, vcc, s78, v14
	v_pk_mov_b32 v[50:51], s[44:45], s[44:45] op_sel:[0,1]
	v_mov_b32_e32 v17, s80
	v_mad_u64_u32 v[50:51], s[50:51], v71, s36, v[50:51]
	v_addc_co_u32_e32 v17, vcc, v13, v17, vcc
	v_mov_b32_e32 v72, v51
	v_mad_u64_u32 v[72:73], s[50:51], v17, s36, v[72:73]
	v_mov_b32_e32 v71, s79
	v_add_co_u32_e32 v51, vcc, s7, v30
	v_mov_b32_e32 v17, v72
	v_addc_co_u32_e32 v71, vcc, v71, v31, vcc
	s_and_saveexec_b64 s[50:51], s[82:83]
	s_cbranch_execnz .LBB25_134
; %bb.118:                              ;   in Loop: Header=BB25_21 Depth=1
	s_or_b64 exec, exec, s[50:51]
	s_and_saveexec_b64 s[50:51], s[84:85]
	s_cbranch_execnz .LBB25_135
.LBB25_119:                             ;   in Loop: Header=BB25_21 Depth=1
	s_or_b64 exec, exec, s[50:51]
	s_and_saveexec_b64 s[50:51], s[86:87]
	s_cbranch_execnz .LBB25_136
.LBB25_120:                             ;   in Loop: Header=BB25_21 Depth=1
	s_or_b64 exec, exec, s[50:51]
	s_and_saveexec_b64 s[50:51], s[88:89]
	s_cbranch_execnz .LBB25_137
.LBB25_121:                             ;   in Loop: Header=BB25_21 Depth=1
	s_or_b64 exec, exec, s[50:51]
	s_and_saveexec_b64 s[50:51], s[90:91]
	s_cbranch_execnz .LBB25_138
.LBB25_122:                             ;   in Loop: Header=BB25_21 Depth=1
	s_or_b64 exec, exec, s[50:51]
	s_and_saveexec_b64 s[50:51], s[8:9]
	s_cbranch_execnz .LBB25_139
.LBB25_123:                             ;   in Loop: Header=BB25_21 Depth=1
	s_or_b64 exec, exec, s[50:51]
	s_and_saveexec_b64 s[50:51], s[92:93]
	s_cbranch_execnz .LBB25_140
.LBB25_124:                             ;   in Loop: Header=BB25_21 Depth=1
	s_or_b64 exec, exec, s[50:51]
	s_and_saveexec_b64 s[50:51], s[16:17]
	s_cbranch_execz .LBB25_126
.LBB25_125:                             ;   in Loop: Header=BB25_21 Depth=1
	v_add_co_u32_e32 v51, vcc, v51, v62
	v_addc_co_u32_e32 v71, vcc, 0, v71, vcc
	v_add_co_u32_e32 v51, vcc, s6, v51
	v_addc_co_u32_e32 v71, vcc, 0, v71, vcc
	;; [unrolled: 2-line block ×4, first 2 shown]
	v_cndmask_b32_e64 v73, v73, v71, s[0:1]
	v_cndmask_b32_e64 v72, v72, v51, s[0:1]
	global_load_dword v71, v[72:73], off
	v_add_co_u32_e32 v50, vcc, v50, v0
	v_addc_co_u32_e32 v51, vcc, 0, v17, vcc
	v_lshlrev_b64 v[50:51], 2, v[50:51]
	v_mov_b32_e32 v17, s70
	v_add_co_u32_e32 v72, vcc, s13, v50
	v_addc_co_u32_e32 v73, vcc, v17, v51, vcc
	v_mov_b32_e32 v17, s72
	v_add_co_u32_e32 v50, vcc, s71, v50
	v_addc_co_u32_e32 v51, vcc, v17, v51, vcc
	global_store_dword v[72:73], v70, off
	s_waitcnt vmcnt(1)
	global_store_dword v[50:51], v71, off
.LBB25_126:                             ;   in Loop: Header=BB25_21 Depth=1
	s_or_b64 exec, exec, s[50:51]
	v_add_co_u32_e32 v71, vcc, s78, v16
	v_pk_mov_b32 v[50:51], s[44:45], s[44:45] op_sel:[0,1]
	v_mov_b32_e32 v17, s80
	v_mad_u64_u32 v[50:51], s[50:51], v71, s36, v[50:51]
	v_addc_co_u32_e32 v17, vcc, v15, v17, vcc
	v_mov_b32_e32 v72, v51
	v_mad_u64_u32 v[72:73], s[50:51], v17, s36, v[72:73]
	v_mov_b32_e32 v71, s79
	v_add_co_u32_e32 v51, vcc, s7, v32
	v_mov_b32_e32 v17, v72
	v_addc_co_u32_e32 v71, vcc, v71, v33, vcc
	s_and_saveexec_b64 s[50:51], s[94:95]
	s_cbranch_execnz .LBB25_141
; %bb.127:                              ;   in Loop: Header=BB25_21 Depth=1
	s_or_b64 exec, exec, s[50:51]
	s_and_saveexec_b64 s[50:51], s[20:21]
	s_cbranch_execnz .LBB25_142
.LBB25_128:                             ;   in Loop: Header=BB25_21 Depth=1
	s_or_b64 exec, exec, s[50:51]
	s_and_saveexec_b64 s[50:51], s[22:23]
	s_cbranch_execnz .LBB25_143
.LBB25_129:                             ;   in Loop: Header=BB25_21 Depth=1
	s_or_b64 exec, exec, s[50:51]
	s_and_saveexec_b64 s[50:51], s[24:25]
	s_cbranch_execnz .LBB25_144
.LBB25_130:                             ;   in Loop: Header=BB25_21 Depth=1
	s_or_b64 exec, exec, s[50:51]
	s_and_saveexec_b64 s[50:51], s[26:27]
	s_cbranch_execnz .LBB25_145
.LBB25_131:                             ;   in Loop: Header=BB25_21 Depth=1
	s_or_b64 exec, exec, s[50:51]
	s_and_saveexec_b64 s[50:51], s[28:29]
	s_cbranch_execnz .LBB25_146
.LBB25_132:                             ;   in Loop: Header=BB25_21 Depth=1
	s_or_b64 exec, exec, s[50:51]
	s_and_saveexec_b64 s[50:51], s[30:31]
	s_cbranch_execnz .LBB25_147
.LBB25_133:                             ;   in Loop: Header=BB25_21 Depth=1
	s_or_b64 exec, exec, s[50:51]
	s_and_saveexec_b64 s[50:51], s[18:19]
	s_cbranch_execz .LBB25_20
	s_branch .LBB25_148
.LBB25_134:                             ;   in Loop: Header=BB25_21 Depth=1
	v_add_co_u32_e32 v72, vcc, v51, v62
	v_addc_co_u32_e32 v73, vcc, 0, v71, vcc
	v_add_co_u32_e32 v74, vcc, v60, v34
	v_addc_co_u32_e32 v75, vcc, v61, v35, vcc
	;; [unrolled: 2-line block ×3, first 2 shown]
	v_cndmask_b32_e64 v73, v75, v73, s[0:1]
	v_cndmask_b32_e64 v72, v74, v72, s[0:1]
	global_load_dword v76, v[72:73], off
	v_add_co_u32_e32 v72, vcc, v50, v0
	v_addc_co_u32_e32 v73, vcc, 0, v17, vcc
	v_lshlrev_b64 v[72:73], 2, v[72:73]
	v_mov_b32_e32 v75, s5
	v_add_co_u32_e32 v74, vcc, s4, v72
	v_addc_co_u32_e32 v75, vcc, v75, v73, vcc
	global_store_dword v[74:75], v63, off
	v_mov_b32_e32 v74, s47
	v_add_co_u32_e32 v72, vcc, s46, v72
	v_addc_co_u32_e32 v73, vcc, v74, v73, vcc
	s_waitcnt vmcnt(1)
	global_store_dword v[72:73], v76, off
	s_or_b64 exec, exec, s[50:51]
	s_and_saveexec_b64 s[50:51], s[84:85]
	s_cbranch_execz .LBB25_119
.LBB25_135:                             ;   in Loop: Header=BB25_21 Depth=1
	v_add_co_u32_e32 v72, vcc, v51, v62
	v_addc_co_u32_e32 v73, vcc, 0, v71, vcc
	v_add_co_u32_e32 v72, vcc, s39, v72
	v_addc_co_u32_e32 v73, vcc, 0, v73, vcc
	v_add_co_u32_e32 v74, vcc, v60, v36
	v_addc_co_u32_e32 v75, vcc, v61, v37, vcc
	v_add_co_u32_e32 v74, vcc, 0x300, v74
	v_addc_co_u32_e32 v75, vcc, 0, v75, vcc
	v_cndmask_b32_e64 v73, v75, v73, s[0:1]
	v_cndmask_b32_e64 v72, v74, v72, s[0:1]
	global_load_dword v76, v[72:73], off
	v_add_co_u32_e32 v72, vcc, v50, v0
	v_addc_co_u32_e32 v73, vcc, 0, v17, vcc
	v_lshlrev_b64 v[72:73], 2, v[72:73]
	v_mov_b32_e32 v75, s52
	v_add_co_u32_e32 v74, vcc, s33, v72
	v_addc_co_u32_e32 v75, vcc, v75, v73, vcc
	global_store_dword v[74:75], v69, off
	v_mov_b32_e32 v74, s54
	v_add_co_u32_e32 v72, vcc, s53, v72
	v_addc_co_u32_e32 v73, vcc, v74, v73, vcc
	s_waitcnt vmcnt(1)
	global_store_dword v[72:73], v76, off
	s_or_b64 exec, exec, s[50:51]
	s_and_saveexec_b64 s[50:51], s[86:87]
	s_cbranch_execz .LBB25_120
.LBB25_136:                             ;   in Loop: Header=BB25_21 Depth=1
	v_add_co_u32_e32 v72, vcc, v51, v62
	v_addc_co_u32_e32 v73, vcc, 0, v71, vcc
	v_add_co_u32_e32 v72, vcc, s73, v72
	v_addc_co_u32_e32 v73, vcc, 0, v73, vcc
	;; [unrolled: 2-line block ×4, first 2 shown]
	v_cndmask_b32_e64 v73, v75, v73, s[0:1]
	v_cndmask_b32_e64 v72, v74, v72, s[0:1]
	global_load_dword v76, v[72:73], off
	v_add_co_u32_e32 v72, vcc, v50, v0
	v_addc_co_u32_e32 v73, vcc, 0, v17, vcc
	v_lshlrev_b64 v[72:73], 2, v[72:73]
	v_mov_b32_e32 v75, s56
	v_add_co_u32_e32 v74, vcc, s55, v72
	v_addc_co_u32_e32 v75, vcc, v75, v73, vcc
	global_store_dword v[74:75], v68, off
	v_mov_b32_e32 v74, s10
	v_add_co_u32_e32 v72, vcc, s57, v72
	v_addc_co_u32_e32 v73, vcc, v74, v73, vcc
	s_waitcnt vmcnt(1)
	global_store_dword v[72:73], v76, off
	s_or_b64 exec, exec, s[50:51]
	s_and_saveexec_b64 s[50:51], s[88:89]
	s_cbranch_execz .LBB25_121
.LBB25_137:                             ;   in Loop: Header=BB25_21 Depth=1
	v_add_co_u32_e32 v72, vcc, v51, v62
	v_addc_co_u32_e32 v73, vcc, 0, v71, vcc
	v_add_co_u32_e32 v72, vcc, s74, v72
	v_addc_co_u32_e32 v73, vcc, 0, v73, vcc
	;; [unrolled: 2-line block ×4, first 2 shown]
	v_cndmask_b32_e64 v73, v75, v73, s[0:1]
	v_cndmask_b32_e64 v72, v74, v72, s[0:1]
	global_load_dword v76, v[72:73], off
	v_add_co_u32_e32 v72, vcc, v50, v0
	v_addc_co_u32_e32 v73, vcc, 0, v17, vcc
	v_lshlrev_b64 v[72:73], 2, v[72:73]
	v_mov_b32_e32 v75, s58
	v_add_co_u32_e32 v74, vcc, s11, v72
	v_addc_co_u32_e32 v75, vcc, v75, v73, vcc
	global_store_dword v[74:75], v67, off
	v_mov_b32_e32 v74, s60
	v_add_co_u32_e32 v72, vcc, s59, v72
	v_addc_co_u32_e32 v73, vcc, v74, v73, vcc
	s_waitcnt vmcnt(1)
	global_store_dword v[72:73], v76, off
	s_or_b64 exec, exec, s[50:51]
	s_and_saveexec_b64 s[50:51], s[90:91]
	s_cbranch_execz .LBB25_122
.LBB25_138:                             ;   in Loop: Header=BB25_21 Depth=1
	v_add_co_u32_e32 v72, vcc, v51, v62
	v_addc_co_u32_e32 v73, vcc, 0, v71, vcc
	v_add_co_u32_e32 v72, vcc, s75, v72
	v_addc_co_u32_e32 v73, vcc, 0, v73, vcc
	;; [unrolled: 2-line block ×4, first 2 shown]
	v_cndmask_b32_e64 v73, v75, v73, s[0:1]
	v_cndmask_b32_e64 v72, v74, v72, s[0:1]
	global_load_dword v76, v[72:73], off
	v_add_co_u32_e32 v72, vcc, v50, v0
	v_addc_co_u32_e32 v73, vcc, 0, v17, vcc
	v_lshlrev_b64 v[72:73], 2, v[72:73]
	v_mov_b32_e32 v75, s62
	v_add_co_u32_e32 v74, vcc, s61, v72
	v_addc_co_u32_e32 v75, vcc, v75, v73, vcc
	global_store_dword v[74:75], v66, off
	v_mov_b32_e32 v74, s2
	v_add_co_u32_e32 v72, vcc, s63, v72
	v_addc_co_u32_e32 v73, vcc, v74, v73, vcc
	s_waitcnt vmcnt(1)
	global_store_dword v[72:73], v76, off
	s_or_b64 exec, exec, s[50:51]
	s_and_saveexec_b64 s[50:51], s[8:9]
	s_cbranch_execz .LBB25_123
.LBB25_139:                             ;   in Loop: Header=BB25_21 Depth=1
	v_add_co_u32_e32 v72, vcc, v51, v62
	v_addc_co_u32_e32 v73, vcc, 0, v71, vcc
	v_add_co_u32_e32 v72, vcc, s76, v72
	v_addc_co_u32_e32 v73, vcc, 0, v73, vcc
	;; [unrolled: 2-line block ×4, first 2 shown]
	v_cndmask_b32_e64 v73, v75, v73, s[0:1]
	v_cndmask_b32_e64 v72, v74, v72, s[0:1]
	global_load_dword v76, v[72:73], off
	v_add_co_u32_e32 v72, vcc, v50, v0
	v_addc_co_u32_e32 v73, vcc, 0, v17, vcc
	v_lshlrev_b64 v[72:73], 2, v[72:73]
	v_mov_b32_e32 v75, s64
	v_add_co_u32_e32 v74, vcc, s3, v72
	v_addc_co_u32_e32 v75, vcc, v75, v73, vcc
	global_store_dword v[74:75], v65, off
	v_mov_b32_e32 v74, s66
	v_add_co_u32_e32 v72, vcc, s65, v72
	v_addc_co_u32_e32 v73, vcc, v74, v73, vcc
	s_waitcnt vmcnt(1)
	global_store_dword v[72:73], v76, off
	s_or_b64 exec, exec, s[50:51]
	s_and_saveexec_b64 s[50:51], s[92:93]
	s_cbranch_execz .LBB25_124
.LBB25_140:                             ;   in Loop: Header=BB25_21 Depth=1
	v_add_co_u32_e32 v72, vcc, v51, v62
	v_addc_co_u32_e32 v73, vcc, 0, v71, vcc
	v_add_co_u32_e32 v74, vcc, v60, v46
	v_addc_co_u32_e32 v75, vcc, v61, v47, vcc
	v_cndmask_b32_e64 v73, v75, v73, s[0:1]
	v_cndmask_b32_e64 v72, v74, v72, s[0:1]
	global_load_dword v76, v[72:73], off offset:768
	v_add_co_u32_e32 v72, vcc, v50, v0
	v_addc_co_u32_e32 v73, vcc, 0, v17, vcc
	v_lshlrev_b64 v[72:73], 2, v[72:73]
	v_mov_b32_e32 v75, s68
	v_add_co_u32_e32 v74, vcc, s67, v72
	v_addc_co_u32_e32 v75, vcc, v75, v73, vcc
	global_store_dword v[74:75], v64, off
	v_mov_b32_e32 v74, s12
	v_add_co_u32_e32 v72, vcc, s69, v72
	v_addc_co_u32_e32 v73, vcc, v74, v73, vcc
	s_waitcnt vmcnt(1)
	global_store_dword v[72:73], v76, off
	s_or_b64 exec, exec, s[50:51]
	s_and_saveexec_b64 s[50:51], s[16:17]
	s_cbranch_execnz .LBB25_125
	s_branch .LBB25_126
.LBB25_141:                             ;   in Loop: Header=BB25_21 Depth=1
	v_add_co_u32_e32 v72, vcc, v51, v62
	v_addc_co_u32_e32 v73, vcc, 0, v71, vcc
	v_add_co_u32_e32 v74, vcc, v60, v34
	v_addc_co_u32_e32 v75, vcc, v61, v35, vcc
	v_add_co_u32_e32 v74, vcc, 0x380, v74
	v_addc_co_u32_e32 v75, vcc, 0, v75, vcc
	v_cndmask_b32_e64 v73, v75, v73, s[0:1]
	v_cndmask_b32_e64 v72, v74, v72, s[0:1]
	global_load_dword v76, v[72:73], off
	v_add_co_u32_e32 v72, vcc, v50, v0
	v_addc_co_u32_e32 v73, vcc, 0, v17, vcc
	v_lshlrev_b64 v[72:73], 2, v[72:73]
	v_mov_b32_e32 v75, s5
	v_add_co_u32_e32 v74, vcc, s4, v72
	v_addc_co_u32_e32 v75, vcc, v75, v73, vcc
	global_store_dword v[74:75], v63, off
	v_mov_b32_e32 v63, s47
	v_add_co_u32_e32 v72, vcc, s46, v72
	v_addc_co_u32_e32 v73, vcc, v63, v73, vcc
	s_waitcnt vmcnt(1)
	global_store_dword v[72:73], v76, off
	s_or_b64 exec, exec, s[50:51]
	s_and_saveexec_b64 s[50:51], s[20:21]
	s_cbranch_execz .LBB25_128
.LBB25_142:                             ;   in Loop: Header=BB25_21 Depth=1
	v_add_co_u32_e32 v63, vcc, v51, v62
	v_addc_co_u32_e32 v72, vcc, 0, v71, vcc
	v_add_co_u32_e32 v63, vcc, s39, v63
	v_addc_co_u32_e32 v72, vcc, 0, v72, vcc
	;; [unrolled: 2-line block ×4, first 2 shown]
	v_cndmask_b32_e64 v73, v73, v72, s[0:1]
	v_cndmask_b32_e64 v72, v75, v63, s[0:1]
	global_load_dword v63, v[72:73], off
	v_add_co_u32_e32 v72, vcc, v50, v0
	v_addc_co_u32_e32 v73, vcc, 0, v17, vcc
	v_lshlrev_b64 v[72:73], 2, v[72:73]
	v_mov_b32_e32 v75, s52
	v_add_co_u32_e32 v74, vcc, s33, v72
	v_addc_co_u32_e32 v75, vcc, v75, v73, vcc
	global_store_dword v[74:75], v69, off
	v_mov_b32_e32 v69, s54
	v_add_co_u32_e32 v72, vcc, s53, v72
	v_addc_co_u32_e32 v73, vcc, v69, v73, vcc
	s_waitcnt vmcnt(1)
	global_store_dword v[72:73], v63, off
	s_or_b64 exec, exec, s[50:51]
	s_and_saveexec_b64 s[50:51], s[22:23]
	s_cbranch_execz .LBB25_129
.LBB25_143:                             ;   in Loop: Header=BB25_21 Depth=1
	v_add_co_u32_e32 v63, vcc, v51, v62
	v_addc_co_u32_e32 v69, vcc, 0, v71, vcc
	v_add_co_u32_e32 v63, vcc, s73, v63
	v_addc_co_u32_e32 v69, vcc, 0, v69, vcc
	;; [unrolled: 2-line block ×4, first 2 shown]
	v_cndmask_b32_e64 v73, v73, v69, s[0:1]
	v_cndmask_b32_e64 v72, v72, v63, s[0:1]
	global_load_dword v63, v[72:73], off
	v_add_co_u32_e32 v72, vcc, v50, v0
	v_addc_co_u32_e32 v73, vcc, 0, v17, vcc
	v_lshlrev_b64 v[72:73], 2, v[72:73]
	v_mov_b32_e32 v69, s56
	v_add_co_u32_e32 v74, vcc, s55, v72
	v_addc_co_u32_e32 v75, vcc, v69, v73, vcc
	global_store_dword v[74:75], v68, off
	v_mov_b32_e32 v69, s10
	v_add_co_u32_e32 v68, vcc, s57, v72
	v_addc_co_u32_e32 v69, vcc, v69, v73, vcc
	s_waitcnt vmcnt(1)
	global_store_dword v[68:69], v63, off
	s_or_b64 exec, exec, s[50:51]
	s_and_saveexec_b64 s[50:51], s[24:25]
	s_cbranch_execz .LBB25_130
.LBB25_144:                             ;   in Loop: Header=BB25_21 Depth=1
	v_add_co_u32_e32 v63, vcc, v51, v62
	v_addc_co_u32_e32 v68, vcc, 0, v71, vcc
	v_add_co_u32_e32 v63, vcc, s74, v63
	v_addc_co_u32_e32 v68, vcc, 0, v68, vcc
	;; [unrolled: 2-line block ×4, first 2 shown]
	v_cndmask_b32_e64 v69, v69, v68, s[0:1]
	v_cndmask_b32_e64 v68, v73, v63, s[0:1]
	global_load_dword v63, v[68:69], off
	v_add_co_u32_e32 v68, vcc, v50, v0
	v_addc_co_u32_e32 v69, vcc, 0, v17, vcc
	v_lshlrev_b64 v[68:69], 2, v[68:69]
	v_mov_b32_e32 v73, s58
	v_add_co_u32_e32 v72, vcc, s11, v68
	v_addc_co_u32_e32 v73, vcc, v73, v69, vcc
	global_store_dword v[72:73], v67, off
	v_mov_b32_e32 v67, s60
	v_add_co_u32_e32 v68, vcc, s59, v68
	v_addc_co_u32_e32 v69, vcc, v67, v69, vcc
	s_waitcnt vmcnt(1)
	global_store_dword v[68:69], v63, off
	s_or_b64 exec, exec, s[50:51]
	s_and_saveexec_b64 s[50:51], s[26:27]
	s_cbranch_execz .LBB25_131
.LBB25_145:                             ;   in Loop: Header=BB25_21 Depth=1
	v_add_co_u32_e32 v63, vcc, v51, v62
	v_addc_co_u32_e32 v67, vcc, 0, v71, vcc
	v_add_co_u32_e32 v63, vcc, s75, v63
	v_addc_co_u32_e32 v67, vcc, 0, v67, vcc
	;; [unrolled: 2-line block ×4, first 2 shown]
	v_cndmask_b32_e64 v69, v69, v67, s[0:1]
	v_cndmask_b32_e64 v68, v68, v63, s[0:1]
	global_load_dword v63, v[68:69], off
	v_add_co_u32_e32 v68, vcc, v50, v0
	v_addc_co_u32_e32 v69, vcc, 0, v17, vcc
	v_lshlrev_b64 v[68:69], 2, v[68:69]
	v_mov_b32_e32 v67, s62
	v_add_co_u32_e32 v72, vcc, s61, v68
	v_addc_co_u32_e32 v73, vcc, v67, v69, vcc
	global_store_dword v[72:73], v66, off
	v_mov_b32_e32 v67, s2
	v_add_co_u32_e32 v66, vcc, s63, v68
	v_addc_co_u32_e32 v67, vcc, v67, v69, vcc
	s_waitcnt vmcnt(1)
	global_store_dword v[66:67], v63, off
	s_or_b64 exec, exec, s[50:51]
	s_and_saveexec_b64 s[50:51], s[28:29]
	s_cbranch_execz .LBB25_132
.LBB25_146:                             ;   in Loop: Header=BB25_21 Depth=1
	v_add_co_u32_e32 v63, vcc, v51, v62
	v_addc_co_u32_e32 v66, vcc, 0, v71, vcc
	v_add_co_u32_e32 v63, vcc, s76, v63
	v_addc_co_u32_e32 v66, vcc, 0, v66, vcc
	v_add_co_u32_e32 v67, vcc, v60, v44
	v_addc_co_u32_e32 v68, vcc, v61, v45, vcc
	v_add_co_u32_e32 v69, vcc, 0x380, v67
	v_addc_co_u32_e32 v67, vcc, 0, v68, vcc
	v_cndmask_b32_e64 v67, v67, v66, s[0:1]
	v_cndmask_b32_e64 v66, v69, v63, s[0:1]
	global_load_dword v63, v[66:67], off
	v_add_co_u32_e32 v66, vcc, v50, v0
	v_addc_co_u32_e32 v67, vcc, 0, v17, vcc
	v_lshlrev_b64 v[66:67], 2, v[66:67]
	v_mov_b32_e32 v69, s64
	v_add_co_u32_e32 v68, vcc, s3, v66
	v_addc_co_u32_e32 v69, vcc, v69, v67, vcc
	global_store_dword v[68:69], v65, off
	v_mov_b32_e32 v65, s66
	v_add_co_u32_e32 v66, vcc, s65, v66
	v_addc_co_u32_e32 v67, vcc, v65, v67, vcc
	s_waitcnt vmcnt(1)
	global_store_dword v[66:67], v63, off
	s_or_b64 exec, exec, s[50:51]
	s_and_saveexec_b64 s[50:51], s[30:31]
	s_cbranch_execz .LBB25_133
.LBB25_147:                             ;   in Loop: Header=BB25_21 Depth=1
	v_add_co_u32_e32 v63, vcc, v51, v62
	v_addc_co_u32_e32 v65, vcc, 0, v71, vcc
	v_add_co_u32_e32 v63, vcc, s77, v63
	v_addc_co_u32_e32 v65, vcc, 0, v65, vcc
	;; [unrolled: 2-line block ×4, first 2 shown]
	v_cndmask_b32_e64 v67, v67, v65, s[0:1]
	v_cndmask_b32_e64 v66, v66, v63, s[0:1]
	global_load_dword v63, v[66:67], off
	v_add_co_u32_e32 v66, vcc, v50, v0
	v_addc_co_u32_e32 v67, vcc, 0, v17, vcc
	v_lshlrev_b64 v[66:67], 2, v[66:67]
	v_mov_b32_e32 v65, s68
	v_add_co_u32_e32 v68, vcc, s67, v66
	v_addc_co_u32_e32 v69, vcc, v65, v67, vcc
	global_store_dword v[68:69], v64, off
	v_mov_b32_e32 v65, s12
	v_add_co_u32_e32 v64, vcc, s69, v66
	v_addc_co_u32_e32 v65, vcc, v65, v67, vcc
	s_waitcnt vmcnt(1)
	global_store_dword v[64:65], v63, off
	s_or_b64 exec, exec, s[50:51]
	s_and_saveexec_b64 s[50:51], s[18:19]
	s_cbranch_execz .LBB25_20
.LBB25_148:                             ;   in Loop: Header=BB25_21 Depth=1
	v_add_co_u32_e32 v51, vcc, v51, v62
	v_addc_co_u32_e32 v62, vcc, 0, v71, vcc
	v_add_co_u32_e32 v60, vcc, v60, v48
	v_addc_co_u32_e32 v61, vcc, v61, v49, vcc
	v_cndmask_b32_e64 v61, v61, v62, s[0:1]
	v_cndmask_b32_e64 v60, v60, v51, s[0:1]
	global_load_dword v62, v[60:61], off offset:896
	v_add_co_u32_e32 v50, vcc, v50, v0
	v_addc_co_u32_e32 v51, vcc, 0, v17, vcc
	v_lshlrev_b64 v[50:51], 2, v[50:51]
	v_mov_b32_e32 v17, s70
	v_add_co_u32_e32 v60, vcc, s13, v50
	v_addc_co_u32_e32 v61, vcc, v17, v51, vcc
	v_mov_b32_e32 v17, s72
	v_add_co_u32_e32 v50, vcc, s71, v50
	v_addc_co_u32_e32 v51, vcc, v17, v51, vcc
	global_store_dword v[60:61], v70, off
	s_waitcnt vmcnt(1)
	global_store_dword v[50:51], v62, off
	s_branch .LBB25_20
.LBB25_149:
	s_endpgm
	.section	.rodata,"a",@progbits
	.p2align	6, 0x0
	.amdhsa_kernel _ZN9rocsparseL35bsr2csr_block_per_row_33_256_kernelILj1024ELj256ELj32EiliEEv20rocsparse_direction_T4_S2_21rocsparse_index_base_PKT2_PKT3_PKS2_S2_S3_PS4_PS7_PS2_
		.amdhsa_group_segment_fixed_size 0
		.amdhsa_private_segment_fixed_size 0
		.amdhsa_kernarg_size 72
		.amdhsa_user_sgpr_count 6
		.amdhsa_user_sgpr_private_segment_buffer 1
		.amdhsa_user_sgpr_dispatch_ptr 0
		.amdhsa_user_sgpr_queue_ptr 0
		.amdhsa_user_sgpr_kernarg_segment_ptr 1
		.amdhsa_user_sgpr_dispatch_id 0
		.amdhsa_user_sgpr_flat_scratch_init 0
		.amdhsa_user_sgpr_kernarg_preload_length 0
		.amdhsa_user_sgpr_kernarg_preload_offset 0
		.amdhsa_user_sgpr_private_segment_size 0
		.amdhsa_uses_dynamic_stack 0
		.amdhsa_system_sgpr_private_segment_wavefront_offset 0
		.amdhsa_system_sgpr_workgroup_id_x 1
		.amdhsa_system_sgpr_workgroup_id_y 0
		.amdhsa_system_sgpr_workgroup_id_z 0
		.amdhsa_system_sgpr_workgroup_info 0
		.amdhsa_system_vgpr_workitem_id 0
		.amdhsa_next_free_vgpr 79
		.amdhsa_next_free_sgpr 96
		.amdhsa_accum_offset 80
		.amdhsa_reserve_vcc 1
		.amdhsa_reserve_flat_scratch 0
		.amdhsa_float_round_mode_32 0
		.amdhsa_float_round_mode_16_64 0
		.amdhsa_float_denorm_mode_32 3
		.amdhsa_float_denorm_mode_16_64 3
		.amdhsa_dx10_clamp 1
		.amdhsa_ieee_mode 1
		.amdhsa_fp16_overflow 0
		.amdhsa_tg_split 0
		.amdhsa_exception_fp_ieee_invalid_op 0
		.amdhsa_exception_fp_denorm_src 0
		.amdhsa_exception_fp_ieee_div_zero 0
		.amdhsa_exception_fp_ieee_overflow 0
		.amdhsa_exception_fp_ieee_underflow 0
		.amdhsa_exception_fp_ieee_inexact 0
		.amdhsa_exception_int_div_zero 0
	.end_amdhsa_kernel
	.section	.text._ZN9rocsparseL35bsr2csr_block_per_row_33_256_kernelILj1024ELj256ELj32EiliEEv20rocsparse_direction_T4_S2_21rocsparse_index_base_PKT2_PKT3_PKS2_S2_S3_PS4_PS7_PS2_,"axG",@progbits,_ZN9rocsparseL35bsr2csr_block_per_row_33_256_kernelILj1024ELj256ELj32EiliEEv20rocsparse_direction_T4_S2_21rocsparse_index_base_PKT2_PKT3_PKS2_S2_S3_PS4_PS7_PS2_,comdat
.Lfunc_end25:
	.size	_ZN9rocsparseL35bsr2csr_block_per_row_33_256_kernelILj1024ELj256ELj32EiliEEv20rocsparse_direction_T4_S2_21rocsparse_index_base_PKT2_PKT3_PKS2_S2_S3_PS4_PS7_PS2_, .Lfunc_end25-_ZN9rocsparseL35bsr2csr_block_per_row_33_256_kernelILj1024ELj256ELj32EiliEEv20rocsparse_direction_T4_S2_21rocsparse_index_base_PKT2_PKT3_PKS2_S2_S3_PS4_PS7_PS2_
                                        ; -- End function
	.section	.AMDGPU.csdata,"",@progbits
; Kernel info:
; codeLenInByte = 12976
; NumSgprs: 100
; NumVgprs: 79
; NumAgprs: 0
; TotalNumVgprs: 79
; ScratchSize: 0
; MemoryBound: 0
; FloatMode: 240
; IeeeMode: 1
; LDSByteSize: 0 bytes/workgroup (compile time only)
; SGPRBlocks: 12
; VGPRBlocks: 9
; NumSGPRsForWavesPerEU: 100
; NumVGPRsForWavesPerEU: 79
; AccumOffset: 80
; Occupancy: 6
; WaveLimiterHint : 1
; COMPUTE_PGM_RSRC2:SCRATCH_EN: 0
; COMPUTE_PGM_RSRC2:USER_SGPR: 6
; COMPUTE_PGM_RSRC2:TRAP_HANDLER: 0
; COMPUTE_PGM_RSRC2:TGID_X_EN: 1
; COMPUTE_PGM_RSRC2:TGID_Y_EN: 0
; COMPUTE_PGM_RSRC2:TGID_Z_EN: 0
; COMPUTE_PGM_RSRC2:TIDIG_COMP_CNT: 0
; COMPUTE_PGM_RSRC3_GFX90A:ACCUM_OFFSET: 19
; COMPUTE_PGM_RSRC3_GFX90A:TG_SPLIT: 0
	.section	.text._ZN9rocsparseL35bsr2csr_block_dim_equals_one_kernelILj1024EiilEEvT2_S1_21rocsparse_index_base_PKT0_PKT1_PKS1_S2_PS3_PS6_PS1_,"axG",@progbits,_ZN9rocsparseL35bsr2csr_block_dim_equals_one_kernelILj1024EiilEEvT2_S1_21rocsparse_index_base_PKT0_PKT1_PKS1_S2_PS3_PS6_PS1_,comdat
	.globl	_ZN9rocsparseL35bsr2csr_block_dim_equals_one_kernelILj1024EiilEEvT2_S1_21rocsparse_index_base_PKT0_PKT1_PKS1_S2_PS3_PS6_PS1_ ; -- Begin function _ZN9rocsparseL35bsr2csr_block_dim_equals_one_kernelILj1024EiilEEvT2_S1_21rocsparse_index_base_PKT0_PKT1_PKS1_S2_PS3_PS6_PS1_
	.p2align	8
	.type	_ZN9rocsparseL35bsr2csr_block_dim_equals_one_kernelILj1024EiilEEvT2_S1_21rocsparse_index_base_PKT0_PKT1_PKS1_S2_PS3_PS6_PS1_,@function
_ZN9rocsparseL35bsr2csr_block_dim_equals_one_kernelILj1024EiilEEvT2_S1_21rocsparse_index_base_PKT0_PKT1_PKS1_S2_PS3_PS6_PS1_: ; @_ZN9rocsparseL35bsr2csr_block_dim_equals_one_kernelILj1024EiilEEvT2_S1_21rocsparse_index_base_PKT0_PKT1_PKS1_S2_PS3_PS6_PS1_
; %bb.0:
	v_lshl_or_b32 v0, s6, 10, v0
	v_mov_b32_e32 v1, 0
	s_load_dwordx2 s[14:15], s[4:5], 0x0
	s_load_dword s20, s[4:5], 0x10
	s_load_dwordx4 s[0:3], s[4:5], 0x18
	s_load_dwordx2 s[8:9], s[4:5], 0x28
	s_load_dword s21, s[4:5], 0x30
	s_load_dwordx2 s[10:11], s[4:5], 0x48
	s_load_dwordx2 s[12:13], s[4:5], 0x38
	s_waitcnt lgkmcnt(0)
	v_cmp_gt_i64_e32 vcc, s[14:15], v[0:1]
	s_and_saveexec_b64 s[6:7], vcc
	s_cbranch_execz .LBB26_6
; %bb.1:
	s_load_dwordx2 s[16:17], s[4:5], 0x40
	v_cmp_ne_u32_e32 vcc, 0, v0
                                        ; implicit-def: $sgpr22
	s_and_saveexec_b64 s[18:19], vcc
	s_xor_b64 s[18:19], exec, s[18:19]
; %bb.2:
	s_sub_i32 s22, s21, s20
; %bb.3:
	s_or_saveexec_b64 s[18:19], s[18:19]
	v_mov_b32_e32 v2, s22
	s_xor_b64 exec, exec, s[18:19]
	s_cbranch_execz .LBB26_5
; %bb.4:
	s_load_dword s22, s[2:3], 0x0
	s_sub_i32 s23, s21, s20
	v_mov_b32_e32 v2, 0
	s_waitcnt lgkmcnt(0)
	s_add_i32 s22, s23, s22
	v_mov_b32_e32 v3, s22
	global_store_dword v2, v3, s[16:17]
	v_mov_b32_e32 v2, s23
.LBB26_5:
	s_or_b64 exec, exec, s[18:19]
	v_lshlrev_b64 v[4:5], 2, v[0:1]
	v_mov_b32_e32 v3, s3
	v_add_co_u32_e32 v6, vcc, s2, v4
	v_addc_co_u32_e32 v7, vcc, v3, v5, vcc
	global_load_dword v3, v[6:7], off offset:4
	s_waitcnt lgkmcnt(0)
	v_mov_b32_e32 v6, s17
	s_waitcnt vmcnt(0)
	v_add_u32_e32 v7, v2, v3
	v_add_co_u32_e32 v2, vcc, s16, v4
	v_addc_co_u32_e32 v3, vcc, v6, v5, vcc
	global_store_dword v[2:3], v7, off offset:4
.LBB26_6:
	s_or_b64 exec, exec, s[6:7]
	s_lshl_b64 s[6:7], s[14:15], 2
	s_add_u32 s6, s2, s6
	s_addc_u32 s7, s3, s7
	s_load_dword s14, s[6:7], 0x0
	s_load_dword s15, s[2:3], 0x0
	s_waitcnt lgkmcnt(0)
	s_sub_i32 s2, s14, s15
	s_ashr_i32 s3, s2, 31
	v_cmp_gt_i64_e32 vcc, s[2:3], v[0:1]
	s_and_saveexec_b64 s[6:7], vcc
	s_cbranch_execz .LBB26_9
; %bb.7:
	s_load_dword s4, s[4:5], 0x50
	s_sub_u32 s18, s21, s20
	s_mov_b32 s5, 0
	s_subb_u32 s19, 0, 0
	v_lshlrev_b64 v[2:3], 2, v[0:1]
	s_waitcnt lgkmcnt(0)
	s_lshl_b32 s4, s4, 10
	s_lshl_b64 s[6:7], s[4:5], 2
	s_lshl_b64 s[14:15], s[4:5], 3
	v_lshlrev_b64 v[4:5], 3, v[0:1]
	s_mov_b64 s[16:17], 0
	v_mov_b32_e32 v6, s9
	v_mov_b32_e32 v7, s19
	;; [unrolled: 1-line block ×8, first 2 shown]
.LBB26_8:                               ; =>This Inner Loop Header: Depth=1
	v_add_co_u32_e32 v14, vcc, s8, v4
	v_addc_co_u32_e32 v15, vcc, v6, v5, vcc
	v_add_co_u32_e32 v16, vcc, s0, v2
	v_addc_co_u32_e32 v17, vcc, v9, v3, vcc
	global_load_dwordx2 v[18:19], v[14:15], off
	global_load_dword v20, v[16:17], off
	v_add_co_u32_e32 v14, vcc, s10, v4
	v_addc_co_u32_e32 v15, vcc, v8, v5, vcc
	v_add_co_u32_e32 v16, vcc, s12, v2
	v_addc_co_u32_e32 v17, vcc, v10, v3, vcc
	;; [unrolled: 2-line block ×5, first 2 shown]
	v_cmp_le_i64_e32 vcc, s[2:3], v[0:1]
	s_or_b64 s[16:17], vcc, s[16:17]
	s_waitcnt vmcnt(1)
	v_add_co_u32_e32 v18, vcc, s18, v18
	v_addc_co_u32_e32 v19, vcc, v7, v19, vcc
	s_waitcnt vmcnt(0)
	global_store_dword v[16:17], v20, off
	global_store_dwordx2 v[14:15], v[18:19], off
	s_andn2_b64 exec, exec, s[16:17]
	s_cbranch_execnz .LBB26_8
.LBB26_9:
	s_endpgm
	.section	.rodata,"a",@progbits
	.p2align	6, 0x0
	.amdhsa_kernel _ZN9rocsparseL35bsr2csr_block_dim_equals_one_kernelILj1024EiilEEvT2_S1_21rocsparse_index_base_PKT0_PKT1_PKS1_S2_PS3_PS6_PS1_
		.amdhsa_group_segment_fixed_size 0
		.amdhsa_private_segment_fixed_size 0
		.amdhsa_kernarg_size 336
		.amdhsa_user_sgpr_count 6
		.amdhsa_user_sgpr_private_segment_buffer 1
		.amdhsa_user_sgpr_dispatch_ptr 0
		.amdhsa_user_sgpr_queue_ptr 0
		.amdhsa_user_sgpr_kernarg_segment_ptr 1
		.amdhsa_user_sgpr_dispatch_id 0
		.amdhsa_user_sgpr_flat_scratch_init 0
		.amdhsa_user_sgpr_kernarg_preload_length 0
		.amdhsa_user_sgpr_kernarg_preload_offset 0
		.amdhsa_user_sgpr_private_segment_size 0
		.amdhsa_uses_dynamic_stack 0
		.amdhsa_system_sgpr_private_segment_wavefront_offset 0
		.amdhsa_system_sgpr_workgroup_id_x 1
		.amdhsa_system_sgpr_workgroup_id_y 0
		.amdhsa_system_sgpr_workgroup_id_z 0
		.amdhsa_system_sgpr_workgroup_info 0
		.amdhsa_system_vgpr_workitem_id 0
		.amdhsa_next_free_vgpr 21
		.amdhsa_next_free_sgpr 24
		.amdhsa_accum_offset 24
		.amdhsa_reserve_vcc 1
		.amdhsa_reserve_flat_scratch 0
		.amdhsa_float_round_mode_32 0
		.amdhsa_float_round_mode_16_64 0
		.amdhsa_float_denorm_mode_32 3
		.amdhsa_float_denorm_mode_16_64 3
		.amdhsa_dx10_clamp 1
		.amdhsa_ieee_mode 1
		.amdhsa_fp16_overflow 0
		.amdhsa_tg_split 0
		.amdhsa_exception_fp_ieee_invalid_op 0
		.amdhsa_exception_fp_denorm_src 0
		.amdhsa_exception_fp_ieee_div_zero 0
		.amdhsa_exception_fp_ieee_overflow 0
		.amdhsa_exception_fp_ieee_underflow 0
		.amdhsa_exception_fp_ieee_inexact 0
		.amdhsa_exception_int_div_zero 0
	.end_amdhsa_kernel
	.section	.text._ZN9rocsparseL35bsr2csr_block_dim_equals_one_kernelILj1024EiilEEvT2_S1_21rocsparse_index_base_PKT0_PKT1_PKS1_S2_PS3_PS6_PS1_,"axG",@progbits,_ZN9rocsparseL35bsr2csr_block_dim_equals_one_kernelILj1024EiilEEvT2_S1_21rocsparse_index_base_PKT0_PKT1_PKS1_S2_PS3_PS6_PS1_,comdat
.Lfunc_end26:
	.size	_ZN9rocsparseL35bsr2csr_block_dim_equals_one_kernelILj1024EiilEEvT2_S1_21rocsparse_index_base_PKT0_PKT1_PKS1_S2_PS3_PS6_PS1_, .Lfunc_end26-_ZN9rocsparseL35bsr2csr_block_dim_equals_one_kernelILj1024EiilEEvT2_S1_21rocsparse_index_base_PKT0_PKT1_PKS1_S2_PS3_PS6_PS1_
                                        ; -- End function
	.section	.AMDGPU.csdata,"",@progbits
; Kernel info:
; codeLenInByte = 496
; NumSgprs: 28
; NumVgprs: 21
; NumAgprs: 0
; TotalNumVgprs: 21
; ScratchSize: 0
; MemoryBound: 0
; FloatMode: 240
; IeeeMode: 1
; LDSByteSize: 0 bytes/workgroup (compile time only)
; SGPRBlocks: 3
; VGPRBlocks: 2
; NumSGPRsForWavesPerEU: 28
; NumVGPRsForWavesPerEU: 21
; AccumOffset: 24
; Occupancy: 8
; WaveLimiterHint : 0
; COMPUTE_PGM_RSRC2:SCRATCH_EN: 0
; COMPUTE_PGM_RSRC2:USER_SGPR: 6
; COMPUTE_PGM_RSRC2:TRAP_HANDLER: 0
; COMPUTE_PGM_RSRC2:TGID_X_EN: 1
; COMPUTE_PGM_RSRC2:TGID_Y_EN: 0
; COMPUTE_PGM_RSRC2:TGID_Z_EN: 0
; COMPUTE_PGM_RSRC2:TIDIG_COMP_CNT: 0
; COMPUTE_PGM_RSRC3_GFX90A:ACCUM_OFFSET: 5
; COMPUTE_PGM_RSRC3_GFX90A:TG_SPLIT: 0
	.section	.text._ZN9rocsparseL32bsr2csr_block_per_row_2_7_kernelILj256ELj2EiilEEv20rocsparse_direction_T3_S2_21rocsparse_index_base_PKT1_PKT2_PKS2_S2_S3_PS4_PS7_PS2_,"axG",@progbits,_ZN9rocsparseL32bsr2csr_block_per_row_2_7_kernelILj256ELj2EiilEEv20rocsparse_direction_T3_S2_21rocsparse_index_base_PKT1_PKT2_PKS2_S2_S3_PS4_PS7_PS2_,comdat
	.globl	_ZN9rocsparseL32bsr2csr_block_per_row_2_7_kernelILj256ELj2EiilEEv20rocsparse_direction_T3_S2_21rocsparse_index_base_PKT1_PKT2_PKS2_S2_S3_PS4_PS7_PS2_ ; -- Begin function _ZN9rocsparseL32bsr2csr_block_per_row_2_7_kernelILj256ELj2EiilEEv20rocsparse_direction_T3_S2_21rocsparse_index_base_PKT1_PKT2_PKS2_S2_S3_PS4_PS7_PS2_
	.p2align	8
	.type	_ZN9rocsparseL32bsr2csr_block_per_row_2_7_kernelILj256ELj2EiilEEv20rocsparse_direction_T3_S2_21rocsparse_index_base_PKT1_PKT2_PKS2_S2_S3_PS4_PS7_PS2_,@function
_ZN9rocsparseL32bsr2csr_block_per_row_2_7_kernelILj256ELj2EiilEEv20rocsparse_direction_T3_S2_21rocsparse_index_base_PKT1_PKT2_PKS2_S2_S3_PS4_PS7_PS2_: ; @_ZN9rocsparseL32bsr2csr_block_per_row_2_7_kernelILj256ELj2EiilEEv20rocsparse_direction_T3_S2_21rocsparse_index_base_PKT1_PKT2_PKS2_S2_S3_PS4_PS7_PS2_
; %bb.0:
	s_load_dwordx2 s[0:1], s[4:5], 0x28
	s_load_dword s12, s[4:5], 0x40
	s_load_dwordx2 s[2:3], s[4:5], 0x50
	s_mov_b32 s7, 0
	s_lshl_b64 s[8:9], s[6:7], 2
	s_waitcnt lgkmcnt(0)
	s_add_u32 s0, s0, s8
	s_addc_u32 s1, s1, s9
	s_load_dwordx2 s[0:1], s[0:1], 0x0
	v_or_b32_e32 v1, s6, v0
	v_cmp_eq_u32_e32 vcc, 0, v1
	s_and_saveexec_b64 s[8:9], vcc
	s_cbranch_execz .LBB27_2
; %bb.1:
	v_mov_b32_e32 v1, 0
	v_mov_b32_e32 v2, s12
	global_store_dword v1, v2, s[2:3]
.LBB27_2:
	s_or_b64 exec, exec, s[8:9]
	s_load_dword s13, s[4:5], 0x18
	v_and_b32_e32 v10, 1, v0
	s_lshl_b64 s[6:7], s[6:7], 3
	v_lshl_or_b32 v3, v10, 2, s6
	v_mov_b32_e32 v5, s7
	s_waitcnt lgkmcnt(0)
	s_sub_i32 s8, s0, s13
	s_sub_i32 s14, s1, s13
	s_sub_i32 s9, s14, s8
	s_lshl_b32 s9, s9, 1
	s_lshl_b32 s1, s8, 2
	v_mul_lo_u32 v2, s9, v10
	s_add_i32 s9, s9, s12
	s_add_i32 s9, s9, s1
	v_mov_b32_e32 v6, s3
	v_add_co_u32_e32 v4, vcc, s2, v3
	v_lshrrev_b32_e32 v1, 1, v0
	v_add_u32_e32 v0, s9, v2
	v_addc_co_u32_e32 v5, vcc, v6, v5, vcc
	global_store_dword v[4:5], v0, off offset:4
	v_add_u32_e32 v0, s8, v1
	v_cmp_gt_i32_e32 vcc, s14, v0
	s_and_saveexec_b64 s[2:3], vcc
	s_cbranch_execz .LBB27_5
; %bb.3:
	s_load_dwordx2 s[2:3], s[4:5], 0x30
	s_load_dwordx2 s[6:7], s[4:5], 0x48
	;; [unrolled: 1-line block ×3, first 2 shown]
	s_load_dword s1, s[4:5], 0x0
	s_load_dwordx2 s[10:11], s[4:5], 0x58
	v_lshlrev_b32_e32 v1, 1, v1
	v_mov_b32_e32 v3, 0
	s_mov_b32 s17, 0
	s_waitcnt lgkmcnt(0)
	s_cmp_eq_u32 s1, 0
	s_cselect_b64 vcc, -1, 0
	s_add_u32 s15, s8, 4
	s_addc_u32 s1, s9, 0
	s_add_u32 s16, s8, 8
	s_addc_u32 s19, s9, 0
	s_lshl_b32 s0, s0, 2
	v_add3_u32 v1, v2, s0, v1
	s_lshl_b32 s0, s13, 2
	v_lshlrev_b32_e32 v4, 1, v10
	v_mov_b32_e32 v5, v3
	v_subrev_u32_e32 v6, s0, v1
	v_lshlrev_b32_e32 v11, 2, v0
	s_mov_b64 s[4:5], 0
	v_mov_b32_e32 v12, s3
	v_mov_b32_e32 v13, s17
	;; [unrolled: 1-line block ×9, first 2 shown]
.LBB27_4:                               ; =>This Inner Loop Header: Depth=1
	v_ashrrev_i32_e32 v1, 31, v0
	v_lshlrev_b64 v[22:23], 3, v[0:1]
	v_add_u32_e32 v2, v10, v11
	v_or_b32_e32 v20, v4, v11
	v_mov_b32_e32 v21, v5
	v_add_co_u32_e64 v22, s[0:1], s2, v22
	v_cndmask_b32_e32 v8, v2, v20, vcc
	v_lshlrev_b64 v[20:21], 2, v[20:21]
	v_addc_co_u32_e64 v23, s[0:1], v12, v23, s[0:1]
	v_add_co_u32_e64 v1, s[0:1], s15, v20
	v_lshlrev_b64 v[24:25], 2, v[2:3]
	v_addc_co_u32_e64 v2, s[0:1], v18, v21, s[0:1]
	global_load_dwordx2 v[20:21], v[22:23], off
	v_add_co_u32_e64 v7, s[0:1], s16, v24
	v_lshlrev_b64 v[26:27], 2, v[8:9]
	v_addc_co_u32_e64 v8, s[0:1], v19, v25, s[0:1]
	v_add_co_u32_e64 v22, s[0:1], s8, v26
	v_addc_co_u32_e64 v23, s[0:1], v16, v27, s[0:1]
	v_cndmask_b32_e32 v25, v8, v2, vcc
	v_cndmask_b32_e32 v24, v7, v1, vcc
	global_load_dword v26, v[22:23], off
	global_load_dword v27, v[24:25], off
	v_ashrrev_i32_e32 v7, 31, v6
	v_lshlrev_b64 v[22:23], 3, v[6:7]
	v_add_co_u32_e64 v28, s[0:1], s10, v22
	v_lshlrev_b64 v[24:25], 2, v[6:7]
	v_addc_co_u32_e64 v29, s[0:1], v15, v23, s[0:1]
	v_add_co_u32_e64 v22, s[0:1], s6, v24
	v_add_u32_e32 v0, 0x80, v0
	v_addc_co_u32_e64 v23, s[0:1], v17, v25, s[0:1]
	v_cmp_le_i32_e64 s[0:1], s14, v0
	s_or_b64 s[4:5], s[0:1], s[4:5]
	v_add_u32_e32 v11, 0x200, v11
	v_add_u32_e32 v6, 0x100, v6
	s_waitcnt vmcnt(2)
	v_subrev_co_u32_e64 v20, s[0:1], s13, v20
	v_subb_co_u32_e64 v21, s[0:1], v21, v13, s[0:1]
	v_lshlrev_b64 v[20:21], 1, v[20:21]
	v_add_co_u32_e64 v20, s[0:1], s12, v20
	v_addc_co_u32_e64 v21, s[0:1], v21, v14, s[0:1]
	s_waitcnt vmcnt(0)
	global_store_dwordx2 v[22:23], v[26:27], off
	v_add_co_u32_e64 v22, s[0:1], 1, v20
	v_addc_co_u32_e64 v23, s[0:1], 0, v21, s[0:1]
	global_store_dwordx4 v[28:29], v[20:23], off
	s_andn2_b64 exec, exec, s[4:5]
	s_cbranch_execnz .LBB27_4
.LBB27_5:
	s_endpgm
	.section	.rodata,"a",@progbits
	.p2align	6, 0x0
	.amdhsa_kernel _ZN9rocsparseL32bsr2csr_block_per_row_2_7_kernelILj256ELj2EiilEEv20rocsparse_direction_T3_S2_21rocsparse_index_base_PKT1_PKT2_PKS2_S2_S3_PS4_PS7_PS2_
		.amdhsa_group_segment_fixed_size 0
		.amdhsa_private_segment_fixed_size 0
		.amdhsa_kernarg_size 96
		.amdhsa_user_sgpr_count 6
		.amdhsa_user_sgpr_private_segment_buffer 1
		.amdhsa_user_sgpr_dispatch_ptr 0
		.amdhsa_user_sgpr_queue_ptr 0
		.amdhsa_user_sgpr_kernarg_segment_ptr 1
		.amdhsa_user_sgpr_dispatch_id 0
		.amdhsa_user_sgpr_flat_scratch_init 0
		.amdhsa_user_sgpr_kernarg_preload_length 0
		.amdhsa_user_sgpr_kernarg_preload_offset 0
		.amdhsa_user_sgpr_private_segment_size 0
		.amdhsa_uses_dynamic_stack 0
		.amdhsa_system_sgpr_private_segment_wavefront_offset 0
		.amdhsa_system_sgpr_workgroup_id_x 1
		.amdhsa_system_sgpr_workgroup_id_y 0
		.amdhsa_system_sgpr_workgroup_id_z 0
		.amdhsa_system_sgpr_workgroup_info 0
		.amdhsa_system_vgpr_workitem_id 0
		.amdhsa_next_free_vgpr 30
		.amdhsa_next_free_sgpr 20
		.amdhsa_accum_offset 32
		.amdhsa_reserve_vcc 1
		.amdhsa_reserve_flat_scratch 0
		.amdhsa_float_round_mode_32 0
		.amdhsa_float_round_mode_16_64 0
		.amdhsa_float_denorm_mode_32 3
		.amdhsa_float_denorm_mode_16_64 3
		.amdhsa_dx10_clamp 1
		.amdhsa_ieee_mode 1
		.amdhsa_fp16_overflow 0
		.amdhsa_tg_split 0
		.amdhsa_exception_fp_ieee_invalid_op 0
		.amdhsa_exception_fp_denorm_src 0
		.amdhsa_exception_fp_ieee_div_zero 0
		.amdhsa_exception_fp_ieee_overflow 0
		.amdhsa_exception_fp_ieee_underflow 0
		.amdhsa_exception_fp_ieee_inexact 0
		.amdhsa_exception_int_div_zero 0
	.end_amdhsa_kernel
	.section	.text._ZN9rocsparseL32bsr2csr_block_per_row_2_7_kernelILj256ELj2EiilEEv20rocsparse_direction_T3_S2_21rocsparse_index_base_PKT1_PKT2_PKS2_S2_S3_PS4_PS7_PS2_,"axG",@progbits,_ZN9rocsparseL32bsr2csr_block_per_row_2_7_kernelILj256ELj2EiilEEv20rocsparse_direction_T3_S2_21rocsparse_index_base_PKT1_PKT2_PKS2_S2_S3_PS4_PS7_PS2_,comdat
.Lfunc_end27:
	.size	_ZN9rocsparseL32bsr2csr_block_per_row_2_7_kernelILj256ELj2EiilEEv20rocsparse_direction_T3_S2_21rocsparse_index_base_PKT1_PKT2_PKS2_S2_S3_PS4_PS7_PS2_, .Lfunc_end27-_ZN9rocsparseL32bsr2csr_block_per_row_2_7_kernelILj256ELj2EiilEEv20rocsparse_direction_T3_S2_21rocsparse_index_base_PKT1_PKT2_PKS2_S2_S3_PS4_PS7_PS2_
                                        ; -- End function
	.section	.AMDGPU.csdata,"",@progbits
; Kernel info:
; codeLenInByte = 680
; NumSgprs: 24
; NumVgprs: 30
; NumAgprs: 0
; TotalNumVgprs: 30
; ScratchSize: 0
; MemoryBound: 0
; FloatMode: 240
; IeeeMode: 1
; LDSByteSize: 0 bytes/workgroup (compile time only)
; SGPRBlocks: 2
; VGPRBlocks: 3
; NumSGPRsForWavesPerEU: 24
; NumVGPRsForWavesPerEU: 30
; AccumOffset: 32
; Occupancy: 8
; WaveLimiterHint : 0
; COMPUTE_PGM_RSRC2:SCRATCH_EN: 0
; COMPUTE_PGM_RSRC2:USER_SGPR: 6
; COMPUTE_PGM_RSRC2:TRAP_HANDLER: 0
; COMPUTE_PGM_RSRC2:TGID_X_EN: 1
; COMPUTE_PGM_RSRC2:TGID_Y_EN: 0
; COMPUTE_PGM_RSRC2:TGID_Z_EN: 0
; COMPUTE_PGM_RSRC2:TIDIG_COMP_CNT: 0
; COMPUTE_PGM_RSRC3_GFX90A:ACCUM_OFFSET: 7
; COMPUTE_PGM_RSRC3_GFX90A:TG_SPLIT: 0
	.section	.text._ZN9rocsparseL32bsr2csr_block_per_row_2_7_kernelILj256ELj3EiilEEv20rocsparse_direction_T3_S2_21rocsparse_index_base_PKT1_PKT2_PKS2_S2_S3_PS4_PS7_PS2_,"axG",@progbits,_ZN9rocsparseL32bsr2csr_block_per_row_2_7_kernelILj256ELj3EiilEEv20rocsparse_direction_T3_S2_21rocsparse_index_base_PKT1_PKT2_PKS2_S2_S3_PS4_PS7_PS2_,comdat
	.globl	_ZN9rocsparseL32bsr2csr_block_per_row_2_7_kernelILj256ELj3EiilEEv20rocsparse_direction_T3_S2_21rocsparse_index_base_PKT1_PKT2_PKS2_S2_S3_PS4_PS7_PS2_ ; -- Begin function _ZN9rocsparseL32bsr2csr_block_per_row_2_7_kernelILj256ELj3EiilEEv20rocsparse_direction_T3_S2_21rocsparse_index_base_PKT1_PKT2_PKS2_S2_S3_PS4_PS7_PS2_
	.p2align	8
	.type	_ZN9rocsparseL32bsr2csr_block_per_row_2_7_kernelILj256ELj3EiilEEv20rocsparse_direction_T3_S2_21rocsparse_index_base_PKT1_PKT2_PKS2_S2_S3_PS4_PS7_PS2_,@function
_ZN9rocsparseL32bsr2csr_block_per_row_2_7_kernelILj256ELj3EiilEEv20rocsparse_direction_T3_S2_21rocsparse_index_base_PKT1_PKT2_PKS2_S2_S3_PS4_PS7_PS2_: ; @_ZN9rocsparseL32bsr2csr_block_per_row_2_7_kernelILj256ELj3EiilEEv20rocsparse_direction_T3_S2_21rocsparse_index_base_PKT1_PKT2_PKS2_S2_S3_PS4_PS7_PS2_
; %bb.0:
	s_load_dwordx2 s[2:3], s[4:5], 0x28
	s_load_dword s8, s[4:5], 0x40
	s_load_dwordx2 s[0:1], s[4:5], 0x50
	s_mov_b32 s7, 0
	s_lshl_b64 s[10:11], s[6:7], 2
	s_waitcnt lgkmcnt(0)
	s_add_u32 s10, s2, s10
	v_or_b32_e32 v1, s6, v0
	s_addc_u32 s11, s3, s11
	v_cmp_eq_u32_e32 vcc, 0, v1
	s_and_saveexec_b64 s[2:3], vcc
	s_cbranch_execz .LBB28_2
; %bb.1:
	v_mov_b32_e32 v1, 0
	v_mov_b32_e32 v2, s8
	global_store_dword v1, v2, s[0:1]
.LBB28_2:
	s_or_b64 exec, exec, s[2:3]
	v_and_b32_e32 v1, 3, v0
	v_cmp_ne_u32_e32 vcc, 3, v1
	s_and_saveexec_b64 s[2:3], vcc
	s_cbranch_execz .LBB28_6
; %bb.3:
	s_load_dwordx2 s[2:3], s[10:11], 0x0
	s_load_dword s14, s[4:5], 0x18
	v_lshrrev_b32_e32 v4, 2, v0
	v_lshlrev_b32_e32 v2, 2, v1
	s_waitcnt lgkmcnt(0)
	s_sub_i32 s7, s2, s14
	s_sub_i32 s15, s3, s14
	;; [unrolled: 1-line block ×3, first 2 shown]
	s_mul_i32 s9, s9, 3
	s_mul_i32 s3, s7, 9
	v_mul_lo_u32 v5, s9, v1
	s_add_i32 s9, s9, s8
	s_add_i32 s9, s9, s3
	s_mul_hi_u32 s3, s6, 12
	s_mul_i32 s6, s6, 12
	s_add_u32 s0, s0, s6
	v_add_u32_e32 v0, s9, v5
	s_addc_u32 s1, s1, s3
	global_store_dword v2, v0, s[0:1] offset:4
	v_add_u32_e32 v0, s7, v4
	v_cmp_gt_i32_e32 vcc, s15, v0
	s_and_b64 exec, exec, vcc
	s_cbranch_execz .LBB28_6
; %bb.4:
	s_load_dwordx2 s[6:7], s[4:5], 0x30
	s_load_dwordx2 s[10:11], s[4:5], 0x48
	;; [unrolled: 1-line block ×3, first 2 shown]
	s_load_dword s3, s[4:5], 0x0
	s_load_dwordx2 s[12:13], s[4:5], 0x58
	v_lshlrev_b32_e32 v1, 3, v1
	s_mov_b32 s16, 0
	s_waitcnt lgkmcnt(0)
	v_mov_b32_e32 v7, s1
	v_add_co_u32_e64 v6, s[0:1], s0, v2
	v_addc_co_u32_e64 v7, s[0:1], 0, v7, s[0:1]
	v_add_co_u32_e64 v8, s[0:1], v6, v1
	v_addc_co_u32_e64 v9, s[0:1], 0, v7, s[0:1]
	s_mul_i32 s0, s2, 9
	v_mul_u32_u24_e32 v1, 3, v4
	s_cmp_eq_u32 s3, 0
	v_add3_u32 v1, v5, s0, v1
	s_mul_i32 s0, s14, 9
	v_mov_b32_e32 v3, 0
	s_mov_b32 s9, s16
	s_cselect_b64 vcc, -1, 0
	v_lshl_add_u32 v2, v0, 3, v0
	v_subrev_u32_e32 v4, s0, v1
	s_mov_b64 s[4:5], 0
	v_mov_b32_e32 v10, s7
	v_mov_b32_e32 v11, s16
	;; [unrolled: 1-line block ×4, first 2 shown]
.LBB28_5:                               ; =>This Inner Loop Header: Depth=1
	v_ashrrev_i32_e32 v1, 31, v0
	v_lshlrev_b64 v[14:15], 2, v[2:3]
	v_lshlrev_b64 v[16:17], 3, v[0:1]
	v_add_co_u32_e64 v1, s[0:1], v6, v14
	v_addc_co_u32_e64 v5, s[0:1], v7, v15, s[0:1]
	v_add_co_u32_e64 v14, s[0:1], v8, v14
	v_addc_co_u32_e64 v15, s[0:1], v9, v15, s[0:1]
	;; [unrolled: 2-line block ×5, first 2 shown]
	v_add_co_u32_e64 v26, s[0:1], 8, v14
	v_cndmask_b32_e32 v19, v5, v15, vcc
	v_addc_co_u32_e64 v15, s[0:1], 0, v15, s[0:1]
	v_cndmask_b32_e32 v18, v1, v14, vcc
	v_add_co_u32_e64 v1, s[0:1], 24, v1
	v_addc_co_u32_e64 v5, s[0:1], 0, v5, s[0:1]
	global_load_dwordx2 v[20:21], v[16:17], off
	global_load_dword v14, v[18:19], off
	v_cndmask_b32_e32 v19, v25, v23, vcc
	v_cndmask_b32_e32 v18, v24, v22, vcc
	;; [unrolled: 1-line block ×4, first 2 shown]
	global_load_dword v15, v[18:19], off
	global_load_dword v16, v[22:23], off
	v_ashrrev_i32_e32 v5, 31, v4
	v_lshlrev_b64 v[18:19], 3, v[4:5]
	v_add_co_u32_e64 v18, s[0:1], s12, v18
	v_lshlrev_b64 v[22:23], 2, v[4:5]
	v_addc_co_u32_e64 v19, s[0:1], v12, v19, s[0:1]
	v_add_co_u32_e64 v22, s[0:1], s10, v22
	v_add_u32_e32 v0, 64, v0
	v_addc_co_u32_e64 v23, s[0:1], v13, v23, s[0:1]
	v_cmp_le_i32_e64 s[0:1], s15, v0
	s_or_b64 s[4:5], s[0:1], s[4:5]
	v_add_u32_e32 v2, 0x240, v2
	v_add_u32_e32 v4, 0xc0, v4
	s_waitcnt vmcnt(3)
	v_subrev_co_u32_e64 v1, s[0:1], s14, v20
	v_subb_co_u32_e64 v5, s[0:1], v21, v11, s[0:1]
	v_mad_u64_u32 v[20:21], s[0:1], v1, 3, s[8:9]
	s_waitcnt vmcnt(0)
	global_store_dwordx3 v[22:23], v[14:16], off
	s_nop 0
	v_mov_b32_e32 v16, v21
	v_mad_u64_u32 v[16:17], s[0:1], v5, 3, v[16:17]
	v_mov_b32_e32 v1, v16
	v_mov_b32_e32 v15, v16
	v_add_co_u32_e64 v16, s[2:3], 1, v20
	v_mov_b32_e32 v14, v20
	v_add_co_u32_e64 v22, s[0:1], 2, v20
	v_addc_co_u32_e64 v17, s[2:3], 0, v1, s[2:3]
	v_addc_co_u32_e64 v23, s[0:1], 0, v1, s[0:1]
	global_store_dwordx4 v[18:19], v[14:17], off
	global_store_dwordx2 v[18:19], v[22:23], off offset:16
	s_andn2_b64 exec, exec, s[4:5]
	s_cbranch_execnz .LBB28_5
.LBB28_6:
	s_endpgm
	.section	.rodata,"a",@progbits
	.p2align	6, 0x0
	.amdhsa_kernel _ZN9rocsparseL32bsr2csr_block_per_row_2_7_kernelILj256ELj3EiilEEv20rocsparse_direction_T3_S2_21rocsparse_index_base_PKT1_PKT2_PKS2_S2_S3_PS4_PS7_PS2_
		.amdhsa_group_segment_fixed_size 0
		.amdhsa_private_segment_fixed_size 0
		.amdhsa_kernarg_size 96
		.amdhsa_user_sgpr_count 6
		.amdhsa_user_sgpr_private_segment_buffer 1
		.amdhsa_user_sgpr_dispatch_ptr 0
		.amdhsa_user_sgpr_queue_ptr 0
		.amdhsa_user_sgpr_kernarg_segment_ptr 1
		.amdhsa_user_sgpr_dispatch_id 0
		.amdhsa_user_sgpr_flat_scratch_init 0
		.amdhsa_user_sgpr_kernarg_preload_length 0
		.amdhsa_user_sgpr_kernarg_preload_offset 0
		.amdhsa_user_sgpr_private_segment_size 0
		.amdhsa_uses_dynamic_stack 0
		.amdhsa_system_sgpr_private_segment_wavefront_offset 0
		.amdhsa_system_sgpr_workgroup_id_x 1
		.amdhsa_system_sgpr_workgroup_id_y 0
		.amdhsa_system_sgpr_workgroup_id_z 0
		.amdhsa_system_sgpr_workgroup_info 0
		.amdhsa_system_vgpr_workitem_id 0
		.amdhsa_next_free_vgpr 27
		.amdhsa_next_free_sgpr 17
		.amdhsa_accum_offset 28
		.amdhsa_reserve_vcc 1
		.amdhsa_reserve_flat_scratch 0
		.amdhsa_float_round_mode_32 0
		.amdhsa_float_round_mode_16_64 0
		.amdhsa_float_denorm_mode_32 3
		.amdhsa_float_denorm_mode_16_64 3
		.amdhsa_dx10_clamp 1
		.amdhsa_ieee_mode 1
		.amdhsa_fp16_overflow 0
		.amdhsa_tg_split 0
		.amdhsa_exception_fp_ieee_invalid_op 0
		.amdhsa_exception_fp_denorm_src 0
		.amdhsa_exception_fp_ieee_div_zero 0
		.amdhsa_exception_fp_ieee_overflow 0
		.amdhsa_exception_fp_ieee_underflow 0
		.amdhsa_exception_fp_ieee_inexact 0
		.amdhsa_exception_int_div_zero 0
	.end_amdhsa_kernel
	.section	.text._ZN9rocsparseL32bsr2csr_block_per_row_2_7_kernelILj256ELj3EiilEEv20rocsparse_direction_T3_S2_21rocsparse_index_base_PKT1_PKT2_PKS2_S2_S3_PS4_PS7_PS2_,"axG",@progbits,_ZN9rocsparseL32bsr2csr_block_per_row_2_7_kernelILj256ELj3EiilEEv20rocsparse_direction_T3_S2_21rocsparse_index_base_PKT1_PKT2_PKS2_S2_S3_PS4_PS7_PS2_,comdat
.Lfunc_end28:
	.size	_ZN9rocsparseL32bsr2csr_block_per_row_2_7_kernelILj256ELj3EiilEEv20rocsparse_direction_T3_S2_21rocsparse_index_base_PKT1_PKT2_PKS2_S2_S3_PS4_PS7_PS2_, .Lfunc_end28-_ZN9rocsparseL32bsr2csr_block_per_row_2_7_kernelILj256ELj3EiilEEv20rocsparse_direction_T3_S2_21rocsparse_index_base_PKT1_PKT2_PKS2_S2_S3_PS4_PS7_PS2_
                                        ; -- End function
	.section	.AMDGPU.csdata,"",@progbits
; Kernel info:
; codeLenInByte = 760
; NumSgprs: 21
; NumVgprs: 27
; NumAgprs: 0
; TotalNumVgprs: 27
; ScratchSize: 0
; MemoryBound: 0
; FloatMode: 240
; IeeeMode: 1
; LDSByteSize: 0 bytes/workgroup (compile time only)
; SGPRBlocks: 2
; VGPRBlocks: 3
; NumSGPRsForWavesPerEU: 21
; NumVGPRsForWavesPerEU: 27
; AccumOffset: 28
; Occupancy: 8
; WaveLimiterHint : 0
; COMPUTE_PGM_RSRC2:SCRATCH_EN: 0
; COMPUTE_PGM_RSRC2:USER_SGPR: 6
; COMPUTE_PGM_RSRC2:TRAP_HANDLER: 0
; COMPUTE_PGM_RSRC2:TGID_X_EN: 1
; COMPUTE_PGM_RSRC2:TGID_Y_EN: 0
; COMPUTE_PGM_RSRC2:TGID_Z_EN: 0
; COMPUTE_PGM_RSRC2:TIDIG_COMP_CNT: 0
; COMPUTE_PGM_RSRC3_GFX90A:ACCUM_OFFSET: 6
; COMPUTE_PGM_RSRC3_GFX90A:TG_SPLIT: 0
	.section	.text._ZN9rocsparseL32bsr2csr_block_per_row_2_7_kernelILj256ELj4EiilEEv20rocsparse_direction_T3_S2_21rocsparse_index_base_PKT1_PKT2_PKS2_S2_S3_PS4_PS7_PS2_,"axG",@progbits,_ZN9rocsparseL32bsr2csr_block_per_row_2_7_kernelILj256ELj4EiilEEv20rocsparse_direction_T3_S2_21rocsparse_index_base_PKT1_PKT2_PKS2_S2_S3_PS4_PS7_PS2_,comdat
	.globl	_ZN9rocsparseL32bsr2csr_block_per_row_2_7_kernelILj256ELj4EiilEEv20rocsparse_direction_T3_S2_21rocsparse_index_base_PKT1_PKT2_PKS2_S2_S3_PS4_PS7_PS2_ ; -- Begin function _ZN9rocsparseL32bsr2csr_block_per_row_2_7_kernelILj256ELj4EiilEEv20rocsparse_direction_T3_S2_21rocsparse_index_base_PKT1_PKT2_PKS2_S2_S3_PS4_PS7_PS2_
	.p2align	8
	.type	_ZN9rocsparseL32bsr2csr_block_per_row_2_7_kernelILj256ELj4EiilEEv20rocsparse_direction_T3_S2_21rocsparse_index_base_PKT1_PKT2_PKS2_S2_S3_PS4_PS7_PS2_,@function
_ZN9rocsparseL32bsr2csr_block_per_row_2_7_kernelILj256ELj4EiilEEv20rocsparse_direction_T3_S2_21rocsparse_index_base_PKT1_PKT2_PKS2_S2_S3_PS4_PS7_PS2_: ; @_ZN9rocsparseL32bsr2csr_block_per_row_2_7_kernelILj256ELj4EiilEEv20rocsparse_direction_T3_S2_21rocsparse_index_base_PKT1_PKT2_PKS2_S2_S3_PS4_PS7_PS2_
; %bb.0:
	s_load_dwordx2 s[0:1], s[4:5], 0x28
	s_load_dword s12, s[4:5], 0x40
	s_load_dwordx2 s[2:3], s[4:5], 0x50
	s_mov_b32 s7, 0
	s_lshl_b64 s[8:9], s[6:7], 2
	s_waitcnt lgkmcnt(0)
	s_add_u32 s0, s0, s8
	s_addc_u32 s1, s1, s9
	s_load_dwordx2 s[0:1], s[0:1], 0x0
	v_or_b32_e32 v1, s6, v0
	v_cmp_eq_u32_e32 vcc, 0, v1
	s_and_saveexec_b64 s[8:9], vcc
	s_cbranch_execz .LBB29_2
; %bb.1:
	v_mov_b32_e32 v1, 0
	v_mov_b32_e32 v2, s12
	global_store_dword v1, v2, s[2:3]
.LBB29_2:
	s_or_b64 exec, exec, s[8:9]
	s_load_dword s13, s[4:5], 0x18
	v_and_b32_e32 v10, 3, v0
	s_lshl_b64 s[6:7], s[6:7], 4
	v_lshl_or_b32 v3, v10, 2, s6
	v_mov_b32_e32 v5, s7
	s_waitcnt lgkmcnt(0)
	s_sub_i32 s8, s0, s13
	s_sub_i32 s14, s1, s13
	;; [unrolled: 1-line block ×3, first 2 shown]
	s_lshl_b32 s9, s9, 2
	s_lshl_b32 s1, s8, 4
	v_mul_lo_u32 v2, s9, v10
	s_add_i32 s9, s9, s12
	s_add_i32 s9, s9, s1
	v_mov_b32_e32 v6, s3
	v_add_co_u32_e32 v4, vcc, s2, v3
	v_lshrrev_b32_e32 v1, 2, v0
	v_add_u32_e32 v0, s9, v2
	v_addc_co_u32_e32 v5, vcc, v6, v5, vcc
	global_store_dword v[4:5], v0, off offset:4
	v_add_u32_e32 v0, s8, v1
	v_cmp_gt_i32_e32 vcc, s14, v0
	s_and_saveexec_b64 s[2:3], vcc
	s_cbranch_execz .LBB29_5
; %bb.3:
	s_load_dwordx2 s[2:3], s[4:5], 0x30
	s_load_dwordx2 s[6:7], s[4:5], 0x48
	;; [unrolled: 1-line block ×3, first 2 shown]
	s_load_dword s1, s[4:5], 0x0
	s_load_dwordx2 s[10:11], s[4:5], 0x58
	v_lshlrev_b32_e32 v1, 2, v1
	v_mov_b32_e32 v3, 0
	s_mov_b32 s15, 0
	s_waitcnt lgkmcnt(0)
	s_cmp_eq_u32 s1, 0
	s_cselect_b64 vcc, -1, 0
	s_lshl_b32 s0, s0, 4
	v_add3_u32 v1, v2, s0, v1
	s_lshl_b32 s0, s13, 4
	v_lshlrev_b32_e32 v4, 2, v10
	v_mov_b32_e32 v5, v3
	v_subrev_u32_e32 v6, s0, v1
	v_lshlrev_b32_e32 v11, 4, v0
	s_mov_b64 s[4:5], 0
	v_mov_b32_e32 v12, s3
	v_mov_b32_e32 v13, s15
	;; [unrolled: 1-line block ×7, first 2 shown]
.LBB29_4:                               ; =>This Inner Loop Header: Depth=1
	v_ashrrev_i32_e32 v1, 31, v0
	v_lshlrev_b64 v[20:21], 3, v[0:1]
	v_add_u32_e32 v2, v10, v11
	v_or_b32_e32 v18, v4, v11
	v_mov_b32_e32 v19, v5
	v_add_co_u32_e64 v20, s[0:1], s2, v20
	v_cndmask_b32_e32 v8, v2, v18, vcc
	v_lshlrev_b64 v[18:19], 2, v[18:19]
	v_addc_co_u32_e64 v21, s[0:1], v12, v21, s[0:1]
	v_add_co_u32_e64 v1, s[0:1], s8, v18
	v_lshlrev_b64 v[22:23], 2, v[2:3]
	v_addc_co_u32_e64 v2, s[0:1], v16, v19, s[0:1]
	v_add_co_u32_e64 v7, s[0:1], s8, v22
	;; [unrolled: 3-line block ×3, first 2 shown]
	v_addc_co_u32_e64 v19, s[0:1], v16, v25, s[0:1]
	global_load_dwordx2 v[22:23], v[20:21], off
	v_add_co_u32_e64 v20, s[0:1], 4, v1
	v_addc_co_u32_e64 v21, s[0:1], 0, v2, s[0:1]
	v_add_co_u32_e64 v24, s[0:1], 16, v7
	v_addc_co_u32_e64 v25, s[0:1], 0, v8, s[0:1]
	;; [unrolled: 2-line block ×6, first 2 shown]
	v_cndmask_b32_e32 v25, v25, v21, vcc
	v_cndmask_b32_e32 v24, v24, v20, vcc
	global_load_dword v18, v[18:19], off
	v_cndmask_b32_e32 v27, v29, v27, vcc
	v_cndmask_b32_e32 v26, v28, v26, vcc
	;; [unrolled: 1-line block ×4, first 2 shown]
	global_load_dword v19, v[24:25], off
	global_load_dword v20, v[26:27], off
	;; [unrolled: 1-line block ×3, first 2 shown]
	v_ashrrev_i32_e32 v7, 31, v6
	v_lshlrev_b64 v[24:25], 3, v[6:7]
	v_add_co_u32_e64 v28, s[0:1], s10, v24
	v_lshlrev_b64 v[26:27], 2, v[6:7]
	v_addc_co_u32_e64 v29, s[0:1], v15, v25, s[0:1]
	v_add_co_u32_e64 v24, s[0:1], s6, v26
	v_add_u32_e32 v0, 64, v0
	v_addc_co_u32_e64 v25, s[0:1], v17, v27, s[0:1]
	v_cmp_le_i32_e64 s[0:1], s14, v0
	s_or_b64 s[4:5], s[0:1], s[4:5]
	v_add_u32_e32 v11, 0x400, v11
	v_add_u32_e32 v6, 0x100, v6
	s_waitcnt vmcnt(4)
	v_subrev_co_u32_e64 v22, s[0:1], s13, v22
	v_subb_co_u32_e64 v23, s[0:1], v23, v13, s[0:1]
	v_lshlrev_b64 v[22:23], 2, v[22:23]
	v_add_co_u32_e64 v22, s[0:1], s12, v22
	v_addc_co_u32_e64 v23, s[0:1], v23, v14, s[0:1]
	s_waitcnt vmcnt(0)
	global_store_dwordx4 v[24:25], v[18:21], off
	v_add_co_u32_e64 v24, s[0:1], 1, v22
	v_addc_co_u32_e64 v25, s[0:1], 0, v23, s[0:1]
	v_add_co_u32_e64 v18, s[0:1], 2, v22
	v_addc_co_u32_e64 v19, s[0:1], 0, v23, s[0:1]
	;; [unrolled: 2-line block ×3, first 2 shown]
	global_store_dwordx4 v[28:29], v[22:25], off
	global_store_dwordx4 v[28:29], v[18:21], off offset:16
	s_andn2_b64 exec, exec, s[4:5]
	s_cbranch_execnz .LBB29_4
.LBB29_5:
	s_endpgm
	.section	.rodata,"a",@progbits
	.p2align	6, 0x0
	.amdhsa_kernel _ZN9rocsparseL32bsr2csr_block_per_row_2_7_kernelILj256ELj4EiilEEv20rocsparse_direction_T3_S2_21rocsparse_index_base_PKT1_PKT2_PKS2_S2_S3_PS4_PS7_PS2_
		.amdhsa_group_segment_fixed_size 0
		.amdhsa_private_segment_fixed_size 0
		.amdhsa_kernarg_size 96
		.amdhsa_user_sgpr_count 6
		.amdhsa_user_sgpr_private_segment_buffer 1
		.amdhsa_user_sgpr_dispatch_ptr 0
		.amdhsa_user_sgpr_queue_ptr 0
		.amdhsa_user_sgpr_kernarg_segment_ptr 1
		.amdhsa_user_sgpr_dispatch_id 0
		.amdhsa_user_sgpr_flat_scratch_init 0
		.amdhsa_user_sgpr_kernarg_preload_length 0
		.amdhsa_user_sgpr_kernarg_preload_offset 0
		.amdhsa_user_sgpr_private_segment_size 0
		.amdhsa_uses_dynamic_stack 0
		.amdhsa_system_sgpr_private_segment_wavefront_offset 0
		.amdhsa_system_sgpr_workgroup_id_x 1
		.amdhsa_system_sgpr_workgroup_id_y 0
		.amdhsa_system_sgpr_workgroup_id_z 0
		.amdhsa_system_sgpr_workgroup_info 0
		.amdhsa_system_vgpr_workitem_id 0
		.amdhsa_next_free_vgpr 30
		.amdhsa_next_free_sgpr 16
		.amdhsa_accum_offset 32
		.amdhsa_reserve_vcc 1
		.amdhsa_reserve_flat_scratch 0
		.amdhsa_float_round_mode_32 0
		.amdhsa_float_round_mode_16_64 0
		.amdhsa_float_denorm_mode_32 3
		.amdhsa_float_denorm_mode_16_64 3
		.amdhsa_dx10_clamp 1
		.amdhsa_ieee_mode 1
		.amdhsa_fp16_overflow 0
		.amdhsa_tg_split 0
		.amdhsa_exception_fp_ieee_invalid_op 0
		.amdhsa_exception_fp_denorm_src 0
		.amdhsa_exception_fp_ieee_div_zero 0
		.amdhsa_exception_fp_ieee_overflow 0
		.amdhsa_exception_fp_ieee_underflow 0
		.amdhsa_exception_fp_ieee_inexact 0
		.amdhsa_exception_int_div_zero 0
	.end_amdhsa_kernel
	.section	.text._ZN9rocsparseL32bsr2csr_block_per_row_2_7_kernelILj256ELj4EiilEEv20rocsparse_direction_T3_S2_21rocsparse_index_base_PKT1_PKT2_PKS2_S2_S3_PS4_PS7_PS2_,"axG",@progbits,_ZN9rocsparseL32bsr2csr_block_per_row_2_7_kernelILj256ELj4EiilEEv20rocsparse_direction_T3_S2_21rocsparse_index_base_PKT1_PKT2_PKS2_S2_S3_PS4_PS7_PS2_,comdat
.Lfunc_end29:
	.size	_ZN9rocsparseL32bsr2csr_block_per_row_2_7_kernelILj256ELj4EiilEEv20rocsparse_direction_T3_S2_21rocsparse_index_base_PKT1_PKT2_PKS2_S2_S3_PS4_PS7_PS2_, .Lfunc_end29-_ZN9rocsparseL32bsr2csr_block_per_row_2_7_kernelILj256ELj4EiilEEv20rocsparse_direction_T3_S2_21rocsparse_index_base_PKT1_PKT2_PKS2_S2_S3_PS4_PS7_PS2_
                                        ; -- End function
	.section	.AMDGPU.csdata,"",@progbits
; Kernel info:
; codeLenInByte = 820
; NumSgprs: 20
; NumVgprs: 30
; NumAgprs: 0
; TotalNumVgprs: 30
; ScratchSize: 0
; MemoryBound: 0
; FloatMode: 240
; IeeeMode: 1
; LDSByteSize: 0 bytes/workgroup (compile time only)
; SGPRBlocks: 2
; VGPRBlocks: 3
; NumSGPRsForWavesPerEU: 20
; NumVGPRsForWavesPerEU: 30
; AccumOffset: 32
; Occupancy: 8
; WaveLimiterHint : 0
; COMPUTE_PGM_RSRC2:SCRATCH_EN: 0
; COMPUTE_PGM_RSRC2:USER_SGPR: 6
; COMPUTE_PGM_RSRC2:TRAP_HANDLER: 0
; COMPUTE_PGM_RSRC2:TGID_X_EN: 1
; COMPUTE_PGM_RSRC2:TGID_Y_EN: 0
; COMPUTE_PGM_RSRC2:TGID_Z_EN: 0
; COMPUTE_PGM_RSRC2:TIDIG_COMP_CNT: 0
; COMPUTE_PGM_RSRC3_GFX90A:ACCUM_OFFSET: 7
; COMPUTE_PGM_RSRC3_GFX90A:TG_SPLIT: 0
	.section	.text._ZN9rocsparseL32bsr2csr_block_per_row_2_7_kernelILj256ELj5EiilEEv20rocsparse_direction_T3_S2_21rocsparse_index_base_PKT1_PKT2_PKS2_S2_S3_PS4_PS7_PS2_,"axG",@progbits,_ZN9rocsparseL32bsr2csr_block_per_row_2_7_kernelILj256ELj5EiilEEv20rocsparse_direction_T3_S2_21rocsparse_index_base_PKT1_PKT2_PKS2_S2_S3_PS4_PS7_PS2_,comdat
	.globl	_ZN9rocsparseL32bsr2csr_block_per_row_2_7_kernelILj256ELj5EiilEEv20rocsparse_direction_T3_S2_21rocsparse_index_base_PKT1_PKT2_PKS2_S2_S3_PS4_PS7_PS2_ ; -- Begin function _ZN9rocsparseL32bsr2csr_block_per_row_2_7_kernelILj256ELj5EiilEEv20rocsparse_direction_T3_S2_21rocsparse_index_base_PKT1_PKT2_PKS2_S2_S3_PS4_PS7_PS2_
	.p2align	8
	.type	_ZN9rocsparseL32bsr2csr_block_per_row_2_7_kernelILj256ELj5EiilEEv20rocsparse_direction_T3_S2_21rocsparse_index_base_PKT1_PKT2_PKS2_S2_S3_PS4_PS7_PS2_,@function
_ZN9rocsparseL32bsr2csr_block_per_row_2_7_kernelILj256ELj5EiilEEv20rocsparse_direction_T3_S2_21rocsparse_index_base_PKT1_PKT2_PKS2_S2_S3_PS4_PS7_PS2_: ; @_ZN9rocsparseL32bsr2csr_block_per_row_2_7_kernelILj256ELj5EiilEEv20rocsparse_direction_T3_S2_21rocsparse_index_base_PKT1_PKT2_PKS2_S2_S3_PS4_PS7_PS2_
; %bb.0:
	s_load_dwordx2 s[2:3], s[4:5], 0x28
	s_load_dword s8, s[4:5], 0x40
	s_load_dwordx2 s[0:1], s[4:5], 0x50
	s_mov_b32 s7, 0
	s_lshl_b64 s[10:11], s[6:7], 2
	s_waitcnt lgkmcnt(0)
	s_add_u32 s10, s2, s10
	v_or_b32_e32 v1, s6, v0
	s_addc_u32 s11, s3, s11
	v_cmp_eq_u32_e32 vcc, 0, v1
	s_and_saveexec_b64 s[2:3], vcc
	s_cbranch_execz .LBB30_2
; %bb.1:
	v_mov_b32_e32 v1, 0
	v_mov_b32_e32 v2, s8
	global_store_dword v1, v2, s[0:1]
.LBB30_2:
	s_or_b64 exec, exec, s[2:3]
	v_and_b32_e32 v1, 7, v0
	v_cmp_gt_u32_e32 vcc, 5, v1
	s_and_saveexec_b64 s[2:3], vcc
	s_cbranch_execz .LBB30_6
; %bb.3:
	s_load_dwordx2 s[2:3], s[10:11], 0x0
	s_load_dword s18, s[4:5], 0x18
	v_lshrrev_b32_e32 v4, 3, v0
	v_lshlrev_b32_e32 v2, 2, v1
	s_waitcnt lgkmcnt(0)
	s_sub_i32 s7, s2, s18
	s_sub_i32 s19, s3, s18
	;; [unrolled: 1-line block ×3, first 2 shown]
	s_mul_i32 s9, s9, 5
	s_mul_i32 s3, s7, 25
	v_mul_lo_u32 v5, s9, v1
	s_add_i32 s9, s9, s8
	s_add_i32 s9, s9, s3
	s_mul_hi_u32 s3, s6, 20
	s_mul_i32 s6, s6, 20
	s_add_u32 s0, s0, s6
	v_add_u32_e32 v0, s9, v5
	s_addc_u32 s1, s1, s3
	global_store_dword v2, v0, s[0:1] offset:4
	v_add_u32_e32 v0, s7, v4
	v_cmp_gt_i32_e32 vcc, s19, v0
	s_and_b64 exec, exec, vcc
	s_cbranch_execz .LBB30_6
; %bb.4:
	s_load_dwordx2 s[10:11], s[4:5], 0x30
	s_load_dwordx2 s[12:13], s[4:5], 0x48
	;; [unrolled: 1-line block ×3, first 2 shown]
	s_load_dword s0, s[4:5], 0x0
	s_load_dwordx2 s[14:15], s[4:5], 0x58
	v_lshlrev_b32_e32 v1, 4, v1
	s_mul_i32 s2, s2, 25
	s_waitcnt lgkmcnt(0)
	v_mov_b32_e32 v7, s7
	v_add_co_u32_e32 v6, vcc, s6, v2
	v_addc_co_u32_e32 v7, vcc, 0, v7, vcc
	v_add_co_u32_e32 v8, vcc, v6, v1
	v_mul_u32_u24_e32 v1, 5, v4
	s_mov_b32 s3, 0
	s_cmp_eq_u32 s0, 0
	v_add3_u32 v1, v5, s2, v1
	s_mul_i32 s2, s18, 25
	v_mov_b32_e32 v3, 0
	s_mov_b32 s9, s3
	s_cselect_b64 s[0:1], -1, 0
	v_addc_co_u32_e32 v9, vcc, 0, v7, vcc
	v_mul_lo_u32 v2, v0, 25
	v_subrev_u32_e32 v4, s2, v1
	s_mov_b64 s[16:17], 0
	v_mov_b32_e32 v10, s11
	v_mov_b32_e32 v11, s3
	v_mov_b32_e32 v12, s15
	v_mov_b32_e32 v13, s13
	s_movk_i32 s11, 0x50
.LBB30_5:                               ; =>This Inner Loop Header: Depth=1
	v_ashrrev_i32_e32 v1, 31, v0
	v_lshlrev_b64 v[14:15], 2, v[2:3]
	v_lshlrev_b64 v[16:17], 3, v[0:1]
	v_add_co_u32_e32 v1, vcc, v6, v14
	v_addc_co_u32_e32 v5, vcc, v7, v15, vcc
	v_add_co_u32_e32 v14, vcc, v8, v14
	v_addc_co_u32_e32 v15, vcc, v9, v15, vcc
	;; [unrolled: 2-line block ×9, first 2 shown]
	v_add_co_u32_e32 v34, vcc, 16, v14
	v_cndmask_b32_e64 v19, v5, v15, s[0:1]
	v_cndmask_b32_e64 v18, v1, v14, s[0:1]
	v_addc_co_u32_e32 v35, vcc, 0, v15, vcc
	v_add_co_u32_e32 v1, vcc, s11, v1
	global_load_dwordx2 v[20:21], v[16:17], off
	global_load_dword v14, v[18:19], off
	v_cndmask_b32_e64 v19, v25, v23, s[0:1]
	v_cndmask_b32_e64 v18, v24, v22, s[0:1]
	v_cndmask_b32_e64 v23, v29, v27, s[0:1]
	v_cndmask_b32_e64 v22, v28, v26, s[0:1]
	v_cndmask_b32_e64 v25, v33, v31, s[0:1]
	v_cndmask_b32_e64 v24, v32, v30, s[0:1]
	v_addc_co_u32_e32 v5, vcc, 0, v5, vcc
	global_load_dword v15, v[18:19], off
	global_load_dword v16, v[22:23], off
	;; [unrolled: 1-line block ×3, first 2 shown]
	v_cndmask_b32_e64 v26, v1, v34, s[0:1]
	v_cndmask_b32_e64 v27, v5, v35, s[0:1]
	global_load_dword v1, v[26:27], off
	v_ashrrev_i32_e32 v5, 31, v4
	v_lshlrev_b64 v[18:19], 3, v[4:5]
	v_add_co_u32_e32 v24, vcc, s14, v18
	v_lshlrev_b64 v[22:23], 2, v[4:5]
	v_addc_co_u32_e32 v25, vcc, v12, v19, vcc
	v_add_co_u32_e32 v18, vcc, s12, v22
	v_add_u32_e32 v0, 32, v0
	v_addc_co_u32_e32 v19, vcc, v13, v23, vcc
	v_cmp_le_i32_e32 vcc, s19, v0
	s_or_b64 s[16:17], vcc, s[16:17]
	v_add_u32_e32 v2, 0x320, v2
	v_add_u32_e32 v4, 0xa0, v4
	s_waitcnt vmcnt(5)
	v_subrev_co_u32_e32 v5, vcc, s18, v20
	v_mad_u64_u32 v[22:23], s[2:3], v5, 5, s[8:9]
	v_subb_co_u32_e32 v20, vcc, v21, v11, vcc
	v_add_co_u32_e64 v26, s[4:5], 4, v22
	s_waitcnt vmcnt(1)
	global_store_dwordx4 v[18:19], v[14:17], off
	s_nop 0
	v_mov_b32_e32 v16, v23
	v_mad_u64_u32 v[16:17], s[2:3], v20, 5, v[16:17]
	s_waitcnt vmcnt(1)
	global_store_dword v[18:19], v1, off offset:16
	v_mov_b32_e32 v1, v16
	v_mov_b32_e32 v15, v16
	v_add_co_u32_e64 v16, s[6:7], 1, v22
	v_mov_b32_e32 v14, v22
	v_add_co_u32_e32 v18, vcc, 2, v22
	v_add_co_u32_e64 v20, s[2:3], 3, v22
	v_addc_co_u32_e64 v17, s[6:7], 0, v1, s[6:7]
	v_addc_co_u32_e32 v19, vcc, 0, v1, vcc
	v_addc_co_u32_e64 v21, vcc, 0, v1, s[2:3]
	v_addc_co_u32_e64 v27, vcc, 0, v1, s[4:5]
	global_store_dwordx4 v[24:25], v[14:17], off
	global_store_dwordx4 v[24:25], v[18:21], off offset:16
	global_store_dwordx2 v[24:25], v[26:27], off offset:32
	s_andn2_b64 exec, exec, s[16:17]
	s_cbranch_execnz .LBB30_5
.LBB30_6:
	s_endpgm
	.section	.rodata,"a",@progbits
	.p2align	6, 0x0
	.amdhsa_kernel _ZN9rocsparseL32bsr2csr_block_per_row_2_7_kernelILj256ELj5EiilEEv20rocsparse_direction_T3_S2_21rocsparse_index_base_PKT1_PKT2_PKS2_S2_S3_PS4_PS7_PS2_
		.amdhsa_group_segment_fixed_size 0
		.amdhsa_private_segment_fixed_size 0
		.amdhsa_kernarg_size 96
		.amdhsa_user_sgpr_count 6
		.amdhsa_user_sgpr_private_segment_buffer 1
		.amdhsa_user_sgpr_dispatch_ptr 0
		.amdhsa_user_sgpr_queue_ptr 0
		.amdhsa_user_sgpr_kernarg_segment_ptr 1
		.amdhsa_user_sgpr_dispatch_id 0
		.amdhsa_user_sgpr_flat_scratch_init 0
		.amdhsa_user_sgpr_kernarg_preload_length 0
		.amdhsa_user_sgpr_kernarg_preload_offset 0
		.amdhsa_user_sgpr_private_segment_size 0
		.amdhsa_uses_dynamic_stack 0
		.amdhsa_system_sgpr_private_segment_wavefront_offset 0
		.amdhsa_system_sgpr_workgroup_id_x 1
		.amdhsa_system_sgpr_workgroup_id_y 0
		.amdhsa_system_sgpr_workgroup_id_z 0
		.amdhsa_system_sgpr_workgroup_info 0
		.amdhsa_system_vgpr_workitem_id 0
		.amdhsa_next_free_vgpr 36
		.amdhsa_next_free_sgpr 20
		.amdhsa_accum_offset 36
		.amdhsa_reserve_vcc 1
		.amdhsa_reserve_flat_scratch 0
		.amdhsa_float_round_mode_32 0
		.amdhsa_float_round_mode_16_64 0
		.amdhsa_float_denorm_mode_32 3
		.amdhsa_float_denorm_mode_16_64 3
		.amdhsa_dx10_clamp 1
		.amdhsa_ieee_mode 1
		.amdhsa_fp16_overflow 0
		.amdhsa_tg_split 0
		.amdhsa_exception_fp_ieee_invalid_op 0
		.amdhsa_exception_fp_denorm_src 0
		.amdhsa_exception_fp_ieee_div_zero 0
		.amdhsa_exception_fp_ieee_overflow 0
		.amdhsa_exception_fp_ieee_underflow 0
		.amdhsa_exception_fp_ieee_inexact 0
		.amdhsa_exception_int_div_zero 0
	.end_amdhsa_kernel
	.section	.text._ZN9rocsparseL32bsr2csr_block_per_row_2_7_kernelILj256ELj5EiilEEv20rocsparse_direction_T3_S2_21rocsparse_index_base_PKT1_PKT2_PKS2_S2_S3_PS4_PS7_PS2_,"axG",@progbits,_ZN9rocsparseL32bsr2csr_block_per_row_2_7_kernelILj256ELj5EiilEEv20rocsparse_direction_T3_S2_21rocsparse_index_base_PKT1_PKT2_PKS2_S2_S3_PS4_PS7_PS2_,comdat
.Lfunc_end30:
	.size	_ZN9rocsparseL32bsr2csr_block_per_row_2_7_kernelILj256ELj5EiilEEv20rocsparse_direction_T3_S2_21rocsparse_index_base_PKT1_PKT2_PKS2_S2_S3_PS4_PS7_PS2_, .Lfunc_end30-_ZN9rocsparseL32bsr2csr_block_per_row_2_7_kernelILj256ELj5EiilEEv20rocsparse_direction_T3_S2_21rocsparse_index_base_PKT1_PKT2_PKS2_S2_S3_PS4_PS7_PS2_
                                        ; -- End function
	.section	.AMDGPU.csdata,"",@progbits
; Kernel info:
; codeLenInByte = 812
; NumSgprs: 24
; NumVgprs: 36
; NumAgprs: 0
; TotalNumVgprs: 36
; ScratchSize: 0
; MemoryBound: 0
; FloatMode: 240
; IeeeMode: 1
; LDSByteSize: 0 bytes/workgroup (compile time only)
; SGPRBlocks: 2
; VGPRBlocks: 4
; NumSGPRsForWavesPerEU: 24
; NumVGPRsForWavesPerEU: 36
; AccumOffset: 36
; Occupancy: 8
; WaveLimiterHint : 0
; COMPUTE_PGM_RSRC2:SCRATCH_EN: 0
; COMPUTE_PGM_RSRC2:USER_SGPR: 6
; COMPUTE_PGM_RSRC2:TRAP_HANDLER: 0
; COMPUTE_PGM_RSRC2:TGID_X_EN: 1
; COMPUTE_PGM_RSRC2:TGID_Y_EN: 0
; COMPUTE_PGM_RSRC2:TGID_Z_EN: 0
; COMPUTE_PGM_RSRC2:TIDIG_COMP_CNT: 0
; COMPUTE_PGM_RSRC3_GFX90A:ACCUM_OFFSET: 8
; COMPUTE_PGM_RSRC3_GFX90A:TG_SPLIT: 0
	.section	.text._ZN9rocsparseL32bsr2csr_block_per_row_2_7_kernelILj256ELj6EiilEEv20rocsparse_direction_T3_S2_21rocsparse_index_base_PKT1_PKT2_PKS2_S2_S3_PS4_PS7_PS2_,"axG",@progbits,_ZN9rocsparseL32bsr2csr_block_per_row_2_7_kernelILj256ELj6EiilEEv20rocsparse_direction_T3_S2_21rocsparse_index_base_PKT1_PKT2_PKS2_S2_S3_PS4_PS7_PS2_,comdat
	.globl	_ZN9rocsparseL32bsr2csr_block_per_row_2_7_kernelILj256ELj6EiilEEv20rocsparse_direction_T3_S2_21rocsparse_index_base_PKT1_PKT2_PKS2_S2_S3_PS4_PS7_PS2_ ; -- Begin function _ZN9rocsparseL32bsr2csr_block_per_row_2_7_kernelILj256ELj6EiilEEv20rocsparse_direction_T3_S2_21rocsparse_index_base_PKT1_PKT2_PKS2_S2_S3_PS4_PS7_PS2_
	.p2align	8
	.type	_ZN9rocsparseL32bsr2csr_block_per_row_2_7_kernelILj256ELj6EiilEEv20rocsparse_direction_T3_S2_21rocsparse_index_base_PKT1_PKT2_PKS2_S2_S3_PS4_PS7_PS2_,@function
_ZN9rocsparseL32bsr2csr_block_per_row_2_7_kernelILj256ELj6EiilEEv20rocsparse_direction_T3_S2_21rocsparse_index_base_PKT1_PKT2_PKS2_S2_S3_PS4_PS7_PS2_: ; @_ZN9rocsparseL32bsr2csr_block_per_row_2_7_kernelILj256ELj6EiilEEv20rocsparse_direction_T3_S2_21rocsparse_index_base_PKT1_PKT2_PKS2_S2_S3_PS4_PS7_PS2_
; %bb.0:
	s_load_dwordx2 s[2:3], s[4:5], 0x28
	s_load_dword s10, s[4:5], 0x40
	s_load_dwordx2 s[0:1], s[4:5], 0x50
	s_mov_b32 s7, 0
	s_lshl_b64 s[8:9], s[6:7], 2
	s_waitcnt lgkmcnt(0)
	s_add_u32 s8, s2, s8
	v_or_b32_e32 v1, s6, v0
	s_addc_u32 s9, s3, s9
	v_cmp_eq_u32_e32 vcc, 0, v1
	s_and_saveexec_b64 s[2:3], vcc
	s_cbranch_execz .LBB31_2
; %bb.1:
	v_mov_b32_e32 v1, 0
	v_mov_b32_e32 v2, s10
	global_store_dword v1, v2, s[0:1]
.LBB31_2:
	s_or_b64 exec, exec, s[2:3]
	v_and_b32_e32 v1, 7, v0
	v_cmp_gt_u32_e32 vcc, 6, v1
	s_and_saveexec_b64 s[2:3], vcc
	s_cbranch_execz .LBB31_6
; %bb.3:
	s_load_dwordx2 s[2:3], s[8:9], 0x0
	s_load_dword s20, s[4:5], 0x18
	v_lshrrev_b32_e32 v8, 3, v0
	v_lshlrev_b32_e32 v2, 2, v1
	s_waitcnt lgkmcnt(0)
	s_sub_i32 s7, s2, s20
	s_sub_i32 s21, s3, s20
	;; [unrolled: 1-line block ×3, first 2 shown]
	s_mul_i32 s8, s8, 6
	s_mul_i32 s3, s7, 36
	v_mul_lo_u32 v9, s8, v1
	s_add_i32 s8, s8, s10
	s_add_i32 s8, s8, s3
	s_mul_hi_u32 s3, s6, 24
	s_mul_i32 s6, s6, 24
	s_add_u32 s0, s0, s6
	v_add_u32_e32 v0, s8, v9
	s_addc_u32 s1, s1, s3
	global_store_dword v2, v0, s[0:1] offset:4
	v_add_u32_e32 v0, s7, v8
	v_cmp_gt_i32_e32 vcc, s21, v0
	s_and_b64 exec, exec, vcc
	s_cbranch_execz .LBB31_6
; %bb.4:
	s_load_dwordx2 s[12:13], s[4:5], 0x30
	s_load_dwordx2 s[14:15], s[4:5], 0x48
	;; [unrolled: 1-line block ×3, first 2 shown]
	s_load_dword s0, s[4:5], 0x0
	s_load_dwordx2 s[16:17], s[4:5], 0x58
	s_mul_i32 s2, s2, 36
	s_mov_b32 s3, 0
	s_waitcnt lgkmcnt(0)
	v_mov_b32_e32 v5, s7
	v_add_co_u32_e32 v4, vcc, s6, v2
	v_addc_co_u32_e32 v5, vcc, 0, v5, vcc
	v_mad_u64_u32 v[6:7], s[4:5], v1, 20, v[4:5]
	v_mul_u32_u24_e32 v1, 6, v8
	s_cmp_eq_u32 s0, 0
	v_add3_u32 v1, v9, s2, v1
	s_mul_i32 s2, s20, 36
	v_mov_b32_e32 v3, 0
	s_mov_b32 s11, s3
	s_cselect_b64 s[0:1], -1, 0
	v_mul_lo_u32 v2, v0, 36
	v_subrev_u32_e32 v8, s2, v1
	s_mov_b64 s[18:19], 0
	v_mov_b32_e32 v10, s13
	v_mov_b32_e32 v11, s3
	;; [unrolled: 1-line block ×4, first 2 shown]
	s_movk_i32 s13, 0x48
	s_movk_i32 s15, 0x60
	;; [unrolled: 1-line block ×3, first 2 shown]
.LBB31_5:                               ; =>This Inner Loop Header: Depth=1
	v_ashrrev_i32_e32 v1, 31, v0
	v_lshlrev_b64 v[14:15], 2, v[2:3]
	v_lshlrev_b64 v[16:17], 3, v[0:1]
	v_add_co_u32_e32 v1, vcc, v4, v14
	v_addc_co_u32_e32 v9, vcc, v5, v15, vcc
	v_add_co_u32_e32 v14, vcc, v6, v14
	v_addc_co_u32_e32 v15, vcc, v7, v15, vcc
	;; [unrolled: 2-line block ×11, first 2 shown]
	v_add_co_u32_e32 v38, vcc, 20, v14
	v_cndmask_b32_e64 v19, v9, v15, s[0:1]
	v_cndmask_b32_e64 v18, v1, v14, s[0:1]
	v_addc_co_u32_e32 v39, vcc, 0, v15, vcc
	global_load_dwordx2 v[20:21], v[16:17], off
	global_load_dword v14, v[18:19], off
	v_add_co_u32_e32 v1, vcc, s17, v1
	v_cndmask_b32_e64 v19, v25, v23, s[0:1]
	v_cndmask_b32_e64 v18, v24, v22, s[0:1]
	;; [unrolled: 1-line block ×8, first 2 shown]
	v_addc_co_u32_e32 v9, vcc, 0, v9, vcc
	global_load_dword v15, v[18:19], off
	global_load_dword v16, v[22:23], off
	;; [unrolled: 1-line block ×4, first 2 shown]
	v_cndmask_b32_e64 v28, v1, v38, s[0:1]
	v_cndmask_b32_e64 v29, v9, v39, s[0:1]
	global_load_dword v31, v[28:29], off
	v_ashrrev_i32_e32 v9, 31, v8
	v_lshlrev_b64 v[18:19], 3, v[8:9]
	v_add_co_u32_e32 v26, vcc, s16, v18
	v_lshlrev_b64 v[22:23], 2, v[8:9]
	v_addc_co_u32_e32 v27, vcc, v12, v19, vcc
	v_add_co_u32_e32 v18, vcc, s14, v22
	v_add_u32_e32 v0, 32, v0
	v_addc_co_u32_e32 v19, vcc, v13, v23, vcc
	v_cmp_le_i32_e32 vcc, s21, v0
	s_or_b64 s[18:19], vcc, s[18:19]
	v_add_u32_e32 v2, 0x480, v2
	v_add_u32_e32 v8, 0xc0, v8
	s_waitcnt vmcnt(6)
	v_subrev_co_u32_e32 v1, vcc, s20, v20
	v_mad_u64_u32 v[28:29], s[2:3], v1, 6, s[10:11]
	v_subb_co_u32_e32 v9, vcc, v21, v11, vcc
	v_add_co_u32_e64 v22, s[4:5], 4, v28
	v_add_co_u32_e64 v24, s[6:7], 5, v28
	s_waitcnt vmcnt(2)
	global_store_dwordx4 v[18:19], v[14:17], off
	s_nop 0
	v_mov_b32_e32 v16, v29
	v_mad_u64_u32 v[16:17], s[2:3], v9, 6, v[16:17]
	v_mov_b32_e32 v1, v16
	v_mov_b32_e32 v15, v16
	v_add_co_u32_e64 v16, s[8:9], 1, v28
	v_mov_b32_e32 v14, v28
	s_waitcnt vmcnt(1)
	global_store_dwordx2 v[18:19], v[30:31], off offset:16
	v_add_co_u32_e32 v18, vcc, 2, v28
	v_add_co_u32_e64 v20, s[2:3], 3, v28
	v_addc_co_u32_e64 v17, s[8:9], 0, v1, s[8:9]
	v_addc_co_u32_e32 v19, vcc, 0, v1, vcc
	v_addc_co_u32_e64 v21, vcc, 0, v1, s[2:3]
	v_addc_co_u32_e64 v23, vcc, 0, v1, s[4:5]
	;; [unrolled: 1-line block ×3, first 2 shown]
	global_store_dwordx4 v[26:27], v[14:17], off
	global_store_dwordx4 v[26:27], v[18:21], off offset:16
	global_store_dwordx4 v[26:27], v[22:25], off offset:32
	s_andn2_b64 exec, exec, s[18:19]
	s_cbranch_execnz .LBB31_5
.LBB31_6:
	s_endpgm
	.section	.rodata,"a",@progbits
	.p2align	6, 0x0
	.amdhsa_kernel _ZN9rocsparseL32bsr2csr_block_per_row_2_7_kernelILj256ELj6EiilEEv20rocsparse_direction_T3_S2_21rocsparse_index_base_PKT1_PKT2_PKS2_S2_S3_PS4_PS7_PS2_
		.amdhsa_group_segment_fixed_size 0
		.amdhsa_private_segment_fixed_size 0
		.amdhsa_kernarg_size 96
		.amdhsa_user_sgpr_count 6
		.amdhsa_user_sgpr_private_segment_buffer 1
		.amdhsa_user_sgpr_dispatch_ptr 0
		.amdhsa_user_sgpr_queue_ptr 0
		.amdhsa_user_sgpr_kernarg_segment_ptr 1
		.amdhsa_user_sgpr_dispatch_id 0
		.amdhsa_user_sgpr_flat_scratch_init 0
		.amdhsa_user_sgpr_kernarg_preload_length 0
		.amdhsa_user_sgpr_kernarg_preload_offset 0
		.amdhsa_user_sgpr_private_segment_size 0
		.amdhsa_uses_dynamic_stack 0
		.amdhsa_system_sgpr_private_segment_wavefront_offset 0
		.amdhsa_system_sgpr_workgroup_id_x 1
		.amdhsa_system_sgpr_workgroup_id_y 0
		.amdhsa_system_sgpr_workgroup_id_z 0
		.amdhsa_system_sgpr_workgroup_info 0
		.amdhsa_system_vgpr_workitem_id 0
		.amdhsa_next_free_vgpr 40
		.amdhsa_next_free_sgpr 22
		.amdhsa_accum_offset 40
		.amdhsa_reserve_vcc 1
		.amdhsa_reserve_flat_scratch 0
		.amdhsa_float_round_mode_32 0
		.amdhsa_float_round_mode_16_64 0
		.amdhsa_float_denorm_mode_32 3
		.amdhsa_float_denorm_mode_16_64 3
		.amdhsa_dx10_clamp 1
		.amdhsa_ieee_mode 1
		.amdhsa_fp16_overflow 0
		.amdhsa_tg_split 0
		.amdhsa_exception_fp_ieee_invalid_op 0
		.amdhsa_exception_fp_denorm_src 0
		.amdhsa_exception_fp_ieee_div_zero 0
		.amdhsa_exception_fp_ieee_overflow 0
		.amdhsa_exception_fp_ieee_underflow 0
		.amdhsa_exception_fp_ieee_inexact 0
		.amdhsa_exception_int_div_zero 0
	.end_amdhsa_kernel
	.section	.text._ZN9rocsparseL32bsr2csr_block_per_row_2_7_kernelILj256ELj6EiilEEv20rocsparse_direction_T3_S2_21rocsparse_index_base_PKT1_PKT2_PKS2_S2_S3_PS4_PS7_PS2_,"axG",@progbits,_ZN9rocsparseL32bsr2csr_block_per_row_2_7_kernelILj256ELj6EiilEEv20rocsparse_direction_T3_S2_21rocsparse_index_base_PKT1_PKT2_PKS2_S2_S3_PS4_PS7_PS2_,comdat
.Lfunc_end31:
	.size	_ZN9rocsparseL32bsr2csr_block_per_row_2_7_kernelILj256ELj6EiilEEv20rocsparse_direction_T3_S2_21rocsparse_index_base_PKT1_PKT2_PKS2_S2_S3_PS4_PS7_PS2_, .Lfunc_end31-_ZN9rocsparseL32bsr2csr_block_per_row_2_7_kernelILj256ELj6EiilEEv20rocsparse_direction_T3_S2_21rocsparse_index_base_PKT1_PKT2_PKS2_S2_S3_PS4_PS7_PS2_
                                        ; -- End function
	.section	.AMDGPU.csdata,"",@progbits
; Kernel info:
; codeLenInByte = 872
; NumSgprs: 26
; NumVgprs: 40
; NumAgprs: 0
; TotalNumVgprs: 40
; ScratchSize: 0
; MemoryBound: 0
; FloatMode: 240
; IeeeMode: 1
; LDSByteSize: 0 bytes/workgroup (compile time only)
; SGPRBlocks: 3
; VGPRBlocks: 4
; NumSGPRsForWavesPerEU: 26
; NumVGPRsForWavesPerEU: 40
; AccumOffset: 40
; Occupancy: 8
; WaveLimiterHint : 0
; COMPUTE_PGM_RSRC2:SCRATCH_EN: 0
; COMPUTE_PGM_RSRC2:USER_SGPR: 6
; COMPUTE_PGM_RSRC2:TRAP_HANDLER: 0
; COMPUTE_PGM_RSRC2:TGID_X_EN: 1
; COMPUTE_PGM_RSRC2:TGID_Y_EN: 0
; COMPUTE_PGM_RSRC2:TGID_Z_EN: 0
; COMPUTE_PGM_RSRC2:TIDIG_COMP_CNT: 0
; COMPUTE_PGM_RSRC3_GFX90A:ACCUM_OFFSET: 9
; COMPUTE_PGM_RSRC3_GFX90A:TG_SPLIT: 0
	.section	.text._ZN9rocsparseL32bsr2csr_block_per_row_2_7_kernelILj256ELj7EiilEEv20rocsparse_direction_T3_S2_21rocsparse_index_base_PKT1_PKT2_PKS2_S2_S3_PS4_PS7_PS2_,"axG",@progbits,_ZN9rocsparseL32bsr2csr_block_per_row_2_7_kernelILj256ELj7EiilEEv20rocsparse_direction_T3_S2_21rocsparse_index_base_PKT1_PKT2_PKS2_S2_S3_PS4_PS7_PS2_,comdat
	.globl	_ZN9rocsparseL32bsr2csr_block_per_row_2_7_kernelILj256ELj7EiilEEv20rocsparse_direction_T3_S2_21rocsparse_index_base_PKT1_PKT2_PKS2_S2_S3_PS4_PS7_PS2_ ; -- Begin function _ZN9rocsparseL32bsr2csr_block_per_row_2_7_kernelILj256ELj7EiilEEv20rocsparse_direction_T3_S2_21rocsparse_index_base_PKT1_PKT2_PKS2_S2_S3_PS4_PS7_PS2_
	.p2align	8
	.type	_ZN9rocsparseL32bsr2csr_block_per_row_2_7_kernelILj256ELj7EiilEEv20rocsparse_direction_T3_S2_21rocsparse_index_base_PKT1_PKT2_PKS2_S2_S3_PS4_PS7_PS2_,@function
_ZN9rocsparseL32bsr2csr_block_per_row_2_7_kernelILj256ELj7EiilEEv20rocsparse_direction_T3_S2_21rocsparse_index_base_PKT1_PKT2_PKS2_S2_S3_PS4_PS7_PS2_: ; @_ZN9rocsparseL32bsr2csr_block_per_row_2_7_kernelILj256ELj7EiilEEv20rocsparse_direction_T3_S2_21rocsparse_index_base_PKT1_PKT2_PKS2_S2_S3_PS4_PS7_PS2_
; %bb.0:
	s_load_dwordx2 s[2:3], s[4:5], 0x28
	s_load_dword s12, s[4:5], 0x40
	s_load_dwordx2 s[0:1], s[4:5], 0x50
	s_mov_b32 s7, 0
	s_lshl_b64 s[8:9], s[6:7], 2
	s_waitcnt lgkmcnt(0)
	s_add_u32 s8, s2, s8
	v_or_b32_e32 v1, s6, v0
	s_addc_u32 s9, s3, s9
	v_cmp_eq_u32_e32 vcc, 0, v1
	s_and_saveexec_b64 s[2:3], vcc
	s_cbranch_execz .LBB32_2
; %bb.1:
	v_mov_b32_e32 v1, 0
	v_mov_b32_e32 v2, s12
	global_store_dword v1, v2, s[0:1]
.LBB32_2:
	s_or_b64 exec, exec, s[2:3]
	v_and_b32_e32 v1, 7, v0
	v_cmp_ne_u32_e32 vcc, 7, v1
	s_and_saveexec_b64 s[2:3], vcc
	s_cbranch_execz .LBB32_6
; %bb.3:
	s_load_dwordx2 s[2:3], s[8:9], 0x0
	s_load_dword s22, s[4:5], 0x18
	v_lshrrev_b32_e32 v8, 3, v0
	v_lshlrev_b32_e32 v2, 2, v1
	s_waitcnt lgkmcnt(0)
	s_sub_i32 s7, s2, s22
	s_sub_i32 s23, s3, s22
	;; [unrolled: 1-line block ×3, first 2 shown]
	s_mul_i32 s8, s8, 7
	s_mul_i32 s3, s7, 49
	v_mul_lo_u32 v9, s8, v1
	s_add_i32 s8, s8, s12
	s_add_i32 s8, s8, s3
	s_mul_hi_u32 s3, s6, 28
	s_mul_i32 s6, s6, 28
	s_add_u32 s0, s0, s6
	v_add_u32_e32 v0, s8, v9
	s_addc_u32 s1, s1, s3
	global_store_dword v2, v0, s[0:1] offset:4
	v_add_u32_e32 v0, s7, v8
	v_cmp_gt_i32_e32 vcc, s23, v0
	s_and_b64 exec, exec, vcc
	s_cbranch_execz .LBB32_6
; %bb.4:
	s_load_dwordx2 s[14:15], s[4:5], 0x30
	s_load_dwordx2 s[16:17], s[4:5], 0x48
	s_load_dwordx2 s[6:7], s[4:5], 0x20
	s_load_dword s0, s[4:5], 0x0
	s_load_dwordx2 s[18:19], s[4:5], 0x58
	s_mul_i32 s2, s2, 49
	s_mov_b32 s3, 0
	s_waitcnt lgkmcnt(0)
	v_mov_b32_e32 v5, s7
	v_add_co_u32_e32 v4, vcc, s6, v2
	v_addc_co_u32_e32 v5, vcc, 0, v5, vcc
	v_mad_u64_u32 v[6:7], s[4:5], v1, 24, v[4:5]
	v_mul_u32_u24_e32 v1, 7, v8
	s_cmp_eq_u32 s0, 0
	v_add3_u32 v1, v9, s2, v1
	s_mul_i32 s2, s22, 49
	v_mov_b32_e32 v3, 0
	s_mov_b32 s13, s3
	s_cselect_b64 s[0:1], -1, 0
	v_mul_lo_u32 v2, v0, 49
	v_subrev_u32_e32 v8, s2, v1
	s_mov_b64 s[20:21], 0
	v_mov_b32_e32 v10, s15
	v_mov_b32_e32 v11, s3
	;; [unrolled: 1-line block ×4, first 2 shown]
	s_movk_i32 s15, 0x54
	s_movk_i32 s17, 0x70
	;; [unrolled: 1-line block ×4, first 2 shown]
.LBB32_5:                               ; =>This Inner Loop Header: Depth=1
	v_ashrrev_i32_e32 v1, 31, v0
	v_lshlrev_b64 v[14:15], 2, v[2:3]
	v_lshlrev_b64 v[16:17], 3, v[0:1]
	v_add_co_u32_e32 v1, vcc, v4, v14
	v_addc_co_u32_e32 v9, vcc, v5, v15, vcc
	v_add_co_u32_e32 v14, vcc, v6, v14
	v_addc_co_u32_e32 v15, vcc, v7, v15, vcc
	;; [unrolled: 2-line block ×13, first 2 shown]
	v_add_co_u32_e32 v42, vcc, 24, v14
	v_cndmask_b32_e64 v19, v9, v15, s[0:1]
	v_cndmask_b32_e64 v18, v1, v14, s[0:1]
	v_addc_co_u32_e32 v43, vcc, 0, v15, vcc
	global_load_dwordx2 v[22:23], v[16:17], off
	global_load_dword v14, v[18:19], off
	v_add_co_u32_e32 v1, vcc, s24, v1
	v_cndmask_b32_e64 v21, v25, v21, s[0:1]
	v_cndmask_b32_e64 v20, v24, v20, s[0:1]
	v_addc_co_u32_e32 v9, vcc, 0, v9, vcc
	v_cndmask_b32_e64 v25, v29, v27, s[0:1]
	v_cndmask_b32_e64 v24, v28, v26, s[0:1]
	v_cndmask_b32_e64 v27, v33, v31, s[0:1]
	v_cndmask_b32_e64 v26, v32, v30, s[0:1]
	v_cndmask_b32_e64 v29, v37, v35, s[0:1]
	v_cndmask_b32_e64 v28, v36, v34, s[0:1]
	v_cndmask_b32_e64 v31, v41, v39, s[0:1]
	v_cndmask_b32_e64 v30, v40, v38, s[0:1]
	v_cndmask_b32_e64 v32, v1, v42, s[0:1]
	global_load_dword v15, v[20:21], off
	global_load_dword v16, v[24:25], off
	;; [unrolled: 1-line block ×5, first 2 shown]
	v_cndmask_b32_e64 v33, v9, v43, s[0:1]
	global_load_dword v20, v[32:33], off
	v_ashrrev_i32_e32 v9, 31, v8
	v_lshlrev_b64 v[24:25], 3, v[8:9]
	v_add_co_u32_e32 v28, vcc, s18, v24
	v_lshlrev_b64 v[26:27], 2, v[8:9]
	v_addc_co_u32_e32 v29, vcc, v12, v25, vcc
	v_add_co_u32_e32 v24, vcc, s16, v26
	v_add_u32_e32 v0, 32, v0
	v_addc_co_u32_e32 v25, vcc, v13, v27, vcc
	v_cmp_le_i32_e32 vcc, s23, v0
	s_or_b64 s[20:21], vcc, s[20:21]
	v_add_u32_e32 v2, 0x620, v2
	v_add_u32_e32 v8, 0xe0, v8
	s_waitcnt vmcnt(7)
	v_subrev_co_u32_e32 v1, vcc, s22, v22
	v_mad_u64_u32 v[26:27], s[2:3], v1, 7, s[12:13]
	v_subb_co_u32_e32 v9, vcc, v23, v11, vcc
	v_add_co_u32_e64 v22, s[4:5], 4, v26
	v_add_co_u32_e64 v30, s[8:9], 6, v26
	s_waitcnt vmcnt(3)
	global_store_dwordx4 v[24:25], v[14:17], off
	s_nop 0
	v_mov_b32_e32 v16, v27
	v_mad_u64_u32 v[16:17], s[2:3], v9, 7, v[16:17]
	v_mov_b32_e32 v1, v16
	v_mov_b32_e32 v15, v16
	v_add_co_u32_e64 v16, s[10:11], 1, v26
	v_mov_b32_e32 v14, v26
	s_waitcnt vmcnt(1)
	global_store_dwordx3 v[24:25], v[18:20], off offset:16
	v_add_co_u32_e64 v24, s[6:7], 5, v26
	v_add_co_u32_e32 v18, vcc, 2, v26
	v_add_co_u32_e64 v20, s[2:3], 3, v26
	v_addc_co_u32_e64 v17, s[10:11], 0, v1, s[10:11]
	v_addc_co_u32_e32 v19, vcc, 0, v1, vcc
	v_addc_co_u32_e64 v21, vcc, 0, v1, s[2:3]
	v_addc_co_u32_e64 v23, vcc, 0, v1, s[4:5]
	;; [unrolled: 1-line block ×4, first 2 shown]
	global_store_dwordx4 v[28:29], v[14:17], off
	global_store_dwordx4 v[28:29], v[18:21], off offset:16
	global_store_dwordx4 v[28:29], v[22:25], off offset:32
	global_store_dwordx2 v[28:29], v[30:31], off offset:48
	s_andn2_b64 exec, exec, s[20:21]
	s_cbranch_execnz .LBB32_5
.LBB32_6:
	s_endpgm
	.section	.rodata,"a",@progbits
	.p2align	6, 0x0
	.amdhsa_kernel _ZN9rocsparseL32bsr2csr_block_per_row_2_7_kernelILj256ELj7EiilEEv20rocsparse_direction_T3_S2_21rocsparse_index_base_PKT1_PKT2_PKS2_S2_S3_PS4_PS7_PS2_
		.amdhsa_group_segment_fixed_size 0
		.amdhsa_private_segment_fixed_size 0
		.amdhsa_kernarg_size 96
		.amdhsa_user_sgpr_count 6
		.amdhsa_user_sgpr_private_segment_buffer 1
		.amdhsa_user_sgpr_dispatch_ptr 0
		.amdhsa_user_sgpr_queue_ptr 0
		.amdhsa_user_sgpr_kernarg_segment_ptr 1
		.amdhsa_user_sgpr_dispatch_id 0
		.amdhsa_user_sgpr_flat_scratch_init 0
		.amdhsa_user_sgpr_kernarg_preload_length 0
		.amdhsa_user_sgpr_kernarg_preload_offset 0
		.amdhsa_user_sgpr_private_segment_size 0
		.amdhsa_uses_dynamic_stack 0
		.amdhsa_system_sgpr_private_segment_wavefront_offset 0
		.amdhsa_system_sgpr_workgroup_id_x 1
		.amdhsa_system_sgpr_workgroup_id_y 0
		.amdhsa_system_sgpr_workgroup_id_z 0
		.amdhsa_system_sgpr_workgroup_info 0
		.amdhsa_system_vgpr_workitem_id 0
		.amdhsa_next_free_vgpr 44
		.amdhsa_next_free_sgpr 25
		.amdhsa_accum_offset 44
		.amdhsa_reserve_vcc 1
		.amdhsa_reserve_flat_scratch 0
		.amdhsa_float_round_mode_32 0
		.amdhsa_float_round_mode_16_64 0
		.amdhsa_float_denorm_mode_32 3
		.amdhsa_float_denorm_mode_16_64 3
		.amdhsa_dx10_clamp 1
		.amdhsa_ieee_mode 1
		.amdhsa_fp16_overflow 0
		.amdhsa_tg_split 0
		.amdhsa_exception_fp_ieee_invalid_op 0
		.amdhsa_exception_fp_denorm_src 0
		.amdhsa_exception_fp_ieee_div_zero 0
		.amdhsa_exception_fp_ieee_overflow 0
		.amdhsa_exception_fp_ieee_underflow 0
		.amdhsa_exception_fp_ieee_inexact 0
		.amdhsa_exception_int_div_zero 0
	.end_amdhsa_kernel
	.section	.text._ZN9rocsparseL32bsr2csr_block_per_row_2_7_kernelILj256ELj7EiilEEv20rocsparse_direction_T3_S2_21rocsparse_index_base_PKT1_PKT2_PKS2_S2_S3_PS4_PS7_PS2_,"axG",@progbits,_ZN9rocsparseL32bsr2csr_block_per_row_2_7_kernelILj256ELj7EiilEEv20rocsparse_direction_T3_S2_21rocsparse_index_base_PKT1_PKT2_PKS2_S2_S3_PS4_PS7_PS2_,comdat
.Lfunc_end32:
	.size	_ZN9rocsparseL32bsr2csr_block_per_row_2_7_kernelILj256ELj7EiilEEv20rocsparse_direction_T3_S2_21rocsparse_index_base_PKT1_PKT2_PKS2_S2_S3_PS4_PS7_PS2_, .Lfunc_end32-_ZN9rocsparseL32bsr2csr_block_per_row_2_7_kernelILj256ELj7EiilEEv20rocsparse_direction_T3_S2_21rocsparse_index_base_PKT1_PKT2_PKS2_S2_S3_PS4_PS7_PS2_
                                        ; -- End function
	.section	.AMDGPU.csdata,"",@progbits
; Kernel info:
; codeLenInByte = 940
; NumSgprs: 29
; NumVgprs: 44
; NumAgprs: 0
; TotalNumVgprs: 44
; ScratchSize: 0
; MemoryBound: 0
; FloatMode: 240
; IeeeMode: 1
; LDSByteSize: 0 bytes/workgroup (compile time only)
; SGPRBlocks: 3
; VGPRBlocks: 5
; NumSGPRsForWavesPerEU: 29
; NumVGPRsForWavesPerEU: 44
; AccumOffset: 44
; Occupancy: 8
; WaveLimiterHint : 0
; COMPUTE_PGM_RSRC2:SCRATCH_EN: 0
; COMPUTE_PGM_RSRC2:USER_SGPR: 6
; COMPUTE_PGM_RSRC2:TRAP_HANDLER: 0
; COMPUTE_PGM_RSRC2:TGID_X_EN: 1
; COMPUTE_PGM_RSRC2:TGID_Y_EN: 0
; COMPUTE_PGM_RSRC2:TGID_Z_EN: 0
; COMPUTE_PGM_RSRC2:TIDIG_COMP_CNT: 0
; COMPUTE_PGM_RSRC3_GFX90A:ACCUM_OFFSET: 10
; COMPUTE_PGM_RSRC3_GFX90A:TG_SPLIT: 0
	.section	.text._ZN9rocsparseL33bsr2csr_block_per_row_8_32_kernelILj1024ELj8EiilEEv20rocsparse_direction_T3_S2_21rocsparse_index_base_PKT1_PKT2_PKS2_S2_S3_PS4_PS7_PS2_,"axG",@progbits,_ZN9rocsparseL33bsr2csr_block_per_row_8_32_kernelILj1024ELj8EiilEEv20rocsparse_direction_T3_S2_21rocsparse_index_base_PKT1_PKT2_PKS2_S2_S3_PS4_PS7_PS2_,comdat
	.globl	_ZN9rocsparseL33bsr2csr_block_per_row_8_32_kernelILj1024ELj8EiilEEv20rocsparse_direction_T3_S2_21rocsparse_index_base_PKT1_PKT2_PKS2_S2_S3_PS4_PS7_PS2_ ; -- Begin function _ZN9rocsparseL33bsr2csr_block_per_row_8_32_kernelILj1024ELj8EiilEEv20rocsparse_direction_T3_S2_21rocsparse_index_base_PKT1_PKT2_PKS2_S2_S3_PS4_PS7_PS2_
	.p2align	8
	.type	_ZN9rocsparseL33bsr2csr_block_per_row_8_32_kernelILj1024ELj8EiilEEv20rocsparse_direction_T3_S2_21rocsparse_index_base_PKT1_PKT2_PKS2_S2_S3_PS4_PS7_PS2_,@function
_ZN9rocsparseL33bsr2csr_block_per_row_8_32_kernelILj1024ELj8EiilEEv20rocsparse_direction_T3_S2_21rocsparse_index_base_PKT1_PKT2_PKS2_S2_S3_PS4_PS7_PS2_: ; @_ZN9rocsparseL33bsr2csr_block_per_row_8_32_kernelILj1024ELj8EiilEEv20rocsparse_direction_T3_S2_21rocsparse_index_base_PKT1_PKT2_PKS2_S2_S3_PS4_PS7_PS2_
; %bb.0:
	s_load_dwordx2 s[0:1], s[4:5], 0x28
	s_load_dword s14, s[4:5], 0x40
	s_load_dwordx2 s[8:9], s[4:5], 0x50
	s_mov_b32 s7, 0
	s_lshl_b64 s[2:3], s[6:7], 2
	s_waitcnt lgkmcnt(0)
	s_add_u32 s10, s0, s2
	v_or_b32_e32 v1, s6, v0
	s_addc_u32 s11, s1, s3
	v_cmp_eq_u32_e32 vcc, 0, v1
	s_and_saveexec_b64 s[0:1], vcc
	s_cbranch_execz .LBB33_2
; %bb.1:
	v_mov_b32_e32 v1, 0
	v_mov_b32_e32 v2, s14
	global_store_dword v1, v2, s[8:9]
.LBB33_2:
	s_or_b64 exec, exec, s[0:1]
	s_load_dwordx2 s[2:3], s[4:5], 0x38
	v_mov_b32_e32 v7, 0
	v_and_b32_e32 v6, 7, v0
	v_bfe_u32 v8, v0, 3, 3
	v_mov_b32_e32 v9, v7
	s_waitcnt lgkmcnt(0)
	v_cmp_gt_i64_e32 vcc, s[2:3], v[8:9]
	v_cmp_gt_i64_e64 s[0:1], s[2:3], v[6:7]
	s_and_b64 s[0:1], vcc, s[0:1]
	s_and_saveexec_b64 s[12:13], s[0:1]
	s_cbranch_execz .LBB33_6
; %bb.3:
	s_load_dwordx2 s[0:1], s[10:11], 0x0
	s_load_dword s12, s[4:5], 0x18
	s_mul_i32 s10, s2, s2
	v_lshrrev_b32_e32 v1, 6, v0
	v_lshlrev_b32_e32 v5, 2, v8
	s_waitcnt lgkmcnt(0)
	s_sub_i32 s15, s0, s12
	s_sub_i32 s11, s1, s12
	;; [unrolled: 1-line block ×3, first 2 shown]
	s_mul_i32 s1, s16, s2
	s_mul_i32 s0, s10, s15
	v_mul_lo_u32 v0, s1, v8
	s_add_i32 s1, s1, s14
	s_add_i32 s1, s1, s0
	v_add_u32_e32 v0, s1, v0
	s_mul_i32 s0, s6, s3
	s_mul_hi_u32 s1, s6, s2
	s_add_i32 s1, s1, s0
	s_mul_i32 s0, s6, s2
	s_lshl_b64 s[0:1], s[0:1], 2
	s_add_u32 s0, s8, s0
	s_addc_u32 s1, s9, s1
	global_store_dword v5, v0, s[0:1] offset:4
	v_add_u32_e32 v0, s15, v1
	v_cmp_gt_i32_e32 vcc, s11, v0
	s_and_b64 exec, exec, vcc
	s_cbranch_execz .LBB33_6
; %bb.4:
	s_mul_i32 s13, s2, s3
	s_mul_hi_u32 s17, s2, s2
	s_add_i32 s17, s17, s13
	s_load_dwordx2 s[0:1], s[4:5], 0x30
	s_load_dwordx2 s[6:7], s[4:5], 0x48
	;; [unrolled: 1-line block ×3, first 2 shown]
	s_add_i32 s13, s17, s13
	s_load_dwordx2 s[18:19], s[4:5], 0x20
	s_load_dword s17, s[4:5], 0x0
	v_mad_u64_u32 v[10:11], s[4:5], v6, s2, 0
	v_mov_b32_e32 v4, v11
	v_mad_u64_u32 v[12:13], s[4:5], v6, s3, v[4:5]
	v_mov_b32_e32 v11, v12
	v_add_co_u32_e32 v2, vcc, s14, v6
	v_lshlrev_b64 v[10:11], 2, v[10:11]
	v_addc_co_u32_e64 v3, s[4:5], 0, 0, vcc
	s_waitcnt lgkmcnt(0)
	v_mov_b32_e32 v7, s19
	v_add_co_u32_e32 v9, vcc, s18, v10
	v_addc_co_u32_e32 v10, vcc, v7, v11, vcc
	v_add_co_u32_e32 v5, vcc, v9, v5
	v_addc_co_u32_e32 v9, vcc, 0, v10, vcc
	v_mad_u64_u32 v[10:11], s[4:5], v8, s2, 0
	v_mov_b32_e32 v12, v11
	v_mad_u64_u32 v[12:13], s[4:5], v8, s3, v[12:13]
	v_mov_b32_e32 v11, v12
	v_lshlrev_b64 v[10:11], 2, v[10:11]
	v_add_co_u32_e32 v10, vcc, s18, v10
	v_addc_co_u32_e32 v7, vcc, v7, v11, vcc
	v_lshlrev_b32_e32 v11, 2, v6
	v_add_co_u32_e32 v10, vcc, v10, v11
	s_cmp_eq_u32 s17, 0
	v_addc_co_u32_e32 v7, vcc, 0, v7, vcc
	s_cselect_b64 vcc, -1, 0
	v_cndmask_b32_e32 v10, v5, v10, vcc
	s_mul_i32 s4, s2, s15
	v_mul_lo_u32 v5, s16, v8
	v_cndmask_b32_e32 v7, v9, v7, vcc
	v_add3_u32 v1, v1, s4, v5
	s_mov_b32 s20, 0
	v_mad_u64_u32 v[8:9], s[4:5], s2, v1, v[6:7]
	s_lshl_b32 s14, s2, 4
	v_mov_b32_e32 v4, 0
	v_mov_b32_e32 v5, v8
	s_mov_b64 s[4:5], 0
	v_mov_b32_e32 v6, s1
	v_mov_b32_e32 v8, s20
	v_mov_b32_e32 v9, s9
	v_mov_b32_e32 v11, s7
	v_mov_b32_e32 v12, s14
.LBB33_5:                               ; =>This Inner Loop Header: Depth=1
	v_ashrrev_i32_e32 v1, 31, v0
	v_lshlrev_b64 v[16:17], 3, v[0:1]
	v_mul_lo_u32 v13, s13, v0
	v_mad_u64_u32 v[14:15], s[14:15], s10, v0, 0
	v_mul_lo_u32 v1, s10, v1
	v_add_co_u32_e32 v16, vcc, s0, v16
	v_addc_co_u32_e32 v17, vcc, v6, v17, vcc
	v_add3_u32 v15, v15, v1, v13
	global_load_dwordx2 v[16:17], v[16:17], off
	v_lshlrev_b64 v[14:15], 2, v[14:15]
	v_add_co_u32_e32 v14, vcc, v10, v14
	v_addc_co_u32_e32 v15, vcc, v7, v15, vcc
	global_load_dword v1, v[14:15], off
	v_ashrrev_i64 v[14:15], 29, v[4:5]
	v_ashrrev_i64 v[18:19], 30, v[4:5]
	v_add_co_u32_e32 v4, vcc, 0, v4
	v_addc_co_u32_e32 v5, vcc, v5, v12, vcc
	v_add_co_u32_e32 v14, vcc, s8, v14
	v_addc_co_u32_e32 v15, vcc, v9, v15, vcc
	;; [unrolled: 2-line block ×3, first 2 shown]
	v_add_u32_e32 v0, 16, v0
	v_cmp_le_i32_e32 vcc, s11, v0
	s_or_b64 s[4:5], vcc, s[4:5]
	s_waitcnt vmcnt(1)
	v_subrev_co_u32_e32 v13, vcc, s12, v16
	v_subb_co_u32_e32 v16, vcc, v17, v8, vcc
	v_mul_lo_u32 v20, v13, s3
	v_mul_lo_u32 v21, v16, s2
	v_mad_u64_u32 v[16:17], s[14:15], v13, s2, v[2:3]
	v_add3_u32 v17, v21, v17, v20
	s_waitcnt vmcnt(0)
	global_store_dword v[18:19], v1, off
	global_store_dwordx2 v[14:15], v[16:17], off
	s_andn2_b64 exec, exec, s[4:5]
	s_cbranch_execnz .LBB33_5
.LBB33_6:
	s_endpgm
	.section	.rodata,"a",@progbits
	.p2align	6, 0x0
	.amdhsa_kernel _ZN9rocsparseL33bsr2csr_block_per_row_8_32_kernelILj1024ELj8EiilEEv20rocsparse_direction_T3_S2_21rocsparse_index_base_PKT1_PKT2_PKS2_S2_S3_PS4_PS7_PS2_
		.amdhsa_group_segment_fixed_size 0
		.amdhsa_private_segment_fixed_size 0
		.amdhsa_kernarg_size 96
		.amdhsa_user_sgpr_count 6
		.amdhsa_user_sgpr_private_segment_buffer 1
		.amdhsa_user_sgpr_dispatch_ptr 0
		.amdhsa_user_sgpr_queue_ptr 0
		.amdhsa_user_sgpr_kernarg_segment_ptr 1
		.amdhsa_user_sgpr_dispatch_id 0
		.amdhsa_user_sgpr_flat_scratch_init 0
		.amdhsa_user_sgpr_kernarg_preload_length 0
		.amdhsa_user_sgpr_kernarg_preload_offset 0
		.amdhsa_user_sgpr_private_segment_size 0
		.amdhsa_uses_dynamic_stack 0
		.amdhsa_system_sgpr_private_segment_wavefront_offset 0
		.amdhsa_system_sgpr_workgroup_id_x 1
		.amdhsa_system_sgpr_workgroup_id_y 0
		.amdhsa_system_sgpr_workgroup_id_z 0
		.amdhsa_system_sgpr_workgroup_info 0
		.amdhsa_system_vgpr_workitem_id 0
		.amdhsa_next_free_vgpr 22
		.amdhsa_next_free_sgpr 21
		.amdhsa_accum_offset 24
		.amdhsa_reserve_vcc 1
		.amdhsa_reserve_flat_scratch 0
		.amdhsa_float_round_mode_32 0
		.amdhsa_float_round_mode_16_64 0
		.amdhsa_float_denorm_mode_32 3
		.amdhsa_float_denorm_mode_16_64 3
		.amdhsa_dx10_clamp 1
		.amdhsa_ieee_mode 1
		.amdhsa_fp16_overflow 0
		.amdhsa_tg_split 0
		.amdhsa_exception_fp_ieee_invalid_op 0
		.amdhsa_exception_fp_denorm_src 0
		.amdhsa_exception_fp_ieee_div_zero 0
		.amdhsa_exception_fp_ieee_overflow 0
		.amdhsa_exception_fp_ieee_underflow 0
		.amdhsa_exception_fp_ieee_inexact 0
		.amdhsa_exception_int_div_zero 0
	.end_amdhsa_kernel
	.section	.text._ZN9rocsparseL33bsr2csr_block_per_row_8_32_kernelILj1024ELj8EiilEEv20rocsparse_direction_T3_S2_21rocsparse_index_base_PKT1_PKT2_PKS2_S2_S3_PS4_PS7_PS2_,"axG",@progbits,_ZN9rocsparseL33bsr2csr_block_per_row_8_32_kernelILj1024ELj8EiilEEv20rocsparse_direction_T3_S2_21rocsparse_index_base_PKT1_PKT2_PKS2_S2_S3_PS4_PS7_PS2_,comdat
.Lfunc_end33:
	.size	_ZN9rocsparseL33bsr2csr_block_per_row_8_32_kernelILj1024ELj8EiilEEv20rocsparse_direction_T3_S2_21rocsparse_index_base_PKT1_PKT2_PKS2_S2_S3_PS4_PS7_PS2_, .Lfunc_end33-_ZN9rocsparseL33bsr2csr_block_per_row_8_32_kernelILj1024ELj8EiilEEv20rocsparse_direction_T3_S2_21rocsparse_index_base_PKT1_PKT2_PKS2_S2_S3_PS4_PS7_PS2_
                                        ; -- End function
	.section	.AMDGPU.csdata,"",@progbits
; Kernel info:
; codeLenInByte = 732
; NumSgprs: 25
; NumVgprs: 22
; NumAgprs: 0
; TotalNumVgprs: 22
; ScratchSize: 0
; MemoryBound: 0
; FloatMode: 240
; IeeeMode: 1
; LDSByteSize: 0 bytes/workgroup (compile time only)
; SGPRBlocks: 3
; VGPRBlocks: 2
; NumSGPRsForWavesPerEU: 25
; NumVGPRsForWavesPerEU: 22
; AccumOffset: 24
; Occupancy: 8
; WaveLimiterHint : 0
; COMPUTE_PGM_RSRC2:SCRATCH_EN: 0
; COMPUTE_PGM_RSRC2:USER_SGPR: 6
; COMPUTE_PGM_RSRC2:TRAP_HANDLER: 0
; COMPUTE_PGM_RSRC2:TGID_X_EN: 1
; COMPUTE_PGM_RSRC2:TGID_Y_EN: 0
; COMPUTE_PGM_RSRC2:TGID_Z_EN: 0
; COMPUTE_PGM_RSRC2:TIDIG_COMP_CNT: 0
; COMPUTE_PGM_RSRC3_GFX90A:ACCUM_OFFSET: 5
; COMPUTE_PGM_RSRC3_GFX90A:TG_SPLIT: 0
	.section	.text._ZN9rocsparseL33bsr2csr_block_per_row_8_32_kernelILj1024ELj16EiilEEv20rocsparse_direction_T3_S2_21rocsparse_index_base_PKT1_PKT2_PKS2_S2_S3_PS4_PS7_PS2_,"axG",@progbits,_ZN9rocsparseL33bsr2csr_block_per_row_8_32_kernelILj1024ELj16EiilEEv20rocsparse_direction_T3_S2_21rocsparse_index_base_PKT1_PKT2_PKS2_S2_S3_PS4_PS7_PS2_,comdat
	.globl	_ZN9rocsparseL33bsr2csr_block_per_row_8_32_kernelILj1024ELj16EiilEEv20rocsparse_direction_T3_S2_21rocsparse_index_base_PKT1_PKT2_PKS2_S2_S3_PS4_PS7_PS2_ ; -- Begin function _ZN9rocsparseL33bsr2csr_block_per_row_8_32_kernelILj1024ELj16EiilEEv20rocsparse_direction_T3_S2_21rocsparse_index_base_PKT1_PKT2_PKS2_S2_S3_PS4_PS7_PS2_
	.p2align	8
	.type	_ZN9rocsparseL33bsr2csr_block_per_row_8_32_kernelILj1024ELj16EiilEEv20rocsparse_direction_T3_S2_21rocsparse_index_base_PKT1_PKT2_PKS2_S2_S3_PS4_PS7_PS2_,@function
_ZN9rocsparseL33bsr2csr_block_per_row_8_32_kernelILj1024ELj16EiilEEv20rocsparse_direction_T3_S2_21rocsparse_index_base_PKT1_PKT2_PKS2_S2_S3_PS4_PS7_PS2_: ; @_ZN9rocsparseL33bsr2csr_block_per_row_8_32_kernelILj1024ELj16EiilEEv20rocsparse_direction_T3_S2_21rocsparse_index_base_PKT1_PKT2_PKS2_S2_S3_PS4_PS7_PS2_
; %bb.0:
	s_load_dwordx2 s[0:1], s[4:5], 0x28
	s_load_dword s14, s[4:5], 0x40
	s_load_dwordx2 s[8:9], s[4:5], 0x50
	s_mov_b32 s7, 0
	s_lshl_b64 s[2:3], s[6:7], 2
	s_waitcnt lgkmcnt(0)
	s_add_u32 s10, s0, s2
	v_or_b32_e32 v1, s6, v0
	s_addc_u32 s11, s1, s3
	v_cmp_eq_u32_e32 vcc, 0, v1
	s_and_saveexec_b64 s[0:1], vcc
	s_cbranch_execz .LBB34_2
; %bb.1:
	v_mov_b32_e32 v1, 0
	v_mov_b32_e32 v2, s14
	global_store_dword v1, v2, s[8:9]
.LBB34_2:
	s_or_b64 exec, exec, s[0:1]
	s_load_dwordx2 s[2:3], s[4:5], 0x38
	v_mov_b32_e32 v7, 0
	v_and_b32_e32 v6, 15, v0
	v_bfe_u32 v8, v0, 4, 4
	v_mov_b32_e32 v9, v7
	s_waitcnt lgkmcnt(0)
	v_cmp_gt_i64_e32 vcc, s[2:3], v[8:9]
	v_cmp_gt_i64_e64 s[0:1], s[2:3], v[6:7]
	s_and_b64 s[0:1], vcc, s[0:1]
	s_and_saveexec_b64 s[12:13], s[0:1]
	s_cbranch_execz .LBB34_6
; %bb.3:
	s_load_dwordx2 s[0:1], s[10:11], 0x0
	s_load_dword s12, s[4:5], 0x18
	s_mul_i32 s10, s2, s2
	v_lshrrev_b32_e32 v1, 8, v0
	v_lshlrev_b32_e32 v5, 2, v8
	s_waitcnt lgkmcnt(0)
	s_sub_i32 s15, s0, s12
	s_sub_i32 s11, s1, s12
	;; [unrolled: 1-line block ×3, first 2 shown]
	s_mul_i32 s1, s16, s2
	s_mul_i32 s0, s10, s15
	v_mul_lo_u32 v0, s1, v8
	s_add_i32 s1, s1, s14
	s_add_i32 s1, s1, s0
	v_add_u32_e32 v0, s1, v0
	s_mul_i32 s0, s6, s3
	s_mul_hi_u32 s1, s6, s2
	s_add_i32 s1, s1, s0
	s_mul_i32 s0, s6, s2
	s_lshl_b64 s[0:1], s[0:1], 2
	s_add_u32 s0, s8, s0
	s_addc_u32 s1, s9, s1
	global_store_dword v5, v0, s[0:1] offset:4
	v_add_u32_e32 v0, s15, v1
	v_cmp_gt_i32_e32 vcc, s11, v0
	s_and_b64 exec, exec, vcc
	s_cbranch_execz .LBB34_6
; %bb.4:
	s_mul_i32 s13, s2, s3
	s_mul_hi_u32 s17, s2, s2
	s_add_i32 s17, s17, s13
	s_load_dwordx2 s[0:1], s[4:5], 0x30
	s_load_dwordx2 s[6:7], s[4:5], 0x48
	s_load_dwordx2 s[8:9], s[4:5], 0x58
	s_add_i32 s13, s17, s13
	s_load_dwordx2 s[18:19], s[4:5], 0x20
	s_load_dword s17, s[4:5], 0x0
	v_mad_u64_u32 v[10:11], s[4:5], v6, s2, 0
	v_mov_b32_e32 v4, v11
	v_mad_u64_u32 v[12:13], s[4:5], v6, s3, v[4:5]
	v_mov_b32_e32 v11, v12
	v_add_co_u32_e32 v2, vcc, s14, v6
	v_lshlrev_b64 v[10:11], 2, v[10:11]
	v_addc_co_u32_e64 v3, s[4:5], 0, 0, vcc
	s_waitcnt lgkmcnt(0)
	v_mov_b32_e32 v7, s19
	v_add_co_u32_e32 v9, vcc, s18, v10
	v_addc_co_u32_e32 v10, vcc, v7, v11, vcc
	v_add_co_u32_e32 v5, vcc, v9, v5
	v_addc_co_u32_e32 v9, vcc, 0, v10, vcc
	v_mad_u64_u32 v[10:11], s[4:5], v8, s2, 0
	v_mov_b32_e32 v12, v11
	v_mad_u64_u32 v[12:13], s[4:5], v8, s3, v[12:13]
	v_mov_b32_e32 v11, v12
	v_lshlrev_b64 v[10:11], 2, v[10:11]
	v_add_co_u32_e32 v10, vcc, s18, v10
	v_addc_co_u32_e32 v7, vcc, v7, v11, vcc
	v_lshlrev_b32_e32 v11, 2, v6
	v_add_co_u32_e32 v10, vcc, v10, v11
	s_cmp_eq_u32 s17, 0
	v_addc_co_u32_e32 v7, vcc, 0, v7, vcc
	s_cselect_b64 vcc, -1, 0
	v_cndmask_b32_e32 v10, v5, v10, vcc
	s_mul_i32 s4, s2, s15
	v_mul_lo_u32 v5, s16, v8
	v_cndmask_b32_e32 v7, v9, v7, vcc
	v_add3_u32 v1, v1, s4, v5
	s_mov_b32 s20, 0
	v_mad_u64_u32 v[8:9], s[4:5], s2, v1, v[6:7]
	s_lshl_b32 s14, s2, 2
	v_mov_b32_e32 v4, 0
	v_mov_b32_e32 v5, v8
	s_mov_b64 s[4:5], 0
	v_mov_b32_e32 v6, s1
	v_mov_b32_e32 v8, s20
	;; [unrolled: 1-line block ×5, first 2 shown]
.LBB34_5:                               ; =>This Inner Loop Header: Depth=1
	v_ashrrev_i32_e32 v1, 31, v0
	v_lshlrev_b64 v[16:17], 3, v[0:1]
	v_mul_lo_u32 v13, s13, v0
	v_mad_u64_u32 v[14:15], s[14:15], s10, v0, 0
	v_mul_lo_u32 v1, s10, v1
	v_add_co_u32_e32 v16, vcc, s0, v16
	v_addc_co_u32_e32 v17, vcc, v6, v17, vcc
	v_add3_u32 v15, v15, v1, v13
	global_load_dwordx2 v[16:17], v[16:17], off
	v_lshlrev_b64 v[14:15], 2, v[14:15]
	v_add_co_u32_e32 v14, vcc, v10, v14
	v_addc_co_u32_e32 v15, vcc, v7, v15, vcc
	global_load_dword v1, v[14:15], off
	v_ashrrev_i64 v[14:15], 29, v[4:5]
	v_ashrrev_i64 v[18:19], 30, v[4:5]
	v_add_co_u32_e32 v4, vcc, 0, v4
	v_addc_co_u32_e32 v5, vcc, v5, v12, vcc
	v_add_co_u32_e32 v14, vcc, s8, v14
	v_addc_co_u32_e32 v15, vcc, v9, v15, vcc
	v_add_co_u32_e32 v18, vcc, s6, v18
	v_addc_co_u32_e32 v19, vcc, v11, v19, vcc
	v_add_u32_e32 v0, 4, v0
	v_cmp_le_i32_e32 vcc, s11, v0
	s_or_b64 s[4:5], vcc, s[4:5]
	s_waitcnt vmcnt(1)
	v_subrev_co_u32_e32 v13, vcc, s12, v16
	v_subb_co_u32_e32 v16, vcc, v17, v8, vcc
	v_mul_lo_u32 v20, v13, s3
	v_mul_lo_u32 v21, v16, s2
	v_mad_u64_u32 v[16:17], s[14:15], v13, s2, v[2:3]
	v_add3_u32 v17, v21, v17, v20
	s_waitcnt vmcnt(0)
	global_store_dword v[18:19], v1, off
	global_store_dwordx2 v[14:15], v[16:17], off
	s_andn2_b64 exec, exec, s[4:5]
	s_cbranch_execnz .LBB34_5
.LBB34_6:
	s_endpgm
	.section	.rodata,"a",@progbits
	.p2align	6, 0x0
	.amdhsa_kernel _ZN9rocsparseL33bsr2csr_block_per_row_8_32_kernelILj1024ELj16EiilEEv20rocsparse_direction_T3_S2_21rocsparse_index_base_PKT1_PKT2_PKS2_S2_S3_PS4_PS7_PS2_
		.amdhsa_group_segment_fixed_size 0
		.amdhsa_private_segment_fixed_size 0
		.amdhsa_kernarg_size 96
		.amdhsa_user_sgpr_count 6
		.amdhsa_user_sgpr_private_segment_buffer 1
		.amdhsa_user_sgpr_dispatch_ptr 0
		.amdhsa_user_sgpr_queue_ptr 0
		.amdhsa_user_sgpr_kernarg_segment_ptr 1
		.amdhsa_user_sgpr_dispatch_id 0
		.amdhsa_user_sgpr_flat_scratch_init 0
		.amdhsa_user_sgpr_kernarg_preload_length 0
		.amdhsa_user_sgpr_kernarg_preload_offset 0
		.amdhsa_user_sgpr_private_segment_size 0
		.amdhsa_uses_dynamic_stack 0
		.amdhsa_system_sgpr_private_segment_wavefront_offset 0
		.amdhsa_system_sgpr_workgroup_id_x 1
		.amdhsa_system_sgpr_workgroup_id_y 0
		.amdhsa_system_sgpr_workgroup_id_z 0
		.amdhsa_system_sgpr_workgroup_info 0
		.amdhsa_system_vgpr_workitem_id 0
		.amdhsa_next_free_vgpr 22
		.amdhsa_next_free_sgpr 21
		.amdhsa_accum_offset 24
		.amdhsa_reserve_vcc 1
		.amdhsa_reserve_flat_scratch 0
		.amdhsa_float_round_mode_32 0
		.amdhsa_float_round_mode_16_64 0
		.amdhsa_float_denorm_mode_32 3
		.amdhsa_float_denorm_mode_16_64 3
		.amdhsa_dx10_clamp 1
		.amdhsa_ieee_mode 1
		.amdhsa_fp16_overflow 0
		.amdhsa_tg_split 0
		.amdhsa_exception_fp_ieee_invalid_op 0
		.amdhsa_exception_fp_denorm_src 0
		.amdhsa_exception_fp_ieee_div_zero 0
		.amdhsa_exception_fp_ieee_overflow 0
		.amdhsa_exception_fp_ieee_underflow 0
		.amdhsa_exception_fp_ieee_inexact 0
		.amdhsa_exception_int_div_zero 0
	.end_amdhsa_kernel
	.section	.text._ZN9rocsparseL33bsr2csr_block_per_row_8_32_kernelILj1024ELj16EiilEEv20rocsparse_direction_T3_S2_21rocsparse_index_base_PKT1_PKT2_PKS2_S2_S3_PS4_PS7_PS2_,"axG",@progbits,_ZN9rocsparseL33bsr2csr_block_per_row_8_32_kernelILj1024ELj16EiilEEv20rocsparse_direction_T3_S2_21rocsparse_index_base_PKT1_PKT2_PKS2_S2_S3_PS4_PS7_PS2_,comdat
.Lfunc_end34:
	.size	_ZN9rocsparseL33bsr2csr_block_per_row_8_32_kernelILj1024ELj16EiilEEv20rocsparse_direction_T3_S2_21rocsparse_index_base_PKT1_PKT2_PKS2_S2_S3_PS4_PS7_PS2_, .Lfunc_end34-_ZN9rocsparseL33bsr2csr_block_per_row_8_32_kernelILj1024ELj16EiilEEv20rocsparse_direction_T3_S2_21rocsparse_index_base_PKT1_PKT2_PKS2_S2_S3_PS4_PS7_PS2_
                                        ; -- End function
	.section	.AMDGPU.csdata,"",@progbits
; Kernel info:
; codeLenInByte = 732
; NumSgprs: 25
; NumVgprs: 22
; NumAgprs: 0
; TotalNumVgprs: 22
; ScratchSize: 0
; MemoryBound: 0
; FloatMode: 240
; IeeeMode: 1
; LDSByteSize: 0 bytes/workgroup (compile time only)
; SGPRBlocks: 3
; VGPRBlocks: 2
; NumSGPRsForWavesPerEU: 25
; NumVGPRsForWavesPerEU: 22
; AccumOffset: 24
; Occupancy: 8
; WaveLimiterHint : 0
; COMPUTE_PGM_RSRC2:SCRATCH_EN: 0
; COMPUTE_PGM_RSRC2:USER_SGPR: 6
; COMPUTE_PGM_RSRC2:TRAP_HANDLER: 0
; COMPUTE_PGM_RSRC2:TGID_X_EN: 1
; COMPUTE_PGM_RSRC2:TGID_Y_EN: 0
; COMPUTE_PGM_RSRC2:TGID_Z_EN: 0
; COMPUTE_PGM_RSRC2:TIDIG_COMP_CNT: 0
; COMPUTE_PGM_RSRC3_GFX90A:ACCUM_OFFSET: 5
; COMPUTE_PGM_RSRC3_GFX90A:TG_SPLIT: 0
	.section	.text._ZN9rocsparseL33bsr2csr_block_per_row_8_32_kernelILj1024ELj32EiilEEv20rocsparse_direction_T3_S2_21rocsparse_index_base_PKT1_PKT2_PKS2_S2_S3_PS4_PS7_PS2_,"axG",@progbits,_ZN9rocsparseL33bsr2csr_block_per_row_8_32_kernelILj1024ELj32EiilEEv20rocsparse_direction_T3_S2_21rocsparse_index_base_PKT1_PKT2_PKS2_S2_S3_PS4_PS7_PS2_,comdat
	.globl	_ZN9rocsparseL33bsr2csr_block_per_row_8_32_kernelILj1024ELj32EiilEEv20rocsparse_direction_T3_S2_21rocsparse_index_base_PKT1_PKT2_PKS2_S2_S3_PS4_PS7_PS2_ ; -- Begin function _ZN9rocsparseL33bsr2csr_block_per_row_8_32_kernelILj1024ELj32EiilEEv20rocsparse_direction_T3_S2_21rocsparse_index_base_PKT1_PKT2_PKS2_S2_S3_PS4_PS7_PS2_
	.p2align	8
	.type	_ZN9rocsparseL33bsr2csr_block_per_row_8_32_kernelILj1024ELj32EiilEEv20rocsparse_direction_T3_S2_21rocsparse_index_base_PKT1_PKT2_PKS2_S2_S3_PS4_PS7_PS2_,@function
_ZN9rocsparseL33bsr2csr_block_per_row_8_32_kernelILj1024ELj32EiilEEv20rocsparse_direction_T3_S2_21rocsparse_index_base_PKT1_PKT2_PKS2_S2_S3_PS4_PS7_PS2_: ; @_ZN9rocsparseL33bsr2csr_block_per_row_8_32_kernelILj1024ELj32EiilEEv20rocsparse_direction_T3_S2_21rocsparse_index_base_PKT1_PKT2_PKS2_S2_S3_PS4_PS7_PS2_
; %bb.0:
	s_load_dwordx2 s[0:1], s[4:5], 0x28
	s_load_dword s14, s[4:5], 0x40
	s_load_dwordx2 s[8:9], s[4:5], 0x50
	s_mov_b32 s7, 0
	s_lshl_b64 s[2:3], s[6:7], 2
	s_waitcnt lgkmcnt(0)
	s_add_u32 s10, s0, s2
	v_or_b32_e32 v1, s6, v0
	s_addc_u32 s11, s1, s3
	v_cmp_eq_u32_e32 vcc, 0, v1
	s_and_saveexec_b64 s[0:1], vcc
	s_cbranch_execz .LBB35_2
; %bb.1:
	v_mov_b32_e32 v1, 0
	v_mov_b32_e32 v2, s14
	global_store_dword v1, v2, s[8:9]
.LBB35_2:
	s_or_b64 exec, exec, s[0:1]
	s_load_dwordx2 s[2:3], s[4:5], 0x38
	v_mov_b32_e32 v5, 0
	v_and_b32_e32 v4, 31, v0
	v_lshrrev_b32_e32 v6, 5, v0
	v_mov_b32_e32 v7, v5
	s_waitcnt lgkmcnt(0)
	v_cmp_gt_i64_e32 vcc, s[2:3], v[6:7]
	v_cmp_gt_i64_e64 s[0:1], s[2:3], v[4:5]
	s_and_b64 s[0:1], vcc, s[0:1]
	s_and_saveexec_b64 s[12:13], s[0:1]
	s_cbranch_execz .LBB35_6
; %bb.3:
	s_load_dwordx2 s[16:17], s[10:11], 0x0
	s_load_dword s12, s[4:5], 0x18
	s_mul_i32 s10, s2, s2
	v_lshlrev_b32_e32 v3, 2, v6
	s_waitcnt lgkmcnt(0)
	s_sub_i32 s0, s16, s12
	s_sub_i32 s13, s17, s12
	;; [unrolled: 1-line block ×3, first 2 shown]
	s_mul_i32 s11, s1, s2
	s_mul_i32 s7, s10, s0
	v_mul_lo_u32 v0, s11, v6
	s_add_i32 s11, s11, s14
	s_add_i32 s11, s11, s7
	v_add_u32_e32 v0, s11, v0
	s_mul_i32 s7, s6, s3
	s_mul_hi_u32 s11, s6, s2
	s_add_i32 s7, s11, s7
	s_mul_i32 s6, s6, s2
	s_lshl_b64 s[6:7], s[6:7], 2
	s_add_u32 s6, s8, s6
	s_addc_u32 s7, s9, s7
	s_cmp_ge_i32 s16, s17
	global_store_dword v3, v0, s[6:7] offset:4
	s_cbranch_scc1 .LBB35_6
; %bb.4:
	s_mul_i32 s11, s2, s3
	s_mul_hi_u32 s15, s2, s2
	s_add_i32 s15, s15, s11
	s_load_dwordx2 s[16:17], s[4:5], 0x30
	s_load_dwordx2 s[6:7], s[4:5], 0x48
	;; [unrolled: 1-line block ×3, first 2 shown]
	s_add_i32 s11, s15, s11
	s_load_dwordx2 s[18:19], s[4:5], 0x20
	s_load_dword s15, s[4:5], 0x0
	v_mad_u64_u32 v[8:9], s[4:5], v4, s2, 0
	v_mov_b32_e32 v2, v9
	v_mad_u64_u32 v[10:11], s[4:5], v4, s3, v[2:3]
	v_mov_b32_e32 v9, v10
	v_add_co_u32_e32 v0, vcc, s14, v4
	v_lshlrev_b64 v[8:9], 2, v[8:9]
	v_addc_co_u32_e64 v1, s[4:5], 0, 0, vcc
	s_waitcnt lgkmcnt(0)
	v_mov_b32_e32 v5, s19
	v_add_co_u32_e32 v7, vcc, s18, v8
	v_addc_co_u32_e32 v8, vcc, v5, v9, vcc
	v_add_co_u32_e32 v3, vcc, v7, v3
	v_addc_co_u32_e32 v7, vcc, 0, v8, vcc
	v_mad_u64_u32 v[8:9], s[4:5], v6, s2, 0
	v_mov_b32_e32 v10, v9
	v_mad_u64_u32 v[10:11], s[4:5], v6, s3, v[10:11]
	v_mov_b32_e32 v9, v10
	v_lshlrev_b64 v[8:9], 2, v[8:9]
	v_add_co_u32_e32 v8, vcc, s18, v8
	v_addc_co_u32_e32 v5, vcc, v5, v9, vcc
	v_lshlrev_b32_e32 v9, 2, v4
	v_add_co_u32_e32 v8, vcc, v8, v9
	s_cmp_eq_u32 s15, 0
	v_addc_co_u32_e32 v5, vcc, 0, v5, vcc
	s_cselect_b64 vcc, -1, 0
	v_cndmask_b32_e32 v8, v3, v8, vcc
	s_mul_i32 s4, s2, s0
	v_mul_lo_u32 v3, v6, s1
	v_add_u32_e32 v3, s4, v3
	v_cndmask_b32_e32 v7, v7, v5, vcc
	v_mad_u64_u32 v[4:5], s[4:5], s2, v3, v[4:5]
	s_ashr_i32 s1, s0, 31
	s_lshl_b64 s[4:5], s[0:1], 3
	s_add_u32 s4, s16, s4
	s_mul_hi_u32 s14, s10, s0
	s_mul_i32 s1, s10, s1
	s_addc_u32 s5, s17, s5
	s_add_i32 s1, s14, s1
	s_mul_i32 s14, s11, s0
	s_add_i32 s15, s1, s14
	s_mul_i32 s14, s10, s0
	s_lshl_b64 s[14:15], s[14:15], 2
	v_mov_b32_e32 v3, v4
	v_mov_b32_e32 v5, s15
	v_add_co_u32_e32 v4, vcc, s14, v8
	s_lshl_b64 s[10:11], s[10:11], 2
	v_mov_b32_e32 v2, 0
	v_addc_co_u32_e32 v5, vcc, v7, v5, vcc
	v_mov_b32_e32 v6, s2
	v_mov_b32_e32 v7, s9
	;; [unrolled: 1-line block ×5, first 2 shown]
.LBB35_5:                               ; =>This Inner Loop Header: Depth=1
	global_load_dword v11, v[4:5], off
	s_load_dwordx2 s[14:15], s[4:5], 0x0
	v_ashrrev_i64 v[12:13], 29, v[2:3]
	v_ashrrev_i64 v[14:15], 30, v[2:3]
	v_add_co_u32_e32 v2, vcc, 0, v2
	v_addc_co_u32_e32 v3, vcc, v3, v9, vcc
	s_waitcnt lgkmcnt(0)
	s_sub_u32 s1, s14, s12
	v_add_co_u32_e32 v4, vcc, s10, v4
	s_subb_u32 s7, s15, 0
	v_addc_co_u32_e32 v5, vcc, v5, v10, vcc
	s_mul_i32 s9, s1, s3
	s_mul_i32 s7, s7, s2
	v_add_co_u32_e32 v12, vcc, s8, v12
	s_add_i32 s0, s0, 1
	s_add_i32 s9, s9, s7
	v_addc_co_u32_e32 v13, vcc, v7, v13, vcc
	s_add_u32 s4, s4, 8
	v_add_co_u32_e32 v14, vcc, s6, v14
	v_mad_u64_u32 v[16:17], s[14:15], s1, v6, v[0:1]
	s_addc_u32 s5, s5, 0
	v_addc_co_u32_e32 v15, vcc, v8, v15, vcc
	v_add_u32_e32 v17, s9, v17
	s_cmp_lt_i32 s0, s13
	global_store_dwordx2 v[12:13], v[16:17], off
	s_waitcnt vmcnt(1)
	global_store_dword v[14:15], v11, off
	s_cbranch_scc1 .LBB35_5
.LBB35_6:
	s_endpgm
	.section	.rodata,"a",@progbits
	.p2align	6, 0x0
	.amdhsa_kernel _ZN9rocsparseL33bsr2csr_block_per_row_8_32_kernelILj1024ELj32EiilEEv20rocsparse_direction_T3_S2_21rocsparse_index_base_PKT1_PKT2_PKS2_S2_S3_PS4_PS7_PS2_
		.amdhsa_group_segment_fixed_size 0
		.amdhsa_private_segment_fixed_size 0
		.amdhsa_kernarg_size 96
		.amdhsa_user_sgpr_count 6
		.amdhsa_user_sgpr_private_segment_buffer 1
		.amdhsa_user_sgpr_dispatch_ptr 0
		.amdhsa_user_sgpr_queue_ptr 0
		.amdhsa_user_sgpr_kernarg_segment_ptr 1
		.amdhsa_user_sgpr_dispatch_id 0
		.amdhsa_user_sgpr_flat_scratch_init 0
		.amdhsa_user_sgpr_kernarg_preload_length 0
		.amdhsa_user_sgpr_kernarg_preload_offset 0
		.amdhsa_user_sgpr_private_segment_size 0
		.amdhsa_uses_dynamic_stack 0
		.amdhsa_system_sgpr_private_segment_wavefront_offset 0
		.amdhsa_system_sgpr_workgroup_id_x 1
		.amdhsa_system_sgpr_workgroup_id_y 0
		.amdhsa_system_sgpr_workgroup_id_z 0
		.amdhsa_system_sgpr_workgroup_info 0
		.amdhsa_system_vgpr_workitem_id 0
		.amdhsa_next_free_vgpr 18
		.amdhsa_next_free_sgpr 20
		.amdhsa_accum_offset 20
		.amdhsa_reserve_vcc 1
		.amdhsa_reserve_flat_scratch 0
		.amdhsa_float_round_mode_32 0
		.amdhsa_float_round_mode_16_64 0
		.amdhsa_float_denorm_mode_32 3
		.amdhsa_float_denorm_mode_16_64 3
		.amdhsa_dx10_clamp 1
		.amdhsa_ieee_mode 1
		.amdhsa_fp16_overflow 0
		.amdhsa_tg_split 0
		.amdhsa_exception_fp_ieee_invalid_op 0
		.amdhsa_exception_fp_denorm_src 0
		.amdhsa_exception_fp_ieee_div_zero 0
		.amdhsa_exception_fp_ieee_overflow 0
		.amdhsa_exception_fp_ieee_underflow 0
		.amdhsa_exception_fp_ieee_inexact 0
		.amdhsa_exception_int_div_zero 0
	.end_amdhsa_kernel
	.section	.text._ZN9rocsparseL33bsr2csr_block_per_row_8_32_kernelILj1024ELj32EiilEEv20rocsparse_direction_T3_S2_21rocsparse_index_base_PKT1_PKT2_PKS2_S2_S3_PS4_PS7_PS2_,"axG",@progbits,_ZN9rocsparseL33bsr2csr_block_per_row_8_32_kernelILj1024ELj32EiilEEv20rocsparse_direction_T3_S2_21rocsparse_index_base_PKT1_PKT2_PKS2_S2_S3_PS4_PS7_PS2_,comdat
.Lfunc_end35:
	.size	_ZN9rocsparseL33bsr2csr_block_per_row_8_32_kernelILj1024ELj32EiilEEv20rocsparse_direction_T3_S2_21rocsparse_index_base_PKT1_PKT2_PKS2_S2_S3_PS4_PS7_PS2_, .Lfunc_end35-_ZN9rocsparseL33bsr2csr_block_per_row_8_32_kernelILj1024ELj32EiilEEv20rocsparse_direction_T3_S2_21rocsparse_index_base_PKT1_PKT2_PKS2_S2_S3_PS4_PS7_PS2_
                                        ; -- End function
	.section	.AMDGPU.csdata,"",@progbits
; Kernel info:
; codeLenInByte = 692
; NumSgprs: 24
; NumVgprs: 18
; NumAgprs: 0
; TotalNumVgprs: 18
; ScratchSize: 0
; MemoryBound: 0
; FloatMode: 240
; IeeeMode: 1
; LDSByteSize: 0 bytes/workgroup (compile time only)
; SGPRBlocks: 2
; VGPRBlocks: 2
; NumSGPRsForWavesPerEU: 24
; NumVGPRsForWavesPerEU: 18
; AccumOffset: 20
; Occupancy: 8
; WaveLimiterHint : 0
; COMPUTE_PGM_RSRC2:SCRATCH_EN: 0
; COMPUTE_PGM_RSRC2:USER_SGPR: 6
; COMPUTE_PGM_RSRC2:TRAP_HANDLER: 0
; COMPUTE_PGM_RSRC2:TGID_X_EN: 1
; COMPUTE_PGM_RSRC2:TGID_Y_EN: 0
; COMPUTE_PGM_RSRC2:TGID_Z_EN: 0
; COMPUTE_PGM_RSRC2:TIDIG_COMP_CNT: 0
; COMPUTE_PGM_RSRC3_GFX90A:ACCUM_OFFSET: 4
; COMPUTE_PGM_RSRC3_GFX90A:TG_SPLIT: 0
	.section	.text._ZN9rocsparseL35bsr2csr_block_per_row_33_256_kernelILj1024ELj64ELj32EiilEEv20rocsparse_direction_T4_S2_21rocsparse_index_base_PKT2_PKT3_PKS2_S2_S3_PS4_PS7_PS2_,"axG",@progbits,_ZN9rocsparseL35bsr2csr_block_per_row_33_256_kernelILj1024ELj64ELj32EiilEEv20rocsparse_direction_T4_S2_21rocsparse_index_base_PKT2_PKT3_PKS2_S2_S3_PS4_PS7_PS2_,comdat
	.globl	_ZN9rocsparseL35bsr2csr_block_per_row_33_256_kernelILj1024ELj64ELj32EiilEEv20rocsparse_direction_T4_S2_21rocsparse_index_base_PKT2_PKT3_PKS2_S2_S3_PS4_PS7_PS2_ ; -- Begin function _ZN9rocsparseL35bsr2csr_block_per_row_33_256_kernelILj1024ELj64ELj32EiilEEv20rocsparse_direction_T4_S2_21rocsparse_index_base_PKT2_PKT3_PKS2_S2_S3_PS4_PS7_PS2_
	.p2align	8
	.type	_ZN9rocsparseL35bsr2csr_block_per_row_33_256_kernelILj1024ELj64ELj32EiilEEv20rocsparse_direction_T4_S2_21rocsparse_index_base_PKT2_PKT3_PKS2_S2_S3_PS4_PS7_PS2_,@function
_ZN9rocsparseL35bsr2csr_block_per_row_33_256_kernelILj1024ELj64ELj32EiilEEv20rocsparse_direction_T4_S2_21rocsparse_index_base_PKT2_PKT3_PKS2_S2_S3_PS4_PS7_PS2_: ; @_ZN9rocsparseL35bsr2csr_block_per_row_33_256_kernelILj1024ELj64ELj32EiilEEv20rocsparse_direction_T4_S2_21rocsparse_index_base_PKT2_PKT3_PKS2_S2_S3_PS4_PS7_PS2_
; %bb.0:
	s_load_dwordx2 s[0:1], s[4:5], 0x28
	s_load_dword s26, s[4:5], 0x40
	s_load_dwordx2 s[2:3], s[4:5], 0x50
	s_mov_b32 s7, 0
	s_lshl_b64 s[8:9], s[6:7], 2
	s_waitcnt lgkmcnt(0)
	s_add_u32 s0, s0, s8
	s_addc_u32 s1, s1, s9
	s_load_dwordx2 s[0:1], s[0:1], 0x0
	v_or_b32_e32 v1, s6, v0
	v_cmp_eq_u32_e32 vcc, 0, v1
	s_and_saveexec_b64 s[8:9], vcc
	s_cbranch_execz .LBB36_2
; %bb.1:
	v_mov_b32_e32 v1, 0
	v_mov_b32_e32 v2, s26
	global_store_dword v1, v2, s[2:3]
.LBB36_2:
	s_or_b64 exec, exec, s[8:9]
	s_load_dword s27, s[4:5], 0x18
	s_load_dwordx2 s[8:9], s[4:5], 0x38
	v_mov_b32_e32 v3, 0
	v_lshrrev_b32_e32 v2, 5, v0
	v_lshlrev_b32_e32 v14, 2, v2
	s_waitcnt lgkmcnt(0)
	s_sub_i32 s10, s0, s27
	s_mul_i32 s7, s8, s9
	s_mul_hi_u32 s11, s8, s8
	s_sub_i32 s28, s1, s27
	s_add_i32 s11, s11, s7
	s_add_i32 s23, s11, s7
	s_sub_i32 s11, s28, s10
	s_mul_i32 s7, s6, s9
	s_mul_hi_u32 s12, s6, s8
	s_mul_i32 s16, s11, s8
	s_add_i32 s7, s12, s7
	s_mul_i32 s6, s6, s8
	s_add_i32 s15, s16, s26
	s_lshl_b64 s[6:7], s[6:7], 2
	s_mul_i32 s22, s8, s8
	s_add_u32 s6, s2, s6
	s_mul_i32 s14, s22, s10
	s_addc_u32 s7, s3, s7
	v_cmp_gt_i64_e32 vcc, s[8:9], v[2:3]
	s_and_saveexec_b64 s[2:3], vcc
	s_cbranch_execz .LBB36_4
; %bb.3:
	v_mul_lo_u32 v1, v2, s16
	s_add_i32 s12, s15, s14
	v_add_u32_e32 v1, s12, v1
	global_store_dword v14, v1, s[6:7] offset:4
.LBB36_4:
	s_or_b64 exec, exec, s[2:3]
	v_or_b32_e32 v4, 32, v2
	v_mov_b32_e32 v5, v3
	v_cmp_gt_i64_e64 s[2:3], s[8:9], v[4:5]
	s_and_saveexec_b64 s[12:13], s[2:3]
	s_cbranch_execz .LBB36_6
; %bb.5:
	s_add_u32 s6, s6, 4
	s_addc_u32 s7, s7, 0
	v_mul_lo_u32 v1, v4, s16
	s_add_i32 s15, s15, s14
	v_add_u32_e32 v1, s15, v1
	global_store_dword v14, v1, s[6:7] offset:128
.LBB36_6:
	s_or_b64 exec, exec, s[12:13]
	s_cmp_lt_i32 s0, s1
	s_cbranch_scc0 .LBB36_17
; %bb.7:
	s_load_dwordx2 s[24:25], s[4:5], 0x30
	s_load_dwordx2 s[12:13], s[4:5], 0x48
	s_load_dword s0, s[4:5], 0x0
	s_load_dwordx2 s[14:15], s[4:5], 0x20
	s_load_dwordx2 s[16:17], s[4:5], 0x58
	v_and_b32_e32 v0, 31, v0
	v_mov_b32_e32 v1, 0
	s_waitcnt lgkmcnt(0)
	s_cmp_eq_u32 s0, 0
	v_mul_lo_u32 v6, v2, s11
	v_or_b32_e32 v2, 32, v0
	v_mov_b32_e32 v3, v1
	s_cselect_b64 s[0:1], -1, 0
	v_cmp_gt_i64_e64 s[4:5], s[8:9], v[0:1]
	v_cmp_gt_i64_e64 s[6:7], s[8:9], v[2:3]
	v_mul_lo_u32 v3, v4, s11
	s_ashr_i32 s11, s10, 31
	s_and_b64 s[18:19], vcc, s[4:5]
	s_and_b64 s[20:21], vcc, s[6:7]
	s_and_b64 s[4:5], s[2:3], s[4:5]
	s_and_b64 s[2:3], s[2:3], s[6:7]
	s_lshl_b64 s[6:7], s[10:11], 3
	s_add_u32 s6, s24, s6
	s_mul_hi_u32 s24, s8, s10
	s_mul_i32 s11, s8, s11
	s_addc_u32 s7, s25, s7
	s_add_i32 s11, s24, s11
	s_mul_i32 s24, s9, s10
	s_mul_i32 s30, s8, s10
	s_add_i32 s31, s11, s24
	v_add_u32_e32 v6, s30, v6
	s_lshl_b64 s[24:25], s[30:31], 2
	v_mul_lo_u32 v7, s8, v6
	v_mov_b32_e32 v6, s25
	v_add_co_u32_e32 v10, vcc, s24, v14
	v_addc_co_u32_e32 v11, vcc, 0, v6, vcc
	s_movk_i32 s11, 0x80
	v_add_co_u32_e32 v8, vcc, s11, v10
	v_addc_co_u32_e32 v9, vcc, 0, v11, vcc
	v_lshlrev_b32_e32 v12, 2, v0
	v_mov_b32_e32 v13, v1
	v_add_u32_e32 v3, s30, v3
	v_mov_b32_e32 v4, v1
	v_mov_b32_e32 v15, v1
	v_mul_lo_u32 v1, s8, v9
	v_mul_lo_u32 v16, s9, v8
	v_mad_u64_u32 v[8:9], s[30:31], s8, v8, v[12:13]
	v_add3_u32 v9, v16, v9, v1
	v_mul_lo_u32 v1, s8, v11
	v_mul_lo_u32 v16, s9, v10
	v_mad_u64_u32 v[10:11], s[30:31], s8, v10, v[12:13]
	v_add3_u32 v11, v16, v11, v1
	v_add_co_u32_e32 v1, vcc, s24, v12
	v_addc_co_u32_e32 v6, vcc, 0, v6, vcc
	v_add_co_u32_e32 v12, vcc, s11, v1
	v_addc_co_u32_e32 v13, vcc, 0, v6, vcc
	v_mul_lo_u32 v16, s8, v13
	v_mul_lo_u32 v17, s9, v12
	v_mad_u64_u32 v[12:13], s[24:25], s8, v12, v[14:15]
	v_add3_u32 v13, v17, v13, v16
	v_mul_lo_u32 v6, s8, v6
	v_mul_lo_u32 v16, s9, v1
	v_mad_u64_u32 v[14:15], s[24:25], s8, v1, v[14:15]
	v_add3_u32 v15, v16, v15, v6
	v_mul_lo_u32 v3, s8, v3
	v_mov_b32_e32 v5, v0
	s_mov_b32 s29, s8
	s_lshl_b64 s[22:23], s[22:23], 2
	v_cndmask_b32_e64 v1, v15, v11, s[0:1]
	v_cndmask_b32_e64 v6, v14, v10, s[0:1]
	s_branch .LBB36_9
.LBB36_8:                               ;   in Loop: Header=BB36_9 Depth=1
	s_or_b64 exec, exec, s[24:25]
	s_add_i32 s10, s10, 1
	s_add_u32 s6, s6, 8
	s_addc_u32 s7, s7, 0
	s_add_u32 s14, s14, s22
	v_mov_b32_e32 v16, s29
	s_addc_u32 s15, s15, s23
	v_add_co_u32_e32 v4, vcc, 0, v4
	s_cmp_ge_i32 s10, s28
	v_addc_co_u32_e32 v5, vcc, v5, v16, vcc
	s_cbranch_scc1 .LBB36_17
.LBB36_9:                               ; =>This Inner Loop Header: Depth=1
	s_load_dwordx2 s[24:25], s[6:7], 0x0
	s_waitcnt lgkmcnt(0)
	s_sub_u32 s24, s24, s27
	s_subb_u32 s25, s25, 0
	s_mul_i32 s30, s24, s9
	s_mul_hi_u32 s31, s24, s8
	s_add_i32 s30, s31, s30
	s_mul_i32 s25, s25, s8
	s_add_i32 s25, s30, s25
	s_mul_i32 s24, s24, s8
	s_add_u32 s30, s24, s26
	s_addc_u32 s31, s25, 0
	s_and_saveexec_b64 s[24:25], s[18:19]
	s_cbranch_execnz .LBB36_13
; %bb.10:                               ;   in Loop: Header=BB36_9 Depth=1
	s_or_b64 exec, exec, s[24:25]
	s_and_saveexec_b64 s[24:25], s[20:21]
	s_cbranch_execnz .LBB36_14
.LBB36_11:                              ;   in Loop: Header=BB36_9 Depth=1
	s_or_b64 exec, exec, s[24:25]
	s_and_saveexec_b64 s[24:25], s[4:5]
	s_cbranch_execnz .LBB36_15
.LBB36_12:                              ;   in Loop: Header=BB36_9 Depth=1
	s_or_b64 exec, exec, s[24:25]
	s_and_saveexec_b64 s[24:25], s[2:3]
	s_cbranch_execz .LBB36_8
	s_branch .LBB36_16
.LBB36_13:                              ;   in Loop: Header=BB36_9 Depth=1
	v_mov_b32_e32 v17, s15
	v_add_co_u32_e32 v16, vcc, s14, v6
	v_addc_co_u32_e32 v17, vcc, v17, v1, vcc
	global_load_dword v22, v[16:17], off
	v_mov_b32_e32 v17, s31
	v_add_co_u32_e32 v16, vcc, s30, v0
	v_addc_co_u32_e32 v17, vcc, 0, v17, vcc
	v_add_co_u32_e32 v18, vcc, 0, v4
	v_addc_co_u32_e32 v19, vcc, v7, v5, vcc
	v_ashrrev_i64 v[20:21], 29, v[18:19]
	v_mov_b32_e32 v23, s17
	v_add_co_u32_e32 v20, vcc, s16, v20
	v_addc_co_u32_e32 v21, vcc, v23, v21, vcc
	global_store_dwordx2 v[20:21], v[16:17], off
	v_ashrrev_i64 v[16:17], 30, v[18:19]
	v_mov_b32_e32 v18, s13
	v_add_co_u32_e32 v16, vcc, s12, v16
	v_addc_co_u32_e32 v17, vcc, v18, v17, vcc
	s_waitcnt vmcnt(1)
	global_store_dword v[16:17], v22, off
	s_or_b64 exec, exec, s[24:25]
	s_and_saveexec_b64 s[24:25], s[20:21]
	s_cbranch_execz .LBB36_11
.LBB36_14:                              ;   in Loop: Header=BB36_9 Depth=1
	v_mov_b32_e32 v16, s15
	v_add_co_u32_e32 v17, vcc, s14, v10
	v_addc_co_u32_e32 v18, vcc, v16, v11, vcc
	v_add_co_u32_e32 v19, vcc, s11, v17
	v_addc_co_u32_e32 v17, vcc, 0, v18, vcc
	v_add_co_u32_e32 v18, vcc, s14, v12
	v_addc_co_u32_e32 v16, vcc, v16, v13, vcc
	v_cndmask_b32_e64 v17, v16, v17, s[0:1]
	v_cndmask_b32_e64 v16, v18, v19, s[0:1]
	global_load_dword v22, v[16:17], off
	v_mov_b32_e32 v17, s31
	v_add_co_u32_e32 v16, vcc, s30, v2
	v_addc_co_u32_e32 v17, vcc, 0, v17, vcc
	v_add_co_u32_e32 v18, vcc, 0, v4
	v_addc_co_u32_e32 v19, vcc, v7, v5, vcc
	;; [unrolled: 2-line block ×3, first 2 shown]
	v_ashrrev_i64 v[20:21], 29, v[18:19]
	v_mov_b32_e32 v23, s17
	v_add_co_u32_e32 v20, vcc, s16, v20
	v_addc_co_u32_e32 v21, vcc, v23, v21, vcc
	global_store_dwordx2 v[20:21], v[16:17], off
	v_ashrrev_i64 v[16:17], 30, v[18:19]
	v_mov_b32_e32 v18, s13
	v_add_co_u32_e32 v16, vcc, s12, v16
	v_addc_co_u32_e32 v17, vcc, v18, v17, vcc
	s_waitcnt vmcnt(1)
	global_store_dword v[16:17], v22, off
	s_or_b64 exec, exec, s[24:25]
	s_and_saveexec_b64 s[24:25], s[4:5]
	s_cbranch_execz .LBB36_12
.LBB36_15:                              ;   in Loop: Header=BB36_9 Depth=1
	v_mov_b32_e32 v16, s15
	v_add_co_u32_e32 v18, vcc, s14, v8
	v_addc_co_u32_e32 v17, vcc, v16, v9, vcc
	v_add_co_u32_e32 v19, vcc, s14, v14
	v_addc_co_u32_e32 v16, vcc, v16, v15, vcc
	;; [unrolled: 2-line block ×3, first 2 shown]
	v_cndmask_b32_e64 v17, v16, v17, s[0:1]
	v_cndmask_b32_e64 v16, v19, v18, s[0:1]
	global_load_dword v22, v[16:17], off
	v_mov_b32_e32 v17, s31
	v_add_co_u32_e32 v16, vcc, s30, v0
	v_addc_co_u32_e32 v17, vcc, 0, v17, vcc
	v_add_co_u32_e32 v18, vcc, 0, v4
	v_addc_co_u32_e32 v19, vcc, v3, v5, vcc
	v_ashrrev_i64 v[20:21], 29, v[18:19]
	v_mov_b32_e32 v23, s17
	v_add_co_u32_e32 v20, vcc, s16, v20
	v_addc_co_u32_e32 v21, vcc, v23, v21, vcc
	global_store_dwordx2 v[20:21], v[16:17], off
	v_ashrrev_i64 v[16:17], 30, v[18:19]
	v_mov_b32_e32 v18, s13
	v_add_co_u32_e32 v16, vcc, s12, v16
	v_addc_co_u32_e32 v17, vcc, v18, v17, vcc
	s_waitcnt vmcnt(1)
	global_store_dword v[16:17], v22, off
	s_or_b64 exec, exec, s[24:25]
	s_and_saveexec_b64 s[24:25], s[2:3]
	s_cbranch_execz .LBB36_8
.LBB36_16:                              ;   in Loop: Header=BB36_9 Depth=1
	v_cndmask_b32_e64 v16, v12, v8, s[0:1]
	v_cndmask_b32_e64 v17, v13, v9, s[0:1]
	v_mov_b32_e32 v18, s15
	v_add_co_u32_e32 v16, vcc, s14, v16
	v_addc_co_u32_e32 v17, vcc, v18, v17, vcc
	global_load_dword v22, v[16:17], off offset:128
	v_mov_b32_e32 v17, s31
	v_add_co_u32_e32 v16, vcc, s30, v2
	v_addc_co_u32_e32 v17, vcc, 0, v17, vcc
	v_add_co_u32_e32 v18, vcc, 0, v4
	v_addc_co_u32_e32 v19, vcc, v3, v5, vcc
	;; [unrolled: 2-line block ×3, first 2 shown]
	v_ashrrev_i64 v[20:21], 29, v[18:19]
	v_mov_b32_e32 v23, s17
	v_add_co_u32_e32 v20, vcc, s16, v20
	v_addc_co_u32_e32 v21, vcc, v23, v21, vcc
	global_store_dwordx2 v[20:21], v[16:17], off
	v_ashrrev_i64 v[16:17], 30, v[18:19]
	v_mov_b32_e32 v18, s13
	v_add_co_u32_e32 v16, vcc, s12, v16
	v_addc_co_u32_e32 v17, vcc, v18, v17, vcc
	s_waitcnt vmcnt(1)
	global_store_dword v[16:17], v22, off
	s_branch .LBB36_8
.LBB36_17:
	s_endpgm
	.section	.rodata,"a",@progbits
	.p2align	6, 0x0
	.amdhsa_kernel _ZN9rocsparseL35bsr2csr_block_per_row_33_256_kernelILj1024ELj64ELj32EiilEEv20rocsparse_direction_T4_S2_21rocsparse_index_base_PKT2_PKT3_PKS2_S2_S3_PS4_PS7_PS2_
		.amdhsa_group_segment_fixed_size 0
		.amdhsa_private_segment_fixed_size 0
		.amdhsa_kernarg_size 96
		.amdhsa_user_sgpr_count 6
		.amdhsa_user_sgpr_private_segment_buffer 1
		.amdhsa_user_sgpr_dispatch_ptr 0
		.amdhsa_user_sgpr_queue_ptr 0
		.amdhsa_user_sgpr_kernarg_segment_ptr 1
		.amdhsa_user_sgpr_dispatch_id 0
		.amdhsa_user_sgpr_flat_scratch_init 0
		.amdhsa_user_sgpr_kernarg_preload_length 0
		.amdhsa_user_sgpr_kernarg_preload_offset 0
		.amdhsa_user_sgpr_private_segment_size 0
		.amdhsa_uses_dynamic_stack 0
		.amdhsa_system_sgpr_private_segment_wavefront_offset 0
		.amdhsa_system_sgpr_workgroup_id_x 1
		.amdhsa_system_sgpr_workgroup_id_y 0
		.amdhsa_system_sgpr_workgroup_id_z 0
		.amdhsa_system_sgpr_workgroup_info 0
		.amdhsa_system_vgpr_workitem_id 0
		.amdhsa_next_free_vgpr 24
		.amdhsa_next_free_sgpr 32
		.amdhsa_accum_offset 24
		.amdhsa_reserve_vcc 1
		.amdhsa_reserve_flat_scratch 0
		.amdhsa_float_round_mode_32 0
		.amdhsa_float_round_mode_16_64 0
		.amdhsa_float_denorm_mode_32 3
		.amdhsa_float_denorm_mode_16_64 3
		.amdhsa_dx10_clamp 1
		.amdhsa_ieee_mode 1
		.amdhsa_fp16_overflow 0
		.amdhsa_tg_split 0
		.amdhsa_exception_fp_ieee_invalid_op 0
		.amdhsa_exception_fp_denorm_src 0
		.amdhsa_exception_fp_ieee_div_zero 0
		.amdhsa_exception_fp_ieee_overflow 0
		.amdhsa_exception_fp_ieee_underflow 0
		.amdhsa_exception_fp_ieee_inexact 0
		.amdhsa_exception_int_div_zero 0
	.end_amdhsa_kernel
	.section	.text._ZN9rocsparseL35bsr2csr_block_per_row_33_256_kernelILj1024ELj64ELj32EiilEEv20rocsparse_direction_T4_S2_21rocsparse_index_base_PKT2_PKT3_PKS2_S2_S3_PS4_PS7_PS2_,"axG",@progbits,_ZN9rocsparseL35bsr2csr_block_per_row_33_256_kernelILj1024ELj64ELj32EiilEEv20rocsparse_direction_T4_S2_21rocsparse_index_base_PKT2_PKT3_PKS2_S2_S3_PS4_PS7_PS2_,comdat
.Lfunc_end36:
	.size	_ZN9rocsparseL35bsr2csr_block_per_row_33_256_kernelILj1024ELj64ELj32EiilEEv20rocsparse_direction_T4_S2_21rocsparse_index_base_PKT2_PKT3_PKS2_S2_S3_PS4_PS7_PS2_, .Lfunc_end36-_ZN9rocsparseL35bsr2csr_block_per_row_33_256_kernelILj1024ELj64ELj32EiilEEv20rocsparse_direction_T4_S2_21rocsparse_index_base_PKT2_PKT3_PKS2_S2_S3_PS4_PS7_PS2_
                                        ; -- End function
	.section	.AMDGPU.csdata,"",@progbits
; Kernel info:
; codeLenInByte = 1388
; NumSgprs: 36
; NumVgprs: 24
; NumAgprs: 0
; TotalNumVgprs: 24
; ScratchSize: 0
; MemoryBound: 0
; FloatMode: 240
; IeeeMode: 1
; LDSByteSize: 0 bytes/workgroup (compile time only)
; SGPRBlocks: 4
; VGPRBlocks: 2
; NumSGPRsForWavesPerEU: 36
; NumVGPRsForWavesPerEU: 24
; AccumOffset: 24
; Occupancy: 8
; WaveLimiterHint : 1
; COMPUTE_PGM_RSRC2:SCRATCH_EN: 0
; COMPUTE_PGM_RSRC2:USER_SGPR: 6
; COMPUTE_PGM_RSRC2:TRAP_HANDLER: 0
; COMPUTE_PGM_RSRC2:TGID_X_EN: 1
; COMPUTE_PGM_RSRC2:TGID_Y_EN: 0
; COMPUTE_PGM_RSRC2:TGID_Z_EN: 0
; COMPUTE_PGM_RSRC2:TIDIG_COMP_CNT: 0
; COMPUTE_PGM_RSRC3_GFX90A:ACCUM_OFFSET: 5
; COMPUTE_PGM_RSRC3_GFX90A:TG_SPLIT: 0
	.section	.text._ZN9rocsparseL35bsr2csr_block_per_row_33_256_kernelILj1024ELj128ELj32EiilEEv20rocsparse_direction_T4_S2_21rocsparse_index_base_PKT2_PKT3_PKS2_S2_S3_PS4_PS7_PS2_,"axG",@progbits,_ZN9rocsparseL35bsr2csr_block_per_row_33_256_kernelILj1024ELj128ELj32EiilEEv20rocsparse_direction_T4_S2_21rocsparse_index_base_PKT2_PKT3_PKS2_S2_S3_PS4_PS7_PS2_,comdat
	.globl	_ZN9rocsparseL35bsr2csr_block_per_row_33_256_kernelILj1024ELj128ELj32EiilEEv20rocsparse_direction_T4_S2_21rocsparse_index_base_PKT2_PKT3_PKS2_S2_S3_PS4_PS7_PS2_ ; -- Begin function _ZN9rocsparseL35bsr2csr_block_per_row_33_256_kernelILj1024ELj128ELj32EiilEEv20rocsparse_direction_T4_S2_21rocsparse_index_base_PKT2_PKT3_PKS2_S2_S3_PS4_PS7_PS2_
	.p2align	8
	.type	_ZN9rocsparseL35bsr2csr_block_per_row_33_256_kernelILj1024ELj128ELj32EiilEEv20rocsparse_direction_T4_S2_21rocsparse_index_base_PKT2_PKT3_PKS2_S2_S3_PS4_PS7_PS2_,@function
_ZN9rocsparseL35bsr2csr_block_per_row_33_256_kernelILj1024ELj128ELj32EiilEEv20rocsparse_direction_T4_S2_21rocsparse_index_base_PKT2_PKT3_PKS2_S2_S3_PS4_PS7_PS2_: ; @_ZN9rocsparseL35bsr2csr_block_per_row_33_256_kernelILj1024ELj128ELj32EiilEEv20rocsparse_direction_T4_S2_21rocsparse_index_base_PKT2_PKT3_PKS2_S2_S3_PS4_PS7_PS2_
; %bb.0:
	s_load_dwordx2 s[0:1], s[4:5], 0x28
	s_load_dword s33, s[4:5], 0x40
	s_load_dwordx2 s[2:3], s[4:5], 0x50
	s_mov_b32 s7, 0
	s_lshl_b64 s[8:9], s[6:7], 2
	s_waitcnt lgkmcnt(0)
	s_add_u32 s0, s0, s8
	s_addc_u32 s1, s1, s9
	s_load_dwordx2 s[0:1], s[0:1], 0x0
	v_or_b32_e32 v1, s6, v0
	v_cmp_eq_u32_e32 vcc, 0, v1
	s_and_saveexec_b64 s[8:9], vcc
	s_cbranch_execz .LBB37_2
; %bb.1:
	v_mov_b32_e32 v1, 0
	v_mov_b32_e32 v2, s33
	global_store_dword v1, v2, s[2:3]
.LBB37_2:
	s_or_b64 exec, exec, s[8:9]
	s_load_dword s52, s[4:5], 0x18
	s_load_dwordx2 s[16:17], s[4:5], 0x38
	v_mov_b32_e32 v9, 0
	v_lshrrev_b32_e32 v8, 5, v0
	v_lshlrev_b32_e32 v30, 2, v8
	s_waitcnt lgkmcnt(0)
	s_sub_i32 s18, s0, s52
	s_mul_i32 s7, s16, s17
	s_mul_hi_u32 s8, s16, s16
	s_sub_i32 s53, s1, s52
	s_add_i32 s8, s8, s7
	s_add_i32 s49, s8, s7
	s_sub_i32 s19, s53, s18
	s_mul_i32 s7, s6, s17
	s_mul_hi_u32 s8, s6, s16
	s_mul_i32 s20, s19, s16
	s_add_i32 s7, s8, s7
	s_mul_i32 s6, s6, s16
	s_add_i32 s15, s20, s33
	s_lshl_b64 s[6:7], s[6:7], 2
	s_mul_i32 s48, s16, s16
	s_add_u32 s2, s2, s6
	s_mul_i32 s14, s48, s18
	s_addc_u32 s3, s3, s7
	v_cmp_gt_i64_e32 vcc, s[16:17], v[8:9]
	s_and_saveexec_b64 s[6:7], vcc
	s_cbranch_execz .LBB37_4
; %bb.3:
	v_mul_lo_u32 v1, v8, s20
	s_add_i32 s8, s15, s14
	v_add_u32_e32 v1, s8, v1
	global_store_dword v30, v1, s[2:3] offset:4
.LBB37_4:
	s_or_b64 exec, exec, s[6:7]
	s_add_u32 s10, s2, 4
	v_or_b32_e32 v12, 32, v8
	v_mov_b32_e32 v13, v9
	s_addc_u32 s11, s3, 0
	v_cmp_gt_i64_e64 s[2:3], s[16:17], v[12:13]
	s_and_saveexec_b64 s[6:7], s[2:3]
	s_cbranch_execz .LBB37_6
; %bb.5:
	v_mul_lo_u32 v1, v12, s20
	s_add_i32 s8, s15, s14
	v_add_u32_e32 v1, s8, v1
	global_store_dword v30, v1, s[10:11] offset:128
.LBB37_6:
	s_or_b64 exec, exec, s[6:7]
	v_or_b32_e32 v10, 64, v8
	v_mov_b32_e32 v11, v9
	v_cmp_gt_i64_e64 s[6:7], s[16:17], v[10:11]
	s_and_saveexec_b64 s[8:9], s[6:7]
	s_cbranch_execz .LBB37_8
; %bb.7:
	v_mul_lo_u32 v1, v10, s20
	s_add_i32 s12, s15, s14
	v_add_u32_e32 v1, s12, v1
	global_store_dword v30, v1, s[10:11] offset:256
.LBB37_8:
	s_or_b64 exec, exec, s[8:9]
	v_or_b32_e32 v2, 0x60, v8
	v_mov_b32_e32 v3, v9
	v_cmp_gt_i64_e64 s[8:9], s[16:17], v[2:3]
	s_and_saveexec_b64 s[12:13], s[8:9]
	s_cbranch_execz .LBB37_10
; %bb.9:
	v_mul_lo_u32 v1, v2, s20
	s_add_i32 s15, s15, s14
	v_add_u32_e32 v1, s15, v1
	global_store_dword v30, v1, s[10:11] offset:384
.LBB37_10:
	s_or_b64 exec, exec, s[12:13]
	s_cmp_lt_i32 s0, s1
	s_cbranch_scc0 .LBB37_45
; %bb.11:
	s_load_dwordx2 s[50:51], s[4:5], 0x30
	s_load_dwordx2 s[20:21], s[4:5], 0x48
	s_load_dword s0, s[4:5], 0x0
	s_load_dwordx2 s[22:23], s[4:5], 0x20
	s_load_dwordx2 s[24:25], s[4:5], 0x58
	v_and_b32_e32 v0, 31, v0
	v_mov_b32_e32 v1, 0
	v_or_b32_e32 v4, 64, v0
	v_mov_b32_e32 v5, v1
	s_waitcnt lgkmcnt(0)
	s_cmp_eq_u32 s0, 0
	v_or_b32_e32 v2, 32, v0
	v_mov_b32_e32 v3, v1
	v_cmp_gt_i64_e64 s[12:13], s[16:17], v[4:5]
	v_or_b32_e32 v6, 0x60, v0
	v_mov_b32_e32 v7, v1
	v_or_b32_e32 v5, 0x60, v8
	s_cselect_b64 s[0:1], -1, 0
	v_mul_lo_u32 v11, v8, s19
	v_cmp_gt_i64_e64 s[4:5], s[16:17], v[0:1]
	v_cmp_gt_i64_e64 s[10:11], s[16:17], v[2:3]
	;; [unrolled: 1-line block ×3, first 2 shown]
	v_mul_lo_u32 v5, v5, s19
	v_mul_lo_u32 v7, v10, s19
	;; [unrolled: 1-line block ×3, first 2 shown]
	s_ashr_i32 s19, s18, 31
	s_and_b64 s[26:27], vcc, s[4:5]
	s_and_b64 s[28:29], vcc, s[10:11]
	;; [unrolled: 1-line block ×4, first 2 shown]
	s_and_b64 s[36:37], s[2:3], s[4:5]
	s_and_b64 s[38:39], s[2:3], s[10:11]
	;; [unrolled: 1-line block ×12, first 2 shown]
	s_lshl_b64 s[14:15], s[18:19], 3
	s_mul_i32 s56, s16, s18
	s_add_u32 s14, s50, s14
	s_mul_hi_u32 s50, s16, s18
	s_mul_i32 s19, s16, s19
	v_add_u32_e32 v5, s56, v5
	s_addc_u32 s15, s51, s15
	s_add_i32 s19, s50, s19
	s_mul_i32 s50, s17, s18
	v_mul_lo_u32 v5, s16, v5
	v_mov_b32_e32 v13, 0x60
	v_add_co_u32_e64 v8, vcc, 0, 0
	s_add_i32 s57, s19, s50
	v_addc_co_u32_e32 v5, vcc, v5, v13, vcc
	s_lshl_b64 s[50:51], s[56:57], 2
	v_mov_b32_e32 v15, s51
	v_add_co_u32_e32 v22, vcc, s50, v30
	v_addc_co_u32_e32 v23, vcc, 0, v15, vcc
	s_movk_i32 s19, 0x180
	v_add_co_u32_e32 v16, vcc, s19, v22
	v_addc_co_u32_e32 v17, vcc, 0, v23, vcc
	v_lshlrev_b32_e32 v24, 2, v0
	v_mov_b32_e32 v25, v1
	v_add_u32_e32 v7, s56, v7
	v_mov_b32_e32 v10, v1
	v_add_u32_e32 v9, s56, v9
	;; [unrolled: 2-line block ×3, first 2 shown]
	v_mov_b32_e32 v14, v1
	v_mov_b32_e32 v31, v1
	v_mul_lo_u32 v1, s16, v17
	v_mul_lo_u32 v18, s17, v16
	v_mad_u64_u32 v[16:17], s[56:57], s16, v16, v[24:25]
	s_movk_i32 s55, 0x100
	v_add3_u32 v17, v18, v17, v1
	v_add_co_u32_e32 v1, vcc, s55, v22
	v_addc_co_u32_e32 v18, vcc, 0, v23, vcc
	v_mul_lo_u32 v20, s16, v18
	v_mad_u64_u32 v[18:19], s[56:57], s16, v1, v[24:25]
	s_movk_i32 s56, 0x80
	v_mul_lo_u32 v21, s17, v1
	v_add_co_u32_e32 v1, vcc, s56, v22
	v_add3_u32 v19, v21, v19, v20
	v_addc_co_u32_e32 v20, vcc, 0, v23, vcc
	v_mul_lo_u32 v26, s16, v20
	v_mul_lo_u32 v27, s17, v1
	v_mad_u64_u32 v[20:21], s[58:59], s16, v1, v[24:25]
	v_add3_u32 v21, v27, v21, v26
	v_mul_lo_u32 v1, s16, v23
	v_mul_lo_u32 v26, s17, v22
	v_mad_u64_u32 v[22:23], s[58:59], s16, v22, v[24:25]
	v_add3_u32 v23, v26, v23, v1
	v_add_co_u32_e32 v1, vcc, s50, v24
	v_addc_co_u32_e32 v15, vcc, 0, v15, vcc
	v_add_co_u32_e32 v24, vcc, s19, v1
	v_addc_co_u32_e32 v25, vcc, 0, v15, vcc
	v_mul_lo_u32 v26, s16, v25
	v_mul_lo_u32 v27, s17, v24
	v_mad_u64_u32 v[24:25], s[50:51], s16, v24, v[30:31]
	v_add3_u32 v25, v27, v25, v26
	v_add_co_u32_e32 v26, vcc, s55, v1
	v_addc_co_u32_e32 v27, vcc, 0, v15, vcc
	v_mul_lo_u32 v28, s16, v27
	v_mul_lo_u32 v29, s17, v26
	v_mad_u64_u32 v[26:27], s[50:51], s16, v26, v[30:31]
	v_add3_u32 v27, v29, v27, v28
	;; [unrolled: 6-line block ×3, first 2 shown]
	v_mul_lo_u32 v15, s16, v15
	v_mul_lo_u32 v32, s17, v1
	v_mad_u64_u32 v[30:31], s[50:51], s16, v1, v[30:31]
	v_mov_b32_e32 v3, v0
	s_mov_b32 s54, s16
	v_mul_lo_u32 v7, s16, v7
	v_mul_lo_u32 v9, s16, v9
	;; [unrolled: 1-line block ×3, first 2 shown]
	s_lshl_b64 s[48:49], s[48:49], 2
	v_add3_u32 v31, v32, v31, v15
	v_mov_b32_e32 v1, 0xffffffa0
	v_not_b32_e32 v15, 63
	v_not_b32_e32 v32, 31
	s_branch .LBB37_13
.LBB37_12:                              ;   in Loop: Header=BB37_13 Depth=1
	s_or_b64 exec, exec, s[50:51]
	v_mov_b32_e32 v33, s54
	v_add_co_u32_e32 v8, vcc, 0, v8
	v_addc_co_u32_e32 v5, vcc, v5, v33, vcc
	s_add_i32 s18, s18, 1
	v_add_co_u32_e32 v10, vcc, 0, v10
	v_addc_co_u32_e32 v7, vcc, v7, v33, vcc
	s_add_u32 s14, s14, 8
	v_add_co_u32_e32 v12, vcc, 0, v12
	s_addc_u32 s15, s15, 0
	v_addc_co_u32_e32 v9, vcc, v9, v33, vcc
	s_add_u32 s22, s22, s48
	s_addc_u32 s23, s23, s49
	v_add_co_u32_e32 v14, vcc, 0, v14
	s_cmp_ge_i32 s18, s53
	v_addc_co_u32_e32 v11, vcc, v11, v33, vcc
	s_cbranch_scc1 .LBB37_45
.LBB37_13:                              ; =>This Inner Loop Header: Depth=1
	s_load_dwordx2 s[50:51], s[14:15], 0x0
	s_waitcnt lgkmcnt(0)
	s_sub_u32 s50, s50, s52
	s_subb_u32 s51, s51, 0
	s_mul_i32 s57, s50, s17
	s_mul_hi_u32 s58, s50, s16
	s_add_i32 s57, s58, s57
	s_mul_i32 s51, s51, s16
	s_add_i32 s51, s57, s51
	s_mul_i32 s50, s50, s16
	s_add_u32 s57, s50, s33
	s_addc_u32 s58, s51, 0
	s_and_saveexec_b64 s[50:51], s[26:27]
	s_cbranch_execnz .LBB37_29
; %bb.14:                               ;   in Loop: Header=BB37_13 Depth=1
	s_or_b64 exec, exec, s[50:51]
	s_and_saveexec_b64 s[50:51], s[28:29]
	s_cbranch_execnz .LBB37_30
.LBB37_15:                              ;   in Loop: Header=BB37_13 Depth=1
	s_or_b64 exec, exec, s[50:51]
	s_and_saveexec_b64 s[50:51], s[30:31]
	s_cbranch_execnz .LBB37_31
.LBB37_16:                              ;   in Loop: Header=BB37_13 Depth=1
	s_or_b64 exec, exec, s[50:51]
	s_and_saveexec_b64 s[50:51], s[34:35]
	s_cbranch_execnz .LBB37_32
.LBB37_17:                              ;   in Loop: Header=BB37_13 Depth=1
	s_or_b64 exec, exec, s[50:51]
	s_and_saveexec_b64 s[50:51], s[36:37]
	s_cbranch_execnz .LBB37_33
.LBB37_18:                              ;   in Loop: Header=BB37_13 Depth=1
	s_or_b64 exec, exec, s[50:51]
	s_and_saveexec_b64 s[50:51], s[38:39]
	s_cbranch_execnz .LBB37_34
.LBB37_19:                              ;   in Loop: Header=BB37_13 Depth=1
	s_or_b64 exec, exec, s[50:51]
	s_and_saveexec_b64 s[50:51], s[40:41]
	s_cbranch_execnz .LBB37_35
.LBB37_20:                              ;   in Loop: Header=BB37_13 Depth=1
	s_or_b64 exec, exec, s[50:51]
	s_and_saveexec_b64 s[50:51], s[2:3]
	s_cbranch_execnz .LBB37_36
.LBB37_21:                              ;   in Loop: Header=BB37_13 Depth=1
	s_or_b64 exec, exec, s[50:51]
	s_and_saveexec_b64 s[50:51], s[42:43]
	s_cbranch_execnz .LBB37_37
.LBB37_22:                              ;   in Loop: Header=BB37_13 Depth=1
	s_or_b64 exec, exec, s[50:51]
	s_and_saveexec_b64 s[50:51], s[44:45]
	s_cbranch_execnz .LBB37_38
.LBB37_23:                              ;   in Loop: Header=BB37_13 Depth=1
	s_or_b64 exec, exec, s[50:51]
	s_and_saveexec_b64 s[50:51], s[46:47]
	s_cbranch_execnz .LBB37_39
.LBB37_24:                              ;   in Loop: Header=BB37_13 Depth=1
	s_or_b64 exec, exec, s[50:51]
	s_and_saveexec_b64 s[50:51], s[6:7]
	s_cbranch_execnz .LBB37_40
.LBB37_25:                              ;   in Loop: Header=BB37_13 Depth=1
	s_or_b64 exec, exec, s[50:51]
	s_and_saveexec_b64 s[50:51], s[4:5]
	s_cbranch_execnz .LBB37_41
.LBB37_26:                              ;   in Loop: Header=BB37_13 Depth=1
	s_or_b64 exec, exec, s[50:51]
	s_and_saveexec_b64 s[50:51], s[10:11]
	s_cbranch_execnz .LBB37_42
.LBB37_27:                              ;   in Loop: Header=BB37_13 Depth=1
	s_or_b64 exec, exec, s[50:51]
	s_and_saveexec_b64 s[50:51], s[12:13]
	s_cbranch_execnz .LBB37_43
.LBB37_28:                              ;   in Loop: Header=BB37_13 Depth=1
	s_or_b64 exec, exec, s[50:51]
	s_and_saveexec_b64 s[50:51], s[8:9]
	s_cbranch_execz .LBB37_12
	s_branch .LBB37_44
.LBB37_29:                              ;   in Loop: Header=BB37_13 Depth=1
	v_cndmask_b32_e64 v34, v30, v22, s[0:1]
	v_cndmask_b32_e64 v33, v31, v23, s[0:1]
	v_mov_b32_e32 v35, s23
	v_add_co_u32_e32 v34, vcc, s22, v34
	v_addc_co_u32_e32 v35, vcc, v35, v33, vcc
	global_load_dword v33, v[34:35], off
	v_mov_b32_e32 v35, s58
	v_add_co_u32_e32 v34, vcc, s57, v0
	v_addc_co_u32_e32 v35, vcc, 0, v35, vcc
	v_add_co_u32_e32 v36, vcc, 0, v14
	v_addc_co_u32_e32 v37, vcc, v3, v11, vcc
	v_ashrrev_i64 v[38:39], 29, v[36:37]
	v_mov_b32_e32 v40, s25
	v_add_co_u32_e32 v38, vcc, s24, v38
	v_addc_co_u32_e32 v39, vcc, v40, v39, vcc
	global_store_dwordx2 v[38:39], v[34:35], off
	v_ashrrev_i64 v[34:35], 30, v[36:37]
	v_mov_b32_e32 v36, s21
	v_add_co_u32_e32 v34, vcc, s20, v34
	v_addc_co_u32_e32 v35, vcc, v36, v35, vcc
	s_waitcnt vmcnt(1)
	global_store_dword v[34:35], v33, off
	s_or_b64 exec, exec, s[50:51]
	s_and_saveexec_b64 s[50:51], s[28:29]
	s_cbranch_execz .LBB37_15
.LBB37_30:                              ;   in Loop: Header=BB37_13 Depth=1
	v_mov_b32_e32 v33, s23
	v_add_co_u32_e32 v34, vcc, s22, v22
	v_addc_co_u32_e32 v35, vcc, v33, v23, vcc
	v_add_co_u32_e32 v34, vcc, s56, v34
	v_addc_co_u32_e32 v35, vcc, 0, v35, vcc
	;; [unrolled: 2-line block ×3, first 2 shown]
	v_cndmask_b32_e64 v35, v33, v35, s[0:1]
	v_cndmask_b32_e64 v34, v36, v34, s[0:1]
	global_load_dword v33, v[34:35], off
	v_mov_b32_e32 v35, s58
	v_add_co_u32_e32 v34, vcc, s57, v2
	v_addc_co_u32_e32 v35, vcc, 0, v35, vcc
	v_add_co_u32_e32 v36, vcc, 0, v14
	v_addc_co_u32_e32 v37, vcc, v3, v11, vcc
	;; [unrolled: 2-line block ×3, first 2 shown]
	v_ashrrev_i64 v[38:39], 29, v[36:37]
	v_mov_b32_e32 v40, s25
	v_add_co_u32_e32 v38, vcc, s24, v38
	v_addc_co_u32_e32 v39, vcc, v40, v39, vcc
	global_store_dwordx2 v[38:39], v[34:35], off
	v_ashrrev_i64 v[34:35], 30, v[36:37]
	v_mov_b32_e32 v36, s21
	v_add_co_u32_e32 v34, vcc, s20, v34
	v_addc_co_u32_e32 v35, vcc, v36, v35, vcc
	s_waitcnt vmcnt(1)
	global_store_dword v[34:35], v33, off
	s_or_b64 exec, exec, s[50:51]
	s_and_saveexec_b64 s[50:51], s[30:31]
	s_cbranch_execz .LBB37_16
.LBB37_31:                              ;   in Loop: Header=BB37_13 Depth=1
	v_mov_b32_e32 v33, s23
	v_add_co_u32_e32 v34, vcc, s22, v22
	v_addc_co_u32_e32 v35, vcc, v33, v23, vcc
	v_add_co_u32_e32 v34, vcc, s55, v34
	v_addc_co_u32_e32 v35, vcc, 0, v35, vcc
	;; [unrolled: 2-line block ×3, first 2 shown]
	v_cndmask_b32_e64 v35, v33, v35, s[0:1]
	v_cndmask_b32_e64 v34, v36, v34, s[0:1]
	global_load_dword v33, v[34:35], off
	v_mov_b32_e32 v35, s58
	v_add_co_u32_e32 v34, vcc, s57, v4
	v_addc_co_u32_e32 v35, vcc, 0, v35, vcc
	v_add_co_u32_e32 v36, vcc, 0, v14
	v_addc_co_u32_e32 v37, vcc, v3, v11, vcc
	;; [unrolled: 2-line block ×3, first 2 shown]
	v_ashrrev_i64 v[38:39], 29, v[36:37]
	v_mov_b32_e32 v40, s25
	v_add_co_u32_e32 v38, vcc, s24, v38
	v_addc_co_u32_e32 v39, vcc, v40, v39, vcc
	global_store_dwordx2 v[38:39], v[34:35], off
	v_ashrrev_i64 v[34:35], 30, v[36:37]
	v_mov_b32_e32 v36, s21
	v_add_co_u32_e32 v34, vcc, s20, v34
	v_addc_co_u32_e32 v35, vcc, v36, v35, vcc
	s_waitcnt vmcnt(1)
	global_store_dword v[34:35], v33, off
	s_or_b64 exec, exec, s[50:51]
	s_and_saveexec_b64 s[50:51], s[34:35]
	s_cbranch_execz .LBB37_17
.LBB37_32:                              ;   in Loop: Header=BB37_13 Depth=1
	v_mov_b32_e32 v33, s23
	v_add_co_u32_e32 v34, vcc, s22, v22
	v_addc_co_u32_e32 v35, vcc, v33, v23, vcc
	v_add_co_u32_e32 v34, vcc, s19, v34
	v_addc_co_u32_e32 v35, vcc, 0, v35, vcc
	;; [unrolled: 2-line block ×3, first 2 shown]
	v_cndmask_b32_e64 v35, v33, v35, s[0:1]
	v_cndmask_b32_e64 v34, v36, v34, s[0:1]
	global_load_dword v33, v[34:35], off
	v_mov_b32_e32 v35, s58
	v_add_co_u32_e32 v34, vcc, s57, v6
	v_addc_co_u32_e32 v35, vcc, 0, v35, vcc
	v_add_co_u32_e32 v36, vcc, 0, v14
	v_addc_co_u32_e32 v37, vcc, v3, v11, vcc
	;; [unrolled: 2-line block ×3, first 2 shown]
	v_ashrrev_i64 v[38:39], 29, v[36:37]
	v_mov_b32_e32 v40, s25
	v_add_co_u32_e32 v38, vcc, s24, v38
	v_addc_co_u32_e32 v39, vcc, v40, v39, vcc
	global_store_dwordx2 v[38:39], v[34:35], off
	v_ashrrev_i64 v[34:35], 30, v[36:37]
	v_mov_b32_e32 v36, s21
	v_add_co_u32_e32 v34, vcc, s20, v34
	v_addc_co_u32_e32 v35, vcc, v36, v35, vcc
	s_waitcnt vmcnt(1)
	global_store_dword v[34:35], v33, off
	s_or_b64 exec, exec, s[50:51]
	s_and_saveexec_b64 s[50:51], s[36:37]
	s_cbranch_execz .LBB37_18
.LBB37_33:                              ;   in Loop: Header=BB37_13 Depth=1
	v_mov_b32_e32 v33, s23
	v_add_co_u32_e32 v34, vcc, s22, v20
	v_addc_co_u32_e32 v35, vcc, v33, v21, vcc
	v_add_co_u32_e32 v36, vcc, s22, v30
	v_addc_co_u32_e32 v33, vcc, v33, v31, vcc
	;; [unrolled: 2-line block ×3, first 2 shown]
	v_cndmask_b32_e64 v35, v33, v35, s[0:1]
	v_cndmask_b32_e64 v34, v36, v34, s[0:1]
	global_load_dword v33, v[34:35], off
	v_mov_b32_e32 v35, s58
	v_add_co_u32_e32 v34, vcc, s57, v0
	v_addc_co_u32_e32 v35, vcc, 0, v35, vcc
	v_add_co_u32_e32 v36, vcc, 0, v12
	v_addc_co_u32_e32 v37, vcc, v3, v9, vcc
	v_ashrrev_i64 v[38:39], 29, v[36:37]
	v_mov_b32_e32 v40, s25
	v_add_co_u32_e32 v38, vcc, s24, v38
	v_addc_co_u32_e32 v39, vcc, v40, v39, vcc
	global_store_dwordx2 v[38:39], v[34:35], off
	v_ashrrev_i64 v[34:35], 30, v[36:37]
	v_mov_b32_e32 v36, s21
	v_add_co_u32_e32 v34, vcc, s20, v34
	v_addc_co_u32_e32 v35, vcc, v36, v35, vcc
	s_waitcnt vmcnt(1)
	global_store_dword v[34:35], v33, off
	s_or_b64 exec, exec, s[50:51]
	s_and_saveexec_b64 s[50:51], s[38:39]
	s_cbranch_execz .LBB37_19
.LBB37_34:                              ;   in Loop: Header=BB37_13 Depth=1
	v_cndmask_b32_e64 v34, v28, v20, s[0:1]
	v_cndmask_b32_e64 v33, v29, v21, s[0:1]
	v_mov_b32_e32 v35, s23
	v_add_co_u32_e32 v34, vcc, s22, v34
	v_addc_co_u32_e32 v35, vcc, v35, v33, vcc
	global_load_dword v33, v[34:35], off offset:128
	v_mov_b32_e32 v35, s58
	v_add_co_u32_e32 v34, vcc, s57, v2
	v_addc_co_u32_e32 v35, vcc, 0, v35, vcc
	v_add_co_u32_e32 v36, vcc, 0, v12
	v_addc_co_u32_e32 v37, vcc, v3, v9, vcc
	;; [unrolled: 2-line block ×3, first 2 shown]
	v_ashrrev_i64 v[38:39], 29, v[36:37]
	v_mov_b32_e32 v40, s25
	v_add_co_u32_e32 v38, vcc, s24, v38
	v_addc_co_u32_e32 v39, vcc, v40, v39, vcc
	global_store_dwordx2 v[38:39], v[34:35], off
	v_ashrrev_i64 v[34:35], 30, v[36:37]
	v_mov_b32_e32 v36, s21
	v_add_co_u32_e32 v34, vcc, s20, v34
	v_addc_co_u32_e32 v35, vcc, v36, v35, vcc
	s_waitcnt vmcnt(1)
	global_store_dword v[34:35], v33, off
	s_or_b64 exec, exec, s[50:51]
	s_and_saveexec_b64 s[50:51], s[40:41]
	s_cbranch_execz .LBB37_20
.LBB37_35:                              ;   in Loop: Header=BB37_13 Depth=1
	v_mov_b32_e32 v33, s23
	v_add_co_u32_e32 v34, vcc, s22, v20
	v_addc_co_u32_e32 v35, vcc, v33, v21, vcc
	v_add_co_u32_e32 v34, vcc, s55, v34
	v_addc_co_u32_e32 v35, vcc, 0, v35, vcc
	;; [unrolled: 2-line block ×4, first 2 shown]
	v_cndmask_b32_e64 v35, v33, v35, s[0:1]
	v_cndmask_b32_e64 v34, v36, v34, s[0:1]
	global_load_dword v33, v[34:35], off
	v_mov_b32_e32 v35, s58
	v_add_co_u32_e32 v34, vcc, s57, v4
	v_addc_co_u32_e32 v35, vcc, 0, v35, vcc
	v_add_co_u32_e32 v36, vcc, 0, v12
	v_addc_co_u32_e32 v37, vcc, v3, v9, vcc
	;; [unrolled: 2-line block ×3, first 2 shown]
	v_ashrrev_i64 v[38:39], 29, v[36:37]
	v_mov_b32_e32 v40, s25
	v_add_co_u32_e32 v38, vcc, s24, v38
	v_addc_co_u32_e32 v39, vcc, v40, v39, vcc
	global_store_dwordx2 v[38:39], v[34:35], off
	v_ashrrev_i64 v[34:35], 30, v[36:37]
	v_mov_b32_e32 v36, s21
	v_add_co_u32_e32 v34, vcc, s20, v34
	v_addc_co_u32_e32 v35, vcc, v36, v35, vcc
	s_waitcnt vmcnt(1)
	global_store_dword v[34:35], v33, off
	s_or_b64 exec, exec, s[50:51]
	s_and_saveexec_b64 s[50:51], s[2:3]
	s_cbranch_execz .LBB37_21
.LBB37_36:                              ;   in Loop: Header=BB37_13 Depth=1
	v_mov_b32_e32 v33, s23
	v_add_co_u32_e32 v34, vcc, s22, v20
	v_addc_co_u32_e32 v35, vcc, v33, v21, vcc
	v_add_co_u32_e32 v34, vcc, s19, v34
	v_addc_co_u32_e32 v35, vcc, 0, v35, vcc
	;; [unrolled: 2-line block ×4, first 2 shown]
	v_cndmask_b32_e64 v35, v33, v35, s[0:1]
	v_cndmask_b32_e64 v34, v36, v34, s[0:1]
	global_load_dword v33, v[34:35], off
	v_mov_b32_e32 v35, s58
	v_add_co_u32_e32 v34, vcc, s57, v6
	v_addc_co_u32_e32 v35, vcc, 0, v35, vcc
	v_add_co_u32_e32 v36, vcc, 0, v12
	v_addc_co_u32_e32 v37, vcc, v3, v9, vcc
	;; [unrolled: 2-line block ×3, first 2 shown]
	v_ashrrev_i64 v[38:39], 29, v[36:37]
	v_mov_b32_e32 v40, s25
	v_add_co_u32_e32 v38, vcc, s24, v38
	v_addc_co_u32_e32 v39, vcc, v40, v39, vcc
	global_store_dwordx2 v[38:39], v[34:35], off
	v_ashrrev_i64 v[34:35], 30, v[36:37]
	v_mov_b32_e32 v36, s21
	v_add_co_u32_e32 v34, vcc, s20, v34
	v_addc_co_u32_e32 v35, vcc, v36, v35, vcc
	s_waitcnt vmcnt(1)
	global_store_dword v[34:35], v33, off
	s_or_b64 exec, exec, s[50:51]
	s_and_saveexec_b64 s[50:51], s[42:43]
	s_cbranch_execz .LBB37_22
.LBB37_37:                              ;   in Loop: Header=BB37_13 Depth=1
	v_mov_b32_e32 v33, s23
	v_add_co_u32_e32 v34, vcc, s22, v18
	v_addc_co_u32_e32 v35, vcc, v33, v19, vcc
	v_add_co_u32_e32 v36, vcc, s22, v30
	v_addc_co_u32_e32 v33, vcc, v33, v31, vcc
	;; [unrolled: 2-line block ×3, first 2 shown]
	v_cndmask_b32_e64 v35, v33, v35, s[0:1]
	v_cndmask_b32_e64 v34, v36, v34, s[0:1]
	global_load_dword v33, v[34:35], off
	v_mov_b32_e32 v35, s58
	v_add_co_u32_e32 v34, vcc, s57, v0
	v_addc_co_u32_e32 v35, vcc, 0, v35, vcc
	v_add_co_u32_e32 v36, vcc, 0, v10
	v_addc_co_u32_e32 v37, vcc, v3, v7, vcc
	v_ashrrev_i64 v[38:39], 29, v[36:37]
	v_mov_b32_e32 v40, s25
	v_add_co_u32_e32 v38, vcc, s24, v38
	v_addc_co_u32_e32 v39, vcc, v40, v39, vcc
	global_store_dwordx2 v[38:39], v[34:35], off
	v_ashrrev_i64 v[34:35], 30, v[36:37]
	v_mov_b32_e32 v36, s21
	v_add_co_u32_e32 v34, vcc, s20, v34
	v_addc_co_u32_e32 v35, vcc, v36, v35, vcc
	s_waitcnt vmcnt(1)
	global_store_dword v[34:35], v33, off
	s_or_b64 exec, exec, s[50:51]
	s_and_saveexec_b64 s[50:51], s[44:45]
	s_cbranch_execz .LBB37_23
.LBB37_38:                              ;   in Loop: Header=BB37_13 Depth=1
	v_mov_b32_e32 v33, s23
	v_add_co_u32_e32 v34, vcc, s22, v18
	v_addc_co_u32_e32 v35, vcc, v33, v19, vcc
	v_add_co_u32_e32 v34, vcc, s56, v34
	v_addc_co_u32_e32 v35, vcc, 0, v35, vcc
	v_add_co_u32_e32 v36, vcc, s22, v28
	v_addc_co_u32_e32 v33, vcc, v33, v29, vcc
	v_add_co_u32_e32 v36, vcc, 0x100, v36
	v_addc_co_u32_e32 v33, vcc, 0, v33, vcc
	v_cndmask_b32_e64 v35, v33, v35, s[0:1]
	v_cndmask_b32_e64 v34, v36, v34, s[0:1]
	global_load_dword v33, v[34:35], off
	v_mov_b32_e32 v35, s58
	v_add_co_u32_e32 v34, vcc, s57, v2
	v_addc_co_u32_e32 v35, vcc, 0, v35, vcc
	v_add_co_u32_e32 v36, vcc, 0, v10
	v_addc_co_u32_e32 v37, vcc, v3, v7, vcc
	v_add_co_u32_e32 v36, vcc, 0, v36
	v_addc_co_u32_e32 v37, vcc, 32, v37, vcc
	v_ashrrev_i64 v[38:39], 29, v[36:37]
	v_mov_b32_e32 v40, s25
	v_add_co_u32_e32 v38, vcc, s24, v38
	v_addc_co_u32_e32 v39, vcc, v40, v39, vcc
	global_store_dwordx2 v[38:39], v[34:35], off
	v_ashrrev_i64 v[34:35], 30, v[36:37]
	v_mov_b32_e32 v36, s21
	v_add_co_u32_e32 v34, vcc, s20, v34
	v_addc_co_u32_e32 v35, vcc, v36, v35, vcc
	s_waitcnt vmcnt(1)
	global_store_dword v[34:35], v33, off
	s_or_b64 exec, exec, s[50:51]
	s_and_saveexec_b64 s[50:51], s[46:47]
	s_cbranch_execz .LBB37_24
.LBB37_39:                              ;   in Loop: Header=BB37_13 Depth=1
	v_cndmask_b32_e64 v34, v26, v18, s[0:1]
	v_cndmask_b32_e64 v33, v27, v19, s[0:1]
	v_mov_b32_e32 v35, s23
	v_add_co_u32_e32 v34, vcc, s22, v34
	v_addc_co_u32_e32 v35, vcc, v35, v33, vcc
	global_load_dword v33, v[34:35], off offset:256
	v_mov_b32_e32 v35, s58
	v_add_co_u32_e32 v34, vcc, s57, v4
	v_addc_co_u32_e32 v35, vcc, 0, v35, vcc
	v_add_co_u32_e32 v36, vcc, 0, v10
	v_addc_co_u32_e32 v37, vcc, v3, v7, vcc
	;; [unrolled: 2-line block ×3, first 2 shown]
	v_ashrrev_i64 v[38:39], 29, v[36:37]
	v_mov_b32_e32 v40, s25
	v_add_co_u32_e32 v38, vcc, s24, v38
	v_addc_co_u32_e32 v39, vcc, v40, v39, vcc
	global_store_dwordx2 v[38:39], v[34:35], off
	v_ashrrev_i64 v[34:35], 30, v[36:37]
	v_mov_b32_e32 v36, s21
	v_add_co_u32_e32 v34, vcc, s20, v34
	v_addc_co_u32_e32 v35, vcc, v36, v35, vcc
	s_waitcnt vmcnt(1)
	global_store_dword v[34:35], v33, off
	s_or_b64 exec, exec, s[50:51]
	s_and_saveexec_b64 s[50:51], s[6:7]
	s_cbranch_execz .LBB37_25
.LBB37_40:                              ;   in Loop: Header=BB37_13 Depth=1
	v_mov_b32_e32 v33, s23
	v_add_co_u32_e32 v34, vcc, s22, v18
	v_addc_co_u32_e32 v35, vcc, v33, v19, vcc
	v_add_co_u32_e32 v34, vcc, s19, v34
	v_addc_co_u32_e32 v35, vcc, 0, v35, vcc
	;; [unrolled: 2-line block ×4, first 2 shown]
	v_cndmask_b32_e64 v35, v33, v35, s[0:1]
	v_cndmask_b32_e64 v34, v36, v34, s[0:1]
	global_load_dword v33, v[34:35], off
	v_mov_b32_e32 v35, s58
	v_add_co_u32_e32 v34, vcc, s57, v6
	v_addc_co_u32_e32 v35, vcc, 0, v35, vcc
	v_add_co_u32_e32 v36, vcc, 0, v10
	v_addc_co_u32_e32 v37, vcc, v3, v7, vcc
	v_add_co_u32_e32 v36, vcc, 0, v36
	v_addc_co_u32_e32 v37, vcc, v37, v13, vcc
	v_ashrrev_i64 v[38:39], 29, v[36:37]
	v_mov_b32_e32 v40, s25
	v_add_co_u32_e32 v38, vcc, s24, v38
	v_addc_co_u32_e32 v39, vcc, v40, v39, vcc
	global_store_dwordx2 v[38:39], v[34:35], off
	v_ashrrev_i64 v[34:35], 30, v[36:37]
	v_mov_b32_e32 v36, s21
	v_add_co_u32_e32 v34, vcc, s20, v34
	v_addc_co_u32_e32 v35, vcc, v36, v35, vcc
	s_waitcnt vmcnt(1)
	global_store_dword v[34:35], v33, off
	s_or_b64 exec, exec, s[50:51]
	s_and_saveexec_b64 s[50:51], s[4:5]
	s_cbranch_execz .LBB37_26
.LBB37_41:                              ;   in Loop: Header=BB37_13 Depth=1
	v_mov_b32_e32 v33, s23
	v_add_co_u32_e32 v34, vcc, s22, v16
	v_addc_co_u32_e32 v35, vcc, v33, v17, vcc
	v_add_co_u32_e32 v36, vcc, s22, v30
	v_addc_co_u32_e32 v33, vcc, v33, v31, vcc
	v_add_co_u32_e32 v36, vcc, 0x180, v36
	v_addc_co_u32_e32 v33, vcc, 0, v33, vcc
	v_cndmask_b32_e64 v35, v33, v35, s[0:1]
	v_cndmask_b32_e64 v34, v36, v34, s[0:1]
	global_load_dword v33, v[34:35], off
	v_mov_b32_e32 v35, s58
	v_add_co_u32_e32 v34, vcc, s57, v0
	v_addc_co_u32_e32 v35, vcc, 0, v35, vcc
	v_add_co_u32_e32 v36, vcc, 0, v8
	v_addc_co_u32_e32 v37, vcc, v3, v5, vcc
	;; [unrolled: 2-line block ×3, first 2 shown]
	v_ashrrev_i64 v[38:39], 29, v[36:37]
	v_mov_b32_e32 v40, s25
	v_add_co_u32_e32 v38, vcc, s24, v38
	v_addc_co_u32_e32 v39, vcc, v40, v39, vcc
	global_store_dwordx2 v[38:39], v[34:35], off
	v_ashrrev_i64 v[34:35], 30, v[36:37]
	v_mov_b32_e32 v36, s21
	v_add_co_u32_e32 v34, vcc, s20, v34
	v_addc_co_u32_e32 v35, vcc, v36, v35, vcc
	s_waitcnt vmcnt(1)
	global_store_dword v[34:35], v33, off
	s_or_b64 exec, exec, s[50:51]
	s_and_saveexec_b64 s[50:51], s[10:11]
	s_cbranch_execz .LBB37_27
.LBB37_42:                              ;   in Loop: Header=BB37_13 Depth=1
	v_mov_b32_e32 v33, s23
	v_add_co_u32_e32 v34, vcc, s22, v16
	v_addc_co_u32_e32 v35, vcc, v33, v17, vcc
	v_add_co_u32_e32 v34, vcc, s56, v34
	v_addc_co_u32_e32 v35, vcc, 0, v35, vcc
	;; [unrolled: 2-line block ×4, first 2 shown]
	v_cndmask_b32_e64 v35, v33, v35, s[0:1]
	v_cndmask_b32_e64 v34, v36, v34, s[0:1]
	global_load_dword v33, v[34:35], off
	v_mov_b32_e32 v35, s58
	v_add_co_u32_e32 v34, vcc, s57, v2
	v_addc_co_u32_e32 v35, vcc, 0, v35, vcc
	v_add_co_u32_e32 v36, vcc, 0, v8
	v_addc_co_u32_e32 v37, vcc, v3, v5, vcc
	;; [unrolled: 2-line block ×3, first 2 shown]
	v_ashrrev_i64 v[38:39], 29, v[36:37]
	v_mov_b32_e32 v40, s25
	v_add_co_u32_e32 v38, vcc, s24, v38
	v_addc_co_u32_e32 v39, vcc, v40, v39, vcc
	global_store_dwordx2 v[38:39], v[34:35], off
	v_ashrrev_i64 v[34:35], 30, v[36:37]
	v_mov_b32_e32 v36, s21
	v_add_co_u32_e32 v34, vcc, s20, v34
	v_addc_co_u32_e32 v35, vcc, v36, v35, vcc
	s_waitcnt vmcnt(1)
	global_store_dword v[34:35], v33, off
	s_or_b64 exec, exec, s[50:51]
	s_and_saveexec_b64 s[50:51], s[12:13]
	s_cbranch_execz .LBB37_28
.LBB37_43:                              ;   in Loop: Header=BB37_13 Depth=1
	v_mov_b32_e32 v33, s23
	v_add_co_u32_e32 v34, vcc, s22, v16
	v_addc_co_u32_e32 v35, vcc, v33, v17, vcc
	v_add_co_u32_e32 v34, vcc, s55, v34
	v_addc_co_u32_e32 v35, vcc, 0, v35, vcc
	;; [unrolled: 2-line block ×4, first 2 shown]
	v_cndmask_b32_e64 v35, v33, v35, s[0:1]
	v_cndmask_b32_e64 v34, v36, v34, s[0:1]
	global_load_dword v33, v[34:35], off
	v_mov_b32_e32 v35, s58
	v_add_co_u32_e32 v34, vcc, s57, v4
	v_addc_co_u32_e32 v35, vcc, 0, v35, vcc
	v_add_co_u32_e32 v36, vcc, 0, v8
	v_addc_co_u32_e32 v37, vcc, v3, v5, vcc
	;; [unrolled: 2-line block ×3, first 2 shown]
	v_ashrrev_i64 v[38:39], 29, v[36:37]
	v_mov_b32_e32 v40, s25
	v_add_co_u32_e32 v38, vcc, s24, v38
	v_addc_co_u32_e32 v39, vcc, v40, v39, vcc
	global_store_dwordx2 v[38:39], v[34:35], off
	v_ashrrev_i64 v[34:35], 30, v[36:37]
	v_mov_b32_e32 v36, s21
	v_add_co_u32_e32 v34, vcc, s20, v34
	v_addc_co_u32_e32 v35, vcc, v36, v35, vcc
	s_waitcnt vmcnt(1)
	global_store_dword v[34:35], v33, off
	s_or_b64 exec, exec, s[50:51]
	s_and_saveexec_b64 s[50:51], s[8:9]
	s_cbranch_execz .LBB37_12
.LBB37_44:                              ;   in Loop: Header=BB37_13 Depth=1
	v_cndmask_b32_e64 v34, v24, v16, s[0:1]
	v_cndmask_b32_e64 v33, v25, v17, s[0:1]
	v_mov_b32_e32 v35, s23
	v_add_co_u32_e32 v34, vcc, s22, v34
	v_addc_co_u32_e32 v35, vcc, v35, v33, vcc
	global_load_dword v33, v[34:35], off offset:384
	v_mov_b32_e32 v35, s58
	v_add_co_u32_e32 v34, vcc, s57, v6
	v_addc_co_u32_e32 v35, vcc, 0, v35, vcc
	v_add_co_u32_e32 v36, vcc, 0, v8
	v_addc_co_u32_e32 v37, vcc, v3, v5, vcc
	v_ashrrev_i64 v[38:39], 29, v[36:37]
	v_mov_b32_e32 v40, s25
	v_add_co_u32_e32 v38, vcc, s24, v38
	v_addc_co_u32_e32 v39, vcc, v40, v39, vcc
	global_store_dwordx2 v[38:39], v[34:35], off
	v_ashrrev_i64 v[34:35], 30, v[36:37]
	v_mov_b32_e32 v36, s21
	v_add_co_u32_e32 v34, vcc, s20, v34
	v_addc_co_u32_e32 v35, vcc, v36, v35, vcc
	s_waitcnt vmcnt(1)
	global_store_dword v[34:35], v33, off
	s_branch .LBB37_12
.LBB37_45:
	s_endpgm
	.section	.rodata,"a",@progbits
	.p2align	6, 0x0
	.amdhsa_kernel _ZN9rocsparseL35bsr2csr_block_per_row_33_256_kernelILj1024ELj128ELj32EiilEEv20rocsparse_direction_T4_S2_21rocsparse_index_base_PKT2_PKT3_PKS2_S2_S3_PS4_PS7_PS2_
		.amdhsa_group_segment_fixed_size 0
		.amdhsa_private_segment_fixed_size 0
		.amdhsa_kernarg_size 96
		.amdhsa_user_sgpr_count 6
		.amdhsa_user_sgpr_private_segment_buffer 1
		.amdhsa_user_sgpr_dispatch_ptr 0
		.amdhsa_user_sgpr_queue_ptr 0
		.amdhsa_user_sgpr_kernarg_segment_ptr 1
		.amdhsa_user_sgpr_dispatch_id 0
		.amdhsa_user_sgpr_flat_scratch_init 0
		.amdhsa_user_sgpr_kernarg_preload_length 0
		.amdhsa_user_sgpr_kernarg_preload_offset 0
		.amdhsa_user_sgpr_private_segment_size 0
		.amdhsa_uses_dynamic_stack 0
		.amdhsa_system_sgpr_private_segment_wavefront_offset 0
		.amdhsa_system_sgpr_workgroup_id_x 1
		.amdhsa_system_sgpr_workgroup_id_y 0
		.amdhsa_system_sgpr_workgroup_id_z 0
		.amdhsa_system_sgpr_workgroup_info 0
		.amdhsa_system_vgpr_workitem_id 0
		.amdhsa_next_free_vgpr 41
		.amdhsa_next_free_sgpr 60
		.amdhsa_accum_offset 44
		.amdhsa_reserve_vcc 1
		.amdhsa_reserve_flat_scratch 0
		.amdhsa_float_round_mode_32 0
		.amdhsa_float_round_mode_16_64 0
		.amdhsa_float_denorm_mode_32 3
		.amdhsa_float_denorm_mode_16_64 3
		.amdhsa_dx10_clamp 1
		.amdhsa_ieee_mode 1
		.amdhsa_fp16_overflow 0
		.amdhsa_tg_split 0
		.amdhsa_exception_fp_ieee_invalid_op 0
		.amdhsa_exception_fp_denorm_src 0
		.amdhsa_exception_fp_ieee_div_zero 0
		.amdhsa_exception_fp_ieee_overflow 0
		.amdhsa_exception_fp_ieee_underflow 0
		.amdhsa_exception_fp_ieee_inexact 0
		.amdhsa_exception_int_div_zero 0
	.end_amdhsa_kernel
	.section	.text._ZN9rocsparseL35bsr2csr_block_per_row_33_256_kernelILj1024ELj128ELj32EiilEEv20rocsparse_direction_T4_S2_21rocsparse_index_base_PKT2_PKT3_PKS2_S2_S3_PS4_PS7_PS2_,"axG",@progbits,_ZN9rocsparseL35bsr2csr_block_per_row_33_256_kernelILj1024ELj128ELj32EiilEEv20rocsparse_direction_T4_S2_21rocsparse_index_base_PKT2_PKT3_PKS2_S2_S3_PS4_PS7_PS2_,comdat
.Lfunc_end37:
	.size	_ZN9rocsparseL35bsr2csr_block_per_row_33_256_kernelILj1024ELj128ELj32EiilEEv20rocsparse_direction_T4_S2_21rocsparse_index_base_PKT2_PKT3_PKS2_S2_S3_PS4_PS7_PS2_, .Lfunc_end37-_ZN9rocsparseL35bsr2csr_block_per_row_33_256_kernelILj1024ELj128ELj32EiilEEv20rocsparse_direction_T4_S2_21rocsparse_index_base_PKT2_PKT3_PKS2_S2_S3_PS4_PS7_PS2_
                                        ; -- End function
	.section	.AMDGPU.csdata,"",@progbits
; Kernel info:
; codeLenInByte = 3864
; NumSgprs: 64
; NumVgprs: 41
; NumAgprs: 0
; TotalNumVgprs: 41
; ScratchSize: 0
; MemoryBound: 0
; FloatMode: 240
; IeeeMode: 1
; LDSByteSize: 0 bytes/workgroup (compile time only)
; SGPRBlocks: 7
; VGPRBlocks: 5
; NumSGPRsForWavesPerEU: 64
; NumVGPRsForWavesPerEU: 41
; AccumOffset: 44
; Occupancy: 8
; WaveLimiterHint : 1
; COMPUTE_PGM_RSRC2:SCRATCH_EN: 0
; COMPUTE_PGM_RSRC2:USER_SGPR: 6
; COMPUTE_PGM_RSRC2:TRAP_HANDLER: 0
; COMPUTE_PGM_RSRC2:TGID_X_EN: 1
; COMPUTE_PGM_RSRC2:TGID_Y_EN: 0
; COMPUTE_PGM_RSRC2:TGID_Z_EN: 0
; COMPUTE_PGM_RSRC2:TIDIG_COMP_CNT: 0
; COMPUTE_PGM_RSRC3_GFX90A:ACCUM_OFFSET: 10
; COMPUTE_PGM_RSRC3_GFX90A:TG_SPLIT: 0
	.section	.text._ZN9rocsparseL35bsr2csr_block_per_row_33_256_kernelILj1024ELj256ELj32EiilEEv20rocsparse_direction_T4_S2_21rocsparse_index_base_PKT2_PKT3_PKS2_S2_S3_PS4_PS7_PS2_,"axG",@progbits,_ZN9rocsparseL35bsr2csr_block_per_row_33_256_kernelILj1024ELj256ELj32EiilEEv20rocsparse_direction_T4_S2_21rocsparse_index_base_PKT2_PKT3_PKS2_S2_S3_PS4_PS7_PS2_,comdat
	.globl	_ZN9rocsparseL35bsr2csr_block_per_row_33_256_kernelILj1024ELj256ELj32EiilEEv20rocsparse_direction_T4_S2_21rocsparse_index_base_PKT2_PKT3_PKS2_S2_S3_PS4_PS7_PS2_ ; -- Begin function _ZN9rocsparseL35bsr2csr_block_per_row_33_256_kernelILj1024ELj256ELj32EiilEEv20rocsparse_direction_T4_S2_21rocsparse_index_base_PKT2_PKT3_PKS2_S2_S3_PS4_PS7_PS2_
	.p2align	8
	.type	_ZN9rocsparseL35bsr2csr_block_per_row_33_256_kernelILj1024ELj256ELj32EiilEEv20rocsparse_direction_T4_S2_21rocsparse_index_base_PKT2_PKT3_PKS2_S2_S3_PS4_PS7_PS2_,@function
_ZN9rocsparseL35bsr2csr_block_per_row_33_256_kernelILj1024ELj256ELj32EiilEEv20rocsparse_direction_T4_S2_21rocsparse_index_base_PKT2_PKT3_PKS2_S2_S3_PS4_PS7_PS2_: ; @_ZN9rocsparseL35bsr2csr_block_per_row_33_256_kernelILj1024ELj256ELj32EiilEEv20rocsparse_direction_T4_S2_21rocsparse_index_base_PKT2_PKT3_PKS2_S2_S3_PS4_PS7_PS2_
; %bb.0:
	s_load_dwordx2 s[0:1], s[4:5], 0x28
	s_load_dword s12, s[4:5], 0x40
	s_load_dwordx2 s[2:3], s[4:5], 0x50
	s_mov_b32 s7, 0
	s_lshl_b64 s[8:9], s[6:7], 2
	s_waitcnt lgkmcnt(0)
	s_add_u32 s0, s0, s8
	s_addc_u32 s1, s1, s9
	s_load_dwordx2 s[0:1], s[0:1], 0x0
	v_or_b32_e32 v1, s6, v0
	v_cmp_eq_u32_e32 vcc, 0, v1
	s_and_saveexec_b64 s[8:9], vcc
	s_cbranch_execz .LBB38_2
; %bb.1:
	v_mov_b32_e32 v1, 0
	v_mov_b32_e32 v2, s12
	global_store_dword v1, v2, s[2:3]
.LBB38_2:
	s_or_b64 exec, exec, s[8:9]
	s_load_dword s7, s[4:5], 0x18
	s_load_dwordx2 s[36:37], s[4:5], 0x38
                                        ; implicit-def: $vgpr84 : SGPR spill to VGPR lane
	v_mov_b32_e32 v17, 0
	v_lshrrev_b32_e32 v16, 5, v0
	v_lshlrev_b32_e32 v62, 2, v16
	s_waitcnt lgkmcnt(0)
	s_sub_i32 s38, s0, s7
	v_writelane_b32 v84, s7, 0
	s_sub_i32 s9, s1, s7
	s_mul_i32 s7, s36, s37
	s_mul_hi_u32 s8, s36, s36
	s_add_i32 s8, s8, s7
	s_add_i32 s89, s8, s7
	s_sub_i32 s33, s9, s38
	s_mul_i32 s7, s6, s37
	s_mul_hi_u32 s8, s6, s36
	s_mul_i32 s24, s33, s36
	s_add_i32 s7, s8, s7
	s_mul_i32 s6, s6, s36
	s_add_i32 s23, s24, s12
	s_lshl_b64 s[6:7], s[6:7], 2
	s_mul_i32 s88, s36, s36
	s_add_u32 s2, s2, s6
	s_mul_i32 s22, s88, s38
	v_writelane_b32 v84, s9, 1
	s_addc_u32 s3, s3, s7
	v_cmp_gt_i64_e32 vcc, s[36:37], v[16:17]
	v_writelane_b32 v84, s12, 2
	s_and_saveexec_b64 s[6:7], vcc
	s_cbranch_execz .LBB38_4
; %bb.3:
	v_mul_lo_u32 v1, v16, s24
	s_add_i32 s8, s23, s22
	v_add_u32_e32 v1, s8, v1
	global_store_dword v62, v1, s[2:3] offset:4
.LBB38_4:
	s_or_b64 exec, exec, s[6:7]
	s_add_u32 s18, s2, 4
	v_or_b32_e32 v18, 32, v16
	v_mov_b32_e32 v19, v17
	s_addc_u32 s19, s3, 0
	v_cmp_gt_i64_e64 s[2:3], s[36:37], v[18:19]
	s_and_saveexec_b64 s[6:7], s[2:3]
	s_cbranch_execz .LBB38_6
; %bb.5:
	v_mul_lo_u32 v1, v18, s24
	s_add_i32 s8, s23, s22
	v_add_u32_e32 v1, s8, v1
	global_store_dword v62, v1, s[18:19] offset:128
.LBB38_6:
	s_or_b64 exec, exec, s[6:7]
	v_or_b32_e32 v20, 64, v16
	v_mov_b32_e32 v21, v17
	v_cmp_gt_i64_e64 s[6:7], s[36:37], v[20:21]
	s_and_saveexec_b64 s[8:9], s[6:7]
	s_cbranch_execz .LBB38_8
; %bb.7:
	v_mul_lo_u32 v1, v20, s24
	s_add_i32 s10, s23, s22
	v_add_u32_e32 v1, s10, v1
	global_store_dword v62, v1, s[18:19] offset:256
.LBB38_8:
	s_or_b64 exec, exec, s[8:9]
	v_or_b32_e32 v2, 0x60, v16
	v_mov_b32_e32 v3, v17
	;; [unrolled: 12-line block ×6, first 2 shown]
	v_cmp_gt_i64_e64 s[16:17], s[36:37], v[2:3]
	s_and_saveexec_b64 s[20:21], s[16:17]
	s_cbranch_execz .LBB38_18
; %bb.17:
	v_mul_lo_u32 v1, v2, s24
	s_add_i32 s23, s23, s22
	v_add_u32_e32 v1, s23, v1
	global_store_dword v62, v1, s[18:19] offset:896
.LBB38_18:
	s_or_b64 exec, exec, s[20:21]
	s_cmp_lt_i32 s0, s1
	s_cbranch_scc0 .LBB38_149
; %bb.19:
	s_load_dword s0, s[4:5], 0x0
	v_and_b32_e32 v0, 31, v0
	v_mov_b32_e32 v1, 0
	v_cmp_gt_i64_e64 s[18:19], s[36:37], v[0:1]
	v_or_b32_e32 v2, 32, v0
	s_waitcnt lgkmcnt(0)
	s_cmp_eq_u32 s0, 0
	s_cselect_b64 s[0:1], -1, 0
	v_mov_b32_e32 v3, v1
	s_and_b64 s[44:45], vcc, s[18:19]
	v_cmp_gt_i64_e64 s[20:21], s[36:37], v[2:3]
	v_writelane_b32 v84, s44, 3
	v_or_b32_e32 v4, 64, v0
	v_mov_b32_e32 v5, v1
	v_writelane_b32 v84, s45, 4
	s_and_b64 s[44:45], vcc, s[20:21]
	v_cmp_gt_i64_e64 s[22:23], s[36:37], v[4:5]
	v_writelane_b32 v84, s44, 5
	v_or_b32_e32 v6, 0x60, v0
	v_mov_b32_e32 v7, v1
	v_writelane_b32 v84, s45, 6
	;; [unrolled: 6-line block ×6, first 2 shown]
	s_and_b64 s[44:45], vcc, s[30:31]
	v_cmp_gt_i64_e64 s[34:35], s[36:37], v[14:15]
	v_writelane_b32 v84, s44, 15
	v_writelane_b32 v84, s45, 16
	s_and_b64 s[44:45], vcc, s[34:35]
	v_writelane_b32 v84, s44, 17
	v_writelane_b32 v84, s45, 18
	s_and_b64 s[44:45], s[2:3], s[18:19]
	v_writelane_b32 v84, s44, 19
	v_writelane_b32 v84, s45, 20
	s_and_b64 s[44:45], s[2:3], s[20:21]
	v_writelane_b32 v84, s44, 21
	v_writelane_b32 v84, s45, 22
	s_and_b64 s[44:45], s[2:3], s[22:23]
	v_writelane_b32 v84, s44, 23
	v_writelane_b32 v84, s45, 24
	s_and_b64 s[44:45], s[2:3], s[24:25]
	v_writelane_b32 v84, s44, 25
	v_writelane_b32 v84, s45, 26
	s_and_b64 s[44:45], s[2:3], s[26:27]
	v_writelane_b32 v84, s44, 27
	v_writelane_b32 v84, s45, 28
	s_and_b64 s[44:45], s[2:3], s[28:29]
	v_writelane_b32 v84, s44, 29
	v_writelane_b32 v84, s45, 30
	s_and_b64 s[44:45], s[2:3], s[30:31]
	v_writelane_b32 v84, s44, 31
	v_writelane_b32 v84, s45, 32
	s_and_b64 s[2:3], s[2:3], s[34:35]
	v_writelane_b32 v84, s2, 33
	v_writelane_b32 v84, s3, 34
	s_and_b64 s[2:3], s[6:7], s[18:19]
	v_writelane_b32 v84, s2, 35
	v_writelane_b32 v84, s3, 36
	s_and_b64 s[2:3], s[6:7], s[20:21]
	v_writelane_b32 v84, s2, 37
	v_writelane_b32 v84, s3, 38
	s_and_b64 s[2:3], s[6:7], s[22:23]
	v_writelane_b32 v84, s2, 39
	v_writelane_b32 v84, s3, 40
	s_and_b64 s[2:3], s[6:7], s[24:25]
	v_writelane_b32 v84, s2, 41
	v_writelane_b32 v84, s3, 42
	s_and_b64 s[2:3], s[6:7], s[26:27]
	v_writelane_b32 v84, s2, 43
	v_writelane_b32 v84, s3, 44
	s_and_b64 s[2:3], s[6:7], s[28:29]
	v_writelane_b32 v84, s2, 45
	v_writelane_b32 v84, s3, 46
	s_and_b64 s[2:3], s[6:7], s[30:31]
	v_writelane_b32 v84, s2, 47
	v_writelane_b32 v84, s3, 48
	s_and_b64 s[2:3], s[6:7], s[34:35]
	v_writelane_b32 v84, s2, 49
	v_writelane_b32 v84, s3, 50
	s_and_b64 s[2:3], s[8:9], s[18:19]
	v_writelane_b32 v84, s2, 51
	v_writelane_b32 v84, s3, 52
	s_and_b64 s[2:3], s[8:9], s[20:21]
	v_writelane_b32 v84, s2, 53
	v_writelane_b32 v84, s3, 54
	s_and_b64 s[2:3], s[8:9], s[22:23]
	v_writelane_b32 v84, s2, 55
	v_writelane_b32 v84, s3, 56
	s_and_b64 s[2:3], s[8:9], s[24:25]
	v_writelane_b32 v84, s2, 57
	v_writelane_b32 v84, s3, 58
	s_and_b64 s[2:3], s[8:9], s[26:27]
	v_writelane_b32 v84, s2, 59
	v_writelane_b32 v84, s3, 60
	s_and_b64 s[2:3], s[8:9], s[28:29]
	v_writelane_b32 v84, s2, 61
	v_writelane_b32 v84, s3, 62
	s_and_b64 s[48:49], s[8:9], s[30:31]
	s_and_b64 s[8:9], s[8:9], s[34:35]
	s_and_b64 s[50:51], s[10:11], s[18:19]
	;; [unrolled: 1-line block ×33, first 2 shown]
	s_load_dwordx2 s[34:35], s[4:5], 0x30
	s_ashr_i32 s39, s38, 31
	s_lshl_b64 s[44:45], s[38:39], 3
	v_or_b32_e32 v5, 0xe0, v16
	v_or_b32_e32 v7, 0xc0, v16
	v_or_b32_e32 v9, 0xa0, v16
	v_or_b32_e32 v11, 0x80, v16
	v_or_b32_e32 v13, 0x60, v16
	s_waitcnt lgkmcnt(0)
	s_add_u32 s34, s34, s44
	v_mul_lo_u32 v3, v16, s33
	v_mul_lo_u32 v5, v5, s33
	;; [unrolled: 1-line block ×8, first 2 shown]
	s_mul_hi_u32 s33, s36, s38
	s_mul_i32 s39, s36, s39
	s_addc_u32 s35, s35, s45
	s_add_i32 s33, s33, s39
	s_mul_i32 s39, s37, s38
	s_add_i32 s45, s33, s39
	s_mul_i32 s44, s36, s38
	s_lshl_b64 s[46:47], s[44:45], 2
	v_add_u32_e32 v19, s44, v3
	v_mov_b32_e32 v3, s47
	v_add_co_u32_e32 v21, vcc, s46, v62
	v_addc_co_u32_e32 v23, vcc, 0, v3, vcc
	s_movk_i32 s39, 0x380
	v_add_co_u32_e32 v25, vcc, s39, v21
	v_addc_co_u32_e32 v27, vcc, 0, v23, vcc
	s_movk_i32 s33, 0x300
	v_add_co_u32_e32 v29, vcc, s33, v21
	v_addc_co_u32_e32 v31, vcc, 0, v23, vcc
	s_movk_i32 s92, 0x280
	v_add_co_u32_e32 v36, vcc, s92, v21
	v_addc_co_u32_e32 v37, vcc, 0, v23, vcc
	s_movk_i32 s93, 0x200
	v_add_co_u32_e32 v38, vcc, s93, v21
	v_addc_co_u32_e32 v39, vcc, 0, v23, vcc
	s_movk_i32 s94, 0x180
	v_add_co_u32_e32 v40, vcc, s94, v21
	v_addc_co_u32_e32 v41, vcc, 0, v23, vcc
	s_movk_i32 s95, 0x100
	v_add_co_u32_e32 v42, vcc, s95, v21
	v_add_u32_e32 v5, s44, v5
	v_add_u32_e32 v7, s44, v7
	;; [unrolled: 1-line block ×7, first 2 shown]
	v_addc_co_u32_e32 v43, vcc, 0, v23, vcc
	s_movk_i32 s44, 0x80
	v_add_co_u32_e32 v44, vcc, s44, v21
	v_addc_co_u32_e32 v45, vcc, 0, v23, vcc
	v_lshlrev_b32_e32 v46, 2, v0
	v_add_co_u32_e32 v48, vcc, s46, v46
	v_addc_co_u32_e32 v49, vcc, 0, v3, vcc
	v_add_co_u32_e32 v50, vcc, s44, v48
	v_addc_co_u32_e32 v51, vcc, 0, v49, vcc
	;; [unrolled: 2-line block ×3, first 2 shown]
	v_add_co_u32_e32 v54, vcc, s94, v48
	v_mov_b32_e32 v47, v1
	v_addc_co_u32_e32 v55, vcc, 0, v49, vcc
	v_mov_b32_e32 v16, v1
	v_mov_b32_e32 v18, v1
	;; [unrolled: 1-line block ×9, first 2 shown]
	v_mul_lo_u32 v1, s36, v27
	v_mul_lo_u32 v27, s37, v25
	v_mad_u64_u32 v[32:33], s[46:47], s36, v25, v[46:47]
	v_add_co_u32_e32 v56, vcc, s93, v48
	v_add3_u32 v33, v27, v33, v1
	v_mul_lo_u32 v1, s36, v31
	v_mul_lo_u32 v25, s37, v29
	v_mad_u64_u32 v[34:35], s[46:47], s36, v29, v[46:47]
	v_addc_co_u32_e32 v57, vcc, 0, v49, vcc
	v_add3_u32 v35, v25, v35, v1
	v_mul_lo_u32 v1, s36, v37
	v_mul_lo_u32 v25, s37, v36
	v_mad_u64_u32 v[36:37], s[46:47], s36, v36, v[46:47]
	v_add_co_u32_e32 v58, vcc, s92, v48
	v_add3_u32 v37, v25, v37, v1
	v_mul_lo_u32 v1, s36, v39
	v_mul_lo_u32 v25, s37, v38
	v_mad_u64_u32 v[38:39], s[46:47], s36, v38, v[46:47]
	v_addc_co_u32_e32 v59, vcc, 0, v49, vcc
	v_add3_u32 v39, v25, v39, v1
	v_mul_lo_u32 v1, s36, v41
	v_mul_lo_u32 v25, s37, v40
	v_mad_u64_u32 v[40:41], s[46:47], s36, v40, v[46:47]
	v_add_co_u32_e32 v60, vcc, s33, v48
	v_add3_u32 v41, v25, v41, v1
	v_mul_lo_u32 v1, s36, v43
	v_mul_lo_u32 v25, s37, v42
	v_mad_u64_u32 v[42:43], s[46:47], s36, v42, v[46:47]
	v_addc_co_u32_e32 v61, vcc, 0, v49, vcc
	v_add3_u32 v43, v25, v43, v1
	v_mul_lo_u32 v1, s36, v45
	v_mul_lo_u32 v25, s37, v44
	v_mad_u64_u32 v[44:45], s[46:47], s36, v44, v[46:47]
	v_add_co_u32_e32 v64, vcc, s39, v48
	v_add3_u32 v45, v25, v45, v1
	v_mul_lo_u32 v1, s36, v23
	v_mul_lo_u32 v23, s37, v21
	v_mad_u64_u32 v[46:47], s[46:47], s36, v21, v[46:47]
	v_addc_co_u32_e32 v65, vcc, 0, v49, vcc
	v_add3_u32 v47, v23, v47, v1
	v_mul_lo_u32 v1, s36, v49
	v_mul_lo_u32 v21, s37, v48
	v_mad_u64_u32 v[48:49], s[46:47], s36, v48, v[62:63]
	v_add3_u32 v49, v21, v49, v1
	v_mul_lo_u32 v1, s36, v51
	v_mul_lo_u32 v21, s37, v50
	v_mad_u64_u32 v[50:51], s[46:47], s36, v50, v[62:63]
	v_add3_u32 v51, v21, v51, v1
	;; [unrolled: 4-line block ×3, first 2 shown]
	v_mul_lo_u32 v1, s36, v55
	v_mul_lo_u32 v21, s37, v54
	v_mad_u64_u32 v[54:55], s[46:47], s36, v54, v[62:63]
	s_load_dwordx2 s[40:41], s[4:5], 0x48
	s_load_dwordx2 s[42:43], s[4:5], 0x20
	v_add3_u32 v55, v21, v55, v1
	s_load_dwordx2 s[4:5], s[4:5], 0x58
	v_mul_lo_u32 v1, s36, v57
	v_mul_lo_u32 v21, s37, v56
	v_mad_u64_u32 v[56:57], s[46:47], s36, v56, v[62:63]
	v_add3_u32 v57, v21, v57, v1
	v_mul_lo_u32 v1, s36, v59
	v_mul_lo_u32 v21, s37, v58
	v_mad_u64_u32 v[58:59], s[46:47], s36, v58, v[62:63]
	v_add3_u32 v59, v21, v59, v1
	v_mul_lo_u32 v1, s36, v61
	v_mul_lo_u32 v21, s37, v60
	v_mad_u64_u32 v[60:61], s[46:47], s36, v60, v[62:63]
	v_add3_u32 v61, v21, v61, v1
	v_mul_lo_u32 v1, s36, v65
	v_mul_lo_u32 v21, s37, v64
	v_mad_u64_u32 v[62:63], s[46:47], s36, v64, v[62:63]
	v_mov_b32_e32 v3, v0
	v_mul_lo_u32 v5, s36, v5
	v_mul_lo_u32 v7, s36, v7
	v_mul_lo_u32 v9, s36, v9
	v_mul_lo_u32 v11, s36, v11
	v_mul_lo_u32 v13, s36, v13
	v_mul_lo_u32 v15, s36, v15
	v_mul_lo_u32 v17, s36, v17
	v_mul_lo_u32 v19, s36, v19
	s_lshl_b64 s[88:89], s[88:89], 2
	v_add3_u32 v63, v21, v63, v1
	v_mov_b32_e32 v1, 0x60
	v_mov_b32_e32 v21, 0x80
	;; [unrolled: 1-line block ×5, first 2 shown]
	s_mov_b32 s45, s36
	s_branch .LBB38_21
.LBB38_20:                              ;   in Loop: Header=BB38_21 Depth=1
	s_or_b64 exec, exec, s[90:91]
	v_mov_b32_e32 v29, s45
	v_add_co_u32_e32 v16, vcc, 0, v16
	v_addc_co_u32_e32 v5, vcc, v5, v29, vcc
	v_add_co_u32_e32 v18, vcc, 0, v18
	v_addc_co_u32_e32 v7, vcc, v7, v29, vcc
	;; [unrolled: 2-line block ×5, first 2 shown]
	s_add_i32 s38, s38, 1
	v_add_co_u32_e32 v26, vcc, 0, v26
	v_addc_co_u32_e32 v15, vcc, v15, v29, vcc
	s_add_u32 s34, s34, 8
	v_add_co_u32_e32 v28, vcc, 0, v28
	s_addc_u32 s35, s35, 0
	v_addc_co_u32_e32 v17, vcc, v17, v29, vcc
	s_add_u32 s42, s42, s88
	s_addc_u32 s43, s43, s89
	v_readlane_b32 s46, v84, 1
	v_add_co_u32_e32 v30, vcc, 0, v30
	s_cmp_ge_i32 s38, s46
	v_addc_co_u32_e32 v19, vcc, v19, v29, vcc
	s_cbranch_scc1 .LBB38_149
.LBB38_21:                              ; =>This Inner Loop Header: Depth=1
	s_load_dwordx2 s[46:47], s[34:35], 0x0
	v_readlane_b32 s90, v84, 0
	s_waitcnt lgkmcnt(0)
	s_sub_u32 s46, s46, s90
	s_subb_u32 s47, s47, 0
	s_mul_i32 s90, s46, s37
	s_mul_hi_u32 s91, s46, s36
	s_add_i32 s90, s91, s90
	s_mul_i32 s47, s47, s36
	s_mul_i32 s46, s46, s36
	s_add_i32 s90, s90, s47
	v_readlane_b32 s47, v84, 2
	s_add_u32 s46, s46, s47
	s_addc_u32 s47, s90, 0
	v_mov_b32_e32 v29, s47
	v_add_co_u32_e32 v68, vcc, s46, v0
	v_addc_co_u32_e32 v69, vcc, 0, v29, vcc
	s_mov_b64 s[90:91], exec
	v_readlane_b32 vcc_lo, v84, 3
	v_readlane_b32 vcc_hi, v84, 4
	s_and_b64 vcc, s[90:91], vcc
	s_mov_b64 exec, vcc
	s_cbranch_execz .LBB38_23
; %bb.22:                               ;   in Loop: Header=BB38_21 Depth=1
	v_cndmask_b32_e64 v31, v48, v46, s[0:1]
	v_cndmask_b32_e64 v29, v49, v47, s[0:1]
	v_mov_b32_e32 v65, s43
	v_add_co_u32_e32 v64, vcc, s42, v31
	v_addc_co_u32_e32 v65, vcc, v65, v29, vcc
	global_load_dword v29, v[64:65], off
	v_add_co_u32_e32 v64, vcc, 0, v30
	v_addc_co_u32_e32 v65, vcc, v3, v19, vcc
	v_ashrrev_i64 v[66:67], 29, v[64:65]
	v_mov_b32_e32 v31, s5
	v_add_co_u32_e32 v66, vcc, s4, v66
	v_addc_co_u32_e32 v67, vcc, v31, v67, vcc
	v_ashrrev_i64 v[64:65], 30, v[64:65]
	v_mov_b32_e32 v31, s41
	v_add_co_u32_e32 v64, vcc, s40, v64
	v_addc_co_u32_e32 v65, vcc, v31, v65, vcc
	global_store_dwordx2 v[66:67], v[68:69], off
	s_waitcnt vmcnt(1)
	global_store_dword v[64:65], v29, off
.LBB38_23:                              ;   in Loop: Header=BB38_21 Depth=1
	s_or_b64 exec, exec, s[90:91]
	v_mov_b32_e32 v29, s47
	v_add_co_u32_e32 v64, vcc, s46, v2
	v_addc_co_u32_e32 v65, vcc, 0, v29, vcc
	s_mov_b64 s[90:91], exec
	v_readlane_b32 vcc_lo, v84, 5
	v_readlane_b32 vcc_hi, v84, 6
	s_and_b64 vcc, s[90:91], vcc
	s_mov_b64 exec, vcc
	s_cbranch_execz .LBB38_25
; %bb.24:                               ;   in Loop: Header=BB38_21 Depth=1
	v_mov_b32_e32 v29, s43
	v_add_co_u32_e32 v31, vcc, s42, v46
	v_addc_co_u32_e32 v66, vcc, v29, v47, vcc
	v_add_co_u32_e32 v31, vcc, s44, v31
	v_addc_co_u32_e32 v66, vcc, 0, v66, vcc
	v_add_co_u32_e32 v70, vcc, s42, v50
	v_addc_co_u32_e32 v29, vcc, v29, v51, vcc
	v_cndmask_b32_e64 v67, v29, v66, s[0:1]
	v_cndmask_b32_e64 v66, v70, v31, s[0:1]
	global_load_dword v29, v[66:67], off
	v_add_co_u32_e32 v31, vcc, 0, v30
	v_addc_co_u32_e32 v67, vcc, v3, v19, vcc
	v_add_co_u32_e32 v66, vcc, 0, v31
	v_addc_co_u32_e32 v67, vcc, 32, v67, vcc
	v_ashrrev_i64 v[70:71], 29, v[66:67]
	v_mov_b32_e32 v31, s5
	v_add_co_u32_e32 v70, vcc, s4, v70
	v_addc_co_u32_e32 v71, vcc, v31, v71, vcc
	v_ashrrev_i64 v[66:67], 30, v[66:67]
	v_mov_b32_e32 v31, s41
	v_add_co_u32_e32 v66, vcc, s40, v66
	v_addc_co_u32_e32 v67, vcc, v31, v67, vcc
	global_store_dwordx2 v[70:71], v[64:65], off
	s_waitcnt vmcnt(1)
	global_store_dword v[66:67], v29, off
.LBB38_25:                              ;   in Loop: Header=BB38_21 Depth=1
	s_or_b64 exec, exec, s[90:91]
	v_mov_b32_e32 v29, s47
	v_add_co_u32_e32 v66, vcc, s46, v4
	v_addc_co_u32_e32 v67, vcc, 0, v29, vcc
	s_mov_b64 s[90:91], exec
	v_readlane_b32 vcc_lo, v84, 7
	v_readlane_b32 vcc_hi, v84, 8
	s_and_b64 vcc, s[90:91], vcc
	s_mov_b64 exec, vcc
	s_cbranch_execz .LBB38_27
; %bb.26:                               ;   in Loop: Header=BB38_21 Depth=1
	v_mov_b32_e32 v29, s43
	v_add_co_u32_e32 v31, vcc, s42, v46
	v_addc_co_u32_e32 v70, vcc, v29, v47, vcc
	v_add_co_u32_e32 v31, vcc, s95, v31
	v_addc_co_u32_e32 v70, vcc, 0, v70, vcc
	v_add_co_u32_e32 v72, vcc, s42, v52
	v_addc_co_u32_e32 v29, vcc, v29, v53, vcc
	v_cndmask_b32_e64 v71, v29, v70, s[0:1]
	v_cndmask_b32_e64 v70, v72, v31, s[0:1]
	global_load_dword v29, v[70:71], off
	v_add_co_u32_e32 v31, vcc, 0, v30
	v_addc_co_u32_e32 v71, vcc, v3, v19, vcc
	v_add_co_u32_e32 v70, vcc, 0, v31
	v_addc_co_u32_e32 v71, vcc, 64, v71, vcc
	v_ashrrev_i64 v[72:73], 29, v[70:71]
	v_mov_b32_e32 v31, s5
	v_add_co_u32_e32 v72, vcc, s4, v72
	v_addc_co_u32_e32 v73, vcc, v31, v73, vcc
	v_ashrrev_i64 v[70:71], 30, v[70:71]
	v_mov_b32_e32 v31, s41
	v_add_co_u32_e32 v70, vcc, s40, v70
	v_addc_co_u32_e32 v71, vcc, v31, v71, vcc
	global_store_dwordx2 v[72:73], v[66:67], off
	s_waitcnt vmcnt(1)
	global_store_dword v[70:71], v29, off
.LBB38_27:                              ;   in Loop: Header=BB38_21 Depth=1
	;; [unrolled: 37-line block ×6, first 2 shown]
	s_or_b64 exec, exec, s[90:91]
	v_mov_b32_e32 v29, s47
	v_add_co_u32_e32 v78, vcc, s46, v14
	v_addc_co_u32_e32 v79, vcc, 0, v29, vcc
	s_mov_b64 s[90:91], exec
	v_readlane_b32 s46, v84, 17
	v_readlane_b32 s47, v84, 18
	s_and_b64 s[46:47], s[90:91], s[46:47]
	s_mov_b64 exec, s[46:47]
	s_cbranch_execz .LBB38_37
; %bb.36:                               ;   in Loop: Header=BB38_21 Depth=1
	v_mov_b32_e32 v29, s43
	v_add_co_u32_e32 v31, vcc, s42, v46
	v_addc_co_u32_e32 v80, vcc, v29, v47, vcc
	v_add_co_u32_e32 v31, vcc, s39, v31
	v_addc_co_u32_e32 v80, vcc, 0, v80, vcc
	;; [unrolled: 2-line block ×3, first 2 shown]
	v_cndmask_b32_e64 v81, v29, v80, s[0:1]
	v_cndmask_b32_e64 v80, v82, v31, s[0:1]
	global_load_dword v29, v[80:81], off
	v_add_co_u32_e32 v31, vcc, 0, v30
	v_addc_co_u32_e32 v81, vcc, v3, v19, vcc
	v_add_co_u32_e32 v80, vcc, 0, v31
	v_addc_co_u32_e32 v81, vcc, v81, v27, vcc
	v_ashrrev_i64 v[82:83], 29, v[80:81]
	v_mov_b32_e32 v31, s5
	v_add_co_u32_e32 v82, vcc, s4, v82
	v_addc_co_u32_e32 v83, vcc, v31, v83, vcc
	v_ashrrev_i64 v[80:81], 30, v[80:81]
	v_mov_b32_e32 v31, s41
	v_add_co_u32_e32 v80, vcc, s40, v80
	v_addc_co_u32_e32 v81, vcc, v31, v81, vcc
	global_store_dwordx2 v[82:83], v[78:79], off
	s_waitcnt vmcnt(1)
	global_store_dword v[80:81], v29, off
.LBB38_37:                              ;   in Loop: Header=BB38_21 Depth=1
	s_or_b64 exec, exec, s[90:91]
	s_mov_b64 s[90:91], exec
	v_readlane_b32 s46, v84, 19
	v_readlane_b32 s47, v84, 20
	s_and_b64 s[46:47], s[90:91], s[46:47]
	s_mov_b64 exec, s[46:47]
	s_cbranch_execz .LBB38_39
; %bb.38:                               ;   in Loop: Header=BB38_21 Depth=1
	v_mov_b32_e32 v29, s43
	v_add_co_u32_e32 v31, vcc, s42, v44
	v_addc_co_u32_e32 v80, vcc, v29, v45, vcc
	v_add_co_u32_e32 v81, vcc, s42, v48
	v_addc_co_u32_e32 v29, vcc, v29, v49, vcc
	v_add_co_u32_e32 v82, vcc, 0x80, v81
	v_addc_co_u32_e32 v29, vcc, 0, v29, vcc
	v_cndmask_b32_e64 v81, v29, v80, s[0:1]
	v_cndmask_b32_e64 v80, v82, v31, s[0:1]
	global_load_dword v29, v[80:81], off
	v_add_co_u32_e32 v80, vcc, 0, v28
	v_addc_co_u32_e32 v81, vcc, v3, v17, vcc
	v_ashrrev_i64 v[82:83], 29, v[80:81]
	v_mov_b32_e32 v31, s5
	v_add_co_u32_e32 v82, vcc, s4, v82
	v_addc_co_u32_e32 v83, vcc, v31, v83, vcc
	v_ashrrev_i64 v[80:81], 30, v[80:81]
	v_mov_b32_e32 v31, s41
	v_add_co_u32_e32 v80, vcc, s40, v80
	v_addc_co_u32_e32 v81, vcc, v31, v81, vcc
	global_store_dwordx2 v[82:83], v[68:69], off
	s_waitcnt vmcnt(1)
	global_store_dword v[80:81], v29, off
.LBB38_39:                              ;   in Loop: Header=BB38_21 Depth=1
	s_or_b64 exec, exec, s[90:91]
	s_mov_b64 s[90:91], exec
	v_readlane_b32 s46, v84, 21
	v_readlane_b32 s47, v84, 22
	s_and_b64 s[46:47], s[90:91], s[46:47]
	s_mov_b64 exec, s[46:47]
	s_cbranch_execz .LBB38_41
; %bb.40:                               ;   in Loop: Header=BB38_21 Depth=1
	v_cndmask_b32_e64 v31, v50, v44, s[0:1]
	v_cndmask_b32_e64 v29, v51, v45, s[0:1]
	v_mov_b32_e32 v81, s43
	v_add_co_u32_e32 v80, vcc, s42, v31
	v_addc_co_u32_e32 v81, vcc, v81, v29, vcc
	global_load_dword v29, v[80:81], off offset:128
	v_add_co_u32_e32 v31, vcc, 0, v28
	v_addc_co_u32_e32 v81, vcc, v3, v17, vcc
	v_add_co_u32_e32 v80, vcc, 0, v31
	v_addc_co_u32_e32 v81, vcc, 32, v81, vcc
	v_ashrrev_i64 v[82:83], 29, v[80:81]
	v_mov_b32_e32 v31, s5
	v_add_co_u32_e32 v82, vcc, s4, v82
	v_addc_co_u32_e32 v83, vcc, v31, v83, vcc
	v_ashrrev_i64 v[80:81], 30, v[80:81]
	v_mov_b32_e32 v31, s41
	v_add_co_u32_e32 v80, vcc, s40, v80
	v_addc_co_u32_e32 v81, vcc, v31, v81, vcc
	global_store_dwordx2 v[82:83], v[64:65], off
	s_waitcnt vmcnt(1)
	global_store_dword v[80:81], v29, off
.LBB38_41:                              ;   in Loop: Header=BB38_21 Depth=1
	s_or_b64 exec, exec, s[90:91]
	s_mov_b64 s[90:91], exec
	v_readlane_b32 s46, v84, 23
	v_readlane_b32 s47, v84, 24
	s_and_b64 s[46:47], s[90:91], s[46:47]
	s_mov_b64 exec, s[46:47]
	s_cbranch_execz .LBB38_43
; %bb.42:                               ;   in Loop: Header=BB38_21 Depth=1
	v_mov_b32_e32 v29, s43
	v_add_co_u32_e32 v31, vcc, s42, v44
	v_addc_co_u32_e32 v80, vcc, v29, v45, vcc
	v_add_co_u32_e32 v31, vcc, s95, v31
	v_addc_co_u32_e32 v80, vcc, 0, v80, vcc
	v_add_co_u32_e32 v81, vcc, s42, v52
	v_addc_co_u32_e32 v29, vcc, v29, v53, vcc
	v_add_co_u32_e32 v82, vcc, 0x80, v81
	v_addc_co_u32_e32 v29, vcc, 0, v29, vcc
	v_cndmask_b32_e64 v81, v29, v80, s[0:1]
	v_cndmask_b32_e64 v80, v82, v31, s[0:1]
	global_load_dword v29, v[80:81], off
	v_add_co_u32_e32 v31, vcc, 0, v28
	v_addc_co_u32_e32 v81, vcc, v3, v17, vcc
	v_add_co_u32_e32 v80, vcc, 0, v31
	v_addc_co_u32_e32 v81, vcc, 64, v81, vcc
	v_ashrrev_i64 v[82:83], 29, v[80:81]
	v_mov_b32_e32 v31, s5
	v_add_co_u32_e32 v82, vcc, s4, v82
	v_addc_co_u32_e32 v83, vcc, v31, v83, vcc
	v_ashrrev_i64 v[80:81], 30, v[80:81]
	v_mov_b32_e32 v31, s41
	v_add_co_u32_e32 v80, vcc, s40, v80
	v_addc_co_u32_e32 v81, vcc, v31, v81, vcc
	global_store_dwordx2 v[82:83], v[66:67], off
	s_waitcnt vmcnt(1)
	global_store_dword v[80:81], v29, off
.LBB38_43:                              ;   in Loop: Header=BB38_21 Depth=1
	s_or_b64 exec, exec, s[90:91]
	s_mov_b64 s[90:91], exec
	v_readlane_b32 s46, v84, 25
	v_readlane_b32 s47, v84, 26
	s_and_b64 s[46:47], s[90:91], s[46:47]
	s_mov_b64 exec, s[46:47]
	s_cbranch_execz .LBB38_45
; %bb.44:                               ;   in Loop: Header=BB38_21 Depth=1
	v_mov_b32_e32 v29, s43
	v_add_co_u32_e32 v31, vcc, s42, v44
	v_addc_co_u32_e32 v80, vcc, v29, v45, vcc
	v_add_co_u32_e32 v31, vcc, s94, v31
	v_addc_co_u32_e32 v80, vcc, 0, v80, vcc
	v_add_co_u32_e32 v81, vcc, s42, v54
	v_addc_co_u32_e32 v29, vcc, v29, v55, vcc
	v_add_co_u32_e32 v82, vcc, 0x80, v81
	v_addc_co_u32_e32 v29, vcc, 0, v29, vcc
	v_cndmask_b32_e64 v81, v29, v80, s[0:1]
	v_cndmask_b32_e64 v80, v82, v31, s[0:1]
	global_load_dword v29, v[80:81], off
	v_add_co_u32_e32 v31, vcc, 0, v28
	v_addc_co_u32_e32 v81, vcc, v3, v17, vcc
	v_add_co_u32_e32 v80, vcc, 0, v31
	v_addc_co_u32_e32 v81, vcc, v81, v1, vcc
	v_ashrrev_i64 v[82:83], 29, v[80:81]
	v_mov_b32_e32 v31, s5
	v_add_co_u32_e32 v82, vcc, s4, v82
	v_addc_co_u32_e32 v83, vcc, v31, v83, vcc
	v_ashrrev_i64 v[80:81], 30, v[80:81]
	v_mov_b32_e32 v31, s41
	v_add_co_u32_e32 v80, vcc, s40, v80
	v_addc_co_u32_e32 v81, vcc, v31, v81, vcc
	global_store_dwordx2 v[82:83], v[70:71], off
	s_waitcnt vmcnt(1)
	global_store_dword v[80:81], v29, off
.LBB38_45:                              ;   in Loop: Header=BB38_21 Depth=1
	;; [unrolled: 36-line block ×6, first 2 shown]
	s_or_b64 exec, exec, s[90:91]
	s_mov_b64 s[90:91], exec
	v_readlane_b32 s46, v84, 35
	v_readlane_b32 s47, v84, 36
	s_and_b64 s[46:47], s[90:91], s[46:47]
	s_mov_b64 exec, s[46:47]
	s_cbranch_execz .LBB38_55
; %bb.54:                               ;   in Loop: Header=BB38_21 Depth=1
	v_mov_b32_e32 v29, s43
	v_add_co_u32_e32 v31, vcc, s42, v42
	v_addc_co_u32_e32 v80, vcc, v29, v43, vcc
	v_add_co_u32_e32 v81, vcc, s42, v48
	v_addc_co_u32_e32 v29, vcc, v29, v49, vcc
	;; [unrolled: 2-line block ×3, first 2 shown]
	v_cndmask_b32_e64 v81, v29, v80, s[0:1]
	v_cndmask_b32_e64 v80, v82, v31, s[0:1]
	global_load_dword v29, v[80:81], off
	v_add_co_u32_e32 v80, vcc, 0, v26
	v_addc_co_u32_e32 v81, vcc, v3, v15, vcc
	v_ashrrev_i64 v[82:83], 29, v[80:81]
	v_mov_b32_e32 v31, s5
	v_add_co_u32_e32 v82, vcc, s4, v82
	v_addc_co_u32_e32 v83, vcc, v31, v83, vcc
	v_ashrrev_i64 v[80:81], 30, v[80:81]
	v_mov_b32_e32 v31, s41
	v_add_co_u32_e32 v80, vcc, s40, v80
	v_addc_co_u32_e32 v81, vcc, v31, v81, vcc
	global_store_dwordx2 v[82:83], v[68:69], off
	s_waitcnt vmcnt(1)
	global_store_dword v[80:81], v29, off
.LBB38_55:                              ;   in Loop: Header=BB38_21 Depth=1
	s_or_b64 exec, exec, s[90:91]
	s_mov_b64 s[90:91], exec
	v_readlane_b32 s46, v84, 37
	v_readlane_b32 s47, v84, 38
	s_and_b64 s[46:47], s[90:91], s[46:47]
	s_mov_b64 exec, s[46:47]
	s_cbranch_execz .LBB38_57
; %bb.56:                               ;   in Loop: Header=BB38_21 Depth=1
	v_mov_b32_e32 v29, s43
	v_add_co_u32_e32 v31, vcc, s42, v42
	v_addc_co_u32_e32 v80, vcc, v29, v43, vcc
	v_add_co_u32_e32 v31, vcc, s44, v31
	v_addc_co_u32_e32 v80, vcc, 0, v80, vcc
	;; [unrolled: 2-line block ×4, first 2 shown]
	v_cndmask_b32_e64 v81, v29, v80, s[0:1]
	v_cndmask_b32_e64 v80, v82, v31, s[0:1]
	global_load_dword v29, v[80:81], off
	v_add_co_u32_e32 v31, vcc, 0, v26
	v_addc_co_u32_e32 v81, vcc, v3, v15, vcc
	v_add_co_u32_e32 v80, vcc, 0, v31
	v_addc_co_u32_e32 v81, vcc, 32, v81, vcc
	v_ashrrev_i64 v[82:83], 29, v[80:81]
	v_mov_b32_e32 v31, s5
	v_add_co_u32_e32 v82, vcc, s4, v82
	v_addc_co_u32_e32 v83, vcc, v31, v83, vcc
	v_ashrrev_i64 v[80:81], 30, v[80:81]
	v_mov_b32_e32 v31, s41
	v_add_co_u32_e32 v80, vcc, s40, v80
	v_addc_co_u32_e32 v81, vcc, v31, v81, vcc
	global_store_dwordx2 v[82:83], v[64:65], off
	s_waitcnt vmcnt(1)
	global_store_dword v[80:81], v29, off
.LBB38_57:                              ;   in Loop: Header=BB38_21 Depth=1
	s_or_b64 exec, exec, s[90:91]
	s_mov_b64 s[90:91], exec
	v_readlane_b32 s46, v84, 39
	v_readlane_b32 s47, v84, 40
	s_and_b64 s[46:47], s[90:91], s[46:47]
	s_mov_b64 exec, s[46:47]
	s_cbranch_execz .LBB38_59
; %bb.58:                               ;   in Loop: Header=BB38_21 Depth=1
	v_cndmask_b32_e64 v31, v52, v42, s[0:1]
	v_cndmask_b32_e64 v29, v53, v43, s[0:1]
	v_mov_b32_e32 v81, s43
	v_add_co_u32_e32 v80, vcc, s42, v31
	v_addc_co_u32_e32 v81, vcc, v81, v29, vcc
	global_load_dword v29, v[80:81], off offset:256
	v_add_co_u32_e32 v31, vcc, 0, v26
	v_addc_co_u32_e32 v81, vcc, v3, v15, vcc
	v_add_co_u32_e32 v80, vcc, 0, v31
	v_addc_co_u32_e32 v81, vcc, 64, v81, vcc
	v_ashrrev_i64 v[82:83], 29, v[80:81]
	v_mov_b32_e32 v31, s5
	v_add_co_u32_e32 v82, vcc, s4, v82
	v_addc_co_u32_e32 v83, vcc, v31, v83, vcc
	v_ashrrev_i64 v[80:81], 30, v[80:81]
	v_mov_b32_e32 v31, s41
	v_add_co_u32_e32 v80, vcc, s40, v80
	v_addc_co_u32_e32 v81, vcc, v31, v81, vcc
	global_store_dwordx2 v[82:83], v[66:67], off
	s_waitcnt vmcnt(1)
	global_store_dword v[80:81], v29, off
.LBB38_59:                              ;   in Loop: Header=BB38_21 Depth=1
	s_or_b64 exec, exec, s[90:91]
	s_mov_b64 s[90:91], exec
	v_readlane_b32 s46, v84, 41
	v_readlane_b32 s47, v84, 42
	s_and_b64 s[46:47], s[90:91], s[46:47]
	s_mov_b64 exec, s[46:47]
	s_cbranch_execz .LBB38_61
; %bb.60:                               ;   in Loop: Header=BB38_21 Depth=1
	v_mov_b32_e32 v29, s43
	v_add_co_u32_e32 v31, vcc, s42, v42
	v_addc_co_u32_e32 v80, vcc, v29, v43, vcc
	v_add_co_u32_e32 v31, vcc, s94, v31
	v_addc_co_u32_e32 v80, vcc, 0, v80, vcc
	v_add_co_u32_e32 v81, vcc, s42, v54
	v_addc_co_u32_e32 v29, vcc, v29, v55, vcc
	v_add_co_u32_e32 v82, vcc, 0x100, v81
	v_addc_co_u32_e32 v29, vcc, 0, v29, vcc
	v_cndmask_b32_e64 v81, v29, v80, s[0:1]
	v_cndmask_b32_e64 v80, v82, v31, s[0:1]
	global_load_dword v29, v[80:81], off
	v_add_co_u32_e32 v31, vcc, 0, v26
	v_addc_co_u32_e32 v81, vcc, v3, v15, vcc
	v_add_co_u32_e32 v80, vcc, 0, v31
	v_addc_co_u32_e32 v81, vcc, v81, v1, vcc
	v_ashrrev_i64 v[82:83], 29, v[80:81]
	v_mov_b32_e32 v31, s5
	v_add_co_u32_e32 v82, vcc, s4, v82
	v_addc_co_u32_e32 v83, vcc, v31, v83, vcc
	v_ashrrev_i64 v[80:81], 30, v[80:81]
	v_mov_b32_e32 v31, s41
	v_add_co_u32_e32 v80, vcc, s40, v80
	v_addc_co_u32_e32 v81, vcc, v31, v81, vcc
	global_store_dwordx2 v[82:83], v[70:71], off
	s_waitcnt vmcnt(1)
	global_store_dword v[80:81], v29, off
.LBB38_61:                              ;   in Loop: Header=BB38_21 Depth=1
	s_or_b64 exec, exec, s[90:91]
	s_mov_b64 s[90:91], exec
	v_readlane_b32 s46, v84, 43
	v_readlane_b32 s47, v84, 44
	s_and_b64 s[46:47], s[90:91], s[46:47]
	s_mov_b64 exec, s[46:47]
	s_cbranch_execz .LBB38_63
; %bb.62:                               ;   in Loop: Header=BB38_21 Depth=1
	v_mov_b32_e32 v29, s43
	v_add_co_u32_e32 v31, vcc, s42, v42
	v_addc_co_u32_e32 v80, vcc, v29, v43, vcc
	v_add_co_u32_e32 v31, vcc, s93, v31
	v_addc_co_u32_e32 v80, vcc, 0, v80, vcc
	v_add_co_u32_e32 v81, vcc, s42, v56
	v_addc_co_u32_e32 v29, vcc, v29, v57, vcc
	v_add_co_u32_e32 v82, vcc, 0x100, v81
	v_addc_co_u32_e32 v29, vcc, 0, v29, vcc
	v_cndmask_b32_e64 v81, v29, v80, s[0:1]
	v_cndmask_b32_e64 v80, v82, v31, s[0:1]
	global_load_dword v29, v[80:81], off
	v_add_co_u32_e32 v31, vcc, 0, v26
	v_addc_co_u32_e32 v81, vcc, v3, v15, vcc
	v_add_co_u32_e32 v80, vcc, 0, v31
	v_addc_co_u32_e32 v81, vcc, v81, v21, vcc
	v_ashrrev_i64 v[82:83], 29, v[80:81]
	v_mov_b32_e32 v31, s5
	v_add_co_u32_e32 v82, vcc, s4, v82
	v_addc_co_u32_e32 v83, vcc, v31, v83, vcc
	v_ashrrev_i64 v[80:81], 30, v[80:81]
	v_mov_b32_e32 v31, s41
	v_add_co_u32_e32 v80, vcc, s40, v80
	v_addc_co_u32_e32 v81, vcc, v31, v81, vcc
	global_store_dwordx2 v[82:83], v[72:73], off
	s_waitcnt vmcnt(1)
	global_store_dword v[80:81], v29, off
.LBB38_63:                              ;   in Loop: Header=BB38_21 Depth=1
	;; [unrolled: 36-line block ×5, first 2 shown]
	s_or_b64 exec, exec, s[90:91]
	s_mov_b64 s[90:91], exec
	v_readlane_b32 s46, v84, 51
	v_readlane_b32 s47, v84, 52
	s_and_b64 s[46:47], s[90:91], s[46:47]
	s_mov_b64 exec, s[46:47]
	s_cbranch_execz .LBB38_71
; %bb.70:                               ;   in Loop: Header=BB38_21 Depth=1
	v_mov_b32_e32 v29, s43
	v_add_co_u32_e32 v31, vcc, s42, v40
	v_addc_co_u32_e32 v80, vcc, v29, v41, vcc
	v_add_co_u32_e32 v81, vcc, s42, v48
	v_addc_co_u32_e32 v29, vcc, v29, v49, vcc
	;; [unrolled: 2-line block ×3, first 2 shown]
	v_cndmask_b32_e64 v81, v29, v80, s[0:1]
	v_cndmask_b32_e64 v80, v82, v31, s[0:1]
	global_load_dword v29, v[80:81], off
	v_add_co_u32_e32 v80, vcc, 0, v24
	v_addc_co_u32_e32 v81, vcc, v3, v13, vcc
	v_ashrrev_i64 v[82:83], 29, v[80:81]
	v_mov_b32_e32 v31, s5
	v_add_co_u32_e32 v82, vcc, s4, v82
	v_addc_co_u32_e32 v83, vcc, v31, v83, vcc
	v_ashrrev_i64 v[80:81], 30, v[80:81]
	v_mov_b32_e32 v31, s41
	v_add_co_u32_e32 v80, vcc, s40, v80
	v_addc_co_u32_e32 v81, vcc, v31, v81, vcc
	global_store_dwordx2 v[82:83], v[68:69], off
	s_waitcnt vmcnt(1)
	global_store_dword v[80:81], v29, off
.LBB38_71:                              ;   in Loop: Header=BB38_21 Depth=1
	s_or_b64 exec, exec, s[90:91]
	s_mov_b64 s[90:91], exec
	v_readlane_b32 s46, v84, 53
	v_readlane_b32 s47, v84, 54
	s_and_b64 s[46:47], s[90:91], s[46:47]
	s_mov_b64 exec, s[46:47]
	s_cbranch_execz .LBB38_73
; %bb.72:                               ;   in Loop: Header=BB38_21 Depth=1
	v_mov_b32_e32 v29, s43
	v_add_co_u32_e32 v31, vcc, s42, v40
	v_addc_co_u32_e32 v80, vcc, v29, v41, vcc
	v_add_co_u32_e32 v31, vcc, s44, v31
	v_addc_co_u32_e32 v80, vcc, 0, v80, vcc
	;; [unrolled: 2-line block ×4, first 2 shown]
	v_cndmask_b32_e64 v81, v29, v80, s[0:1]
	v_cndmask_b32_e64 v80, v82, v31, s[0:1]
	global_load_dword v29, v[80:81], off
	v_add_co_u32_e32 v31, vcc, 0, v24
	v_addc_co_u32_e32 v81, vcc, v3, v13, vcc
	v_add_co_u32_e32 v80, vcc, 0, v31
	v_addc_co_u32_e32 v81, vcc, 32, v81, vcc
	v_ashrrev_i64 v[82:83], 29, v[80:81]
	v_mov_b32_e32 v31, s5
	v_add_co_u32_e32 v82, vcc, s4, v82
	v_addc_co_u32_e32 v83, vcc, v31, v83, vcc
	v_ashrrev_i64 v[80:81], 30, v[80:81]
	v_mov_b32_e32 v31, s41
	v_add_co_u32_e32 v80, vcc, s40, v80
	v_addc_co_u32_e32 v81, vcc, v31, v81, vcc
	global_store_dwordx2 v[82:83], v[64:65], off
	s_waitcnt vmcnt(1)
	global_store_dword v[80:81], v29, off
.LBB38_73:                              ;   in Loop: Header=BB38_21 Depth=1
	s_or_b64 exec, exec, s[90:91]
	s_mov_b64 s[90:91], exec
	v_readlane_b32 s46, v84, 55
	v_readlane_b32 s47, v84, 56
	s_and_b64 s[46:47], s[90:91], s[46:47]
	s_mov_b64 exec, s[46:47]
	s_cbranch_execz .LBB38_75
; %bb.74:                               ;   in Loop: Header=BB38_21 Depth=1
	v_mov_b32_e32 v29, s43
	v_add_co_u32_e32 v31, vcc, s42, v40
	v_addc_co_u32_e32 v80, vcc, v29, v41, vcc
	v_add_co_u32_e32 v31, vcc, s95, v31
	v_addc_co_u32_e32 v80, vcc, 0, v80, vcc
	;; [unrolled: 2-line block ×4, first 2 shown]
	v_cndmask_b32_e64 v81, v29, v80, s[0:1]
	v_cndmask_b32_e64 v80, v82, v31, s[0:1]
	global_load_dword v29, v[80:81], off
	v_add_co_u32_e32 v31, vcc, 0, v24
	v_addc_co_u32_e32 v81, vcc, v3, v13, vcc
	v_add_co_u32_e32 v80, vcc, 0, v31
	v_addc_co_u32_e32 v81, vcc, 64, v81, vcc
	v_ashrrev_i64 v[82:83], 29, v[80:81]
	v_mov_b32_e32 v31, s5
	v_add_co_u32_e32 v82, vcc, s4, v82
	v_addc_co_u32_e32 v83, vcc, v31, v83, vcc
	v_ashrrev_i64 v[80:81], 30, v[80:81]
	v_mov_b32_e32 v31, s41
	v_add_co_u32_e32 v80, vcc, s40, v80
	v_addc_co_u32_e32 v81, vcc, v31, v81, vcc
	global_store_dwordx2 v[82:83], v[66:67], off
	s_waitcnt vmcnt(1)
	global_store_dword v[80:81], v29, off
.LBB38_75:                              ;   in Loop: Header=BB38_21 Depth=1
	s_or_b64 exec, exec, s[90:91]
	s_mov_b64 s[90:91], exec
	v_readlane_b32 s46, v84, 57
	v_readlane_b32 s47, v84, 58
	s_and_b64 s[46:47], s[90:91], s[46:47]
	s_mov_b64 exec, s[46:47]
	s_cbranch_execz .LBB38_77
; %bb.76:                               ;   in Loop: Header=BB38_21 Depth=1
	v_cndmask_b32_e64 v31, v54, v40, s[0:1]
	v_cndmask_b32_e64 v29, v55, v41, s[0:1]
	v_mov_b32_e32 v81, s43
	v_add_co_u32_e32 v80, vcc, s42, v31
	v_addc_co_u32_e32 v81, vcc, v81, v29, vcc
	global_load_dword v29, v[80:81], off offset:384
	v_add_co_u32_e32 v31, vcc, 0, v24
	v_addc_co_u32_e32 v81, vcc, v3, v13, vcc
	v_add_co_u32_e32 v80, vcc, 0, v31
	v_addc_co_u32_e32 v81, vcc, v81, v1, vcc
	v_ashrrev_i64 v[82:83], 29, v[80:81]
	v_mov_b32_e32 v31, s5
	v_add_co_u32_e32 v82, vcc, s4, v82
	v_addc_co_u32_e32 v83, vcc, v31, v83, vcc
	v_ashrrev_i64 v[80:81], 30, v[80:81]
	v_mov_b32_e32 v31, s41
	v_add_co_u32_e32 v80, vcc, s40, v80
	v_addc_co_u32_e32 v81, vcc, v31, v81, vcc
	global_store_dwordx2 v[82:83], v[70:71], off
	s_waitcnt vmcnt(1)
	global_store_dword v[80:81], v29, off
.LBB38_77:                              ;   in Loop: Header=BB38_21 Depth=1
	s_or_b64 exec, exec, s[90:91]
	s_mov_b64 s[90:91], exec
	v_readlane_b32 s46, v84, 59
	v_readlane_b32 s47, v84, 60
	s_and_b64 s[46:47], s[90:91], s[46:47]
	s_mov_b64 exec, s[46:47]
	s_cbranch_execz .LBB38_79
; %bb.78:                               ;   in Loop: Header=BB38_21 Depth=1
	v_mov_b32_e32 v29, s43
	v_add_co_u32_e32 v31, vcc, s42, v40
	v_addc_co_u32_e32 v80, vcc, v29, v41, vcc
	v_add_co_u32_e32 v31, vcc, s93, v31
	v_addc_co_u32_e32 v80, vcc, 0, v80, vcc
	;; [unrolled: 2-line block ×4, first 2 shown]
	v_cndmask_b32_e64 v81, v29, v80, s[0:1]
	v_cndmask_b32_e64 v80, v82, v31, s[0:1]
	global_load_dword v29, v[80:81], off
	v_add_co_u32_e32 v31, vcc, 0, v24
	v_addc_co_u32_e32 v81, vcc, v3, v13, vcc
	v_add_co_u32_e32 v80, vcc, 0, v31
	v_addc_co_u32_e32 v81, vcc, v81, v21, vcc
	v_ashrrev_i64 v[82:83], 29, v[80:81]
	v_mov_b32_e32 v31, s5
	v_add_co_u32_e32 v82, vcc, s4, v82
	v_addc_co_u32_e32 v83, vcc, v31, v83, vcc
	v_ashrrev_i64 v[80:81], 30, v[80:81]
	v_mov_b32_e32 v31, s41
	v_add_co_u32_e32 v80, vcc, s40, v80
	v_addc_co_u32_e32 v81, vcc, v31, v81, vcc
	global_store_dwordx2 v[82:83], v[72:73], off
	s_waitcnt vmcnt(1)
	global_store_dword v[80:81], v29, off
.LBB38_79:                              ;   in Loop: Header=BB38_21 Depth=1
	s_or_b64 exec, exec, s[90:91]
	s_mov_b64 s[90:91], exec
	v_readlane_b32 s46, v84, 61
	v_readlane_b32 s47, v84, 62
	s_and_b64 s[46:47], s[90:91], s[46:47]
	s_mov_b64 exec, s[46:47]
	s_cbranch_execnz .LBB38_114
; %bb.80:                               ;   in Loop: Header=BB38_21 Depth=1
	s_or_b64 exec, exec, s[90:91]
	s_and_saveexec_b64 s[90:91], s[48:49]
	s_cbranch_execnz .LBB38_115
.LBB38_81:                              ;   in Loop: Header=BB38_21 Depth=1
	s_or_b64 exec, exec, s[90:91]
	s_and_saveexec_b64 s[90:91], s[8:9]
	s_cbranch_execnz .LBB38_116
.LBB38_82:                              ;   in Loop: Header=BB38_21 Depth=1
	s_or_b64 exec, exec, s[90:91]
	s_and_saveexec_b64 s[90:91], s[50:51]
	s_cbranch_execnz .LBB38_117
.LBB38_83:                              ;   in Loop: Header=BB38_21 Depth=1
	s_or_b64 exec, exec, s[90:91]
	s_and_saveexec_b64 s[90:91], s[52:53]
	s_cbranch_execnz .LBB38_118
.LBB38_84:                              ;   in Loop: Header=BB38_21 Depth=1
	s_or_b64 exec, exec, s[90:91]
	s_and_saveexec_b64 s[90:91], s[54:55]
	s_cbranch_execnz .LBB38_119
.LBB38_85:                              ;   in Loop: Header=BB38_21 Depth=1
	s_or_b64 exec, exec, s[90:91]
	s_and_saveexec_b64 s[90:91], s[56:57]
	s_cbranch_execnz .LBB38_120
.LBB38_86:                              ;   in Loop: Header=BB38_21 Depth=1
	s_or_b64 exec, exec, s[90:91]
	s_and_saveexec_b64 s[90:91], s[58:59]
	s_cbranch_execnz .LBB38_121
.LBB38_87:                              ;   in Loop: Header=BB38_21 Depth=1
	s_or_b64 exec, exec, s[90:91]
	s_and_saveexec_b64 s[90:91], s[60:61]
	s_cbranch_execnz .LBB38_122
.LBB38_88:                              ;   in Loop: Header=BB38_21 Depth=1
	s_or_b64 exec, exec, s[90:91]
	s_and_saveexec_b64 s[90:91], s[62:63]
	s_cbranch_execnz .LBB38_123
.LBB38_89:                              ;   in Loop: Header=BB38_21 Depth=1
	s_or_b64 exec, exec, s[90:91]
	s_and_saveexec_b64 s[90:91], s[10:11]
	s_cbranch_execnz .LBB38_124
.LBB38_90:                              ;   in Loop: Header=BB38_21 Depth=1
	s_or_b64 exec, exec, s[90:91]
	s_and_saveexec_b64 s[90:91], s[64:65]
	s_cbranch_execnz .LBB38_125
.LBB38_91:                              ;   in Loop: Header=BB38_21 Depth=1
	s_or_b64 exec, exec, s[90:91]
	s_and_saveexec_b64 s[90:91], s[66:67]
	s_cbranch_execnz .LBB38_126
.LBB38_92:                              ;   in Loop: Header=BB38_21 Depth=1
	s_or_b64 exec, exec, s[90:91]
	s_and_saveexec_b64 s[90:91], s[68:69]
	s_cbranch_execnz .LBB38_127
.LBB38_93:                              ;   in Loop: Header=BB38_21 Depth=1
	s_or_b64 exec, exec, s[90:91]
	s_and_saveexec_b64 s[90:91], s[70:71]
	s_cbranch_execnz .LBB38_128
.LBB38_94:                              ;   in Loop: Header=BB38_21 Depth=1
	s_or_b64 exec, exec, s[90:91]
	s_and_saveexec_b64 s[90:91], s[72:73]
	s_cbranch_execnz .LBB38_129
.LBB38_95:                              ;   in Loop: Header=BB38_21 Depth=1
	s_or_b64 exec, exec, s[90:91]
	s_and_saveexec_b64 s[90:91], s[2:3]
	s_cbranch_execnz .LBB38_130
.LBB38_96:                              ;   in Loop: Header=BB38_21 Depth=1
	s_or_b64 exec, exec, s[90:91]
	s_and_saveexec_b64 s[90:91], s[74:75]
	s_cbranch_execnz .LBB38_131
.LBB38_97:                              ;   in Loop: Header=BB38_21 Depth=1
	s_or_b64 exec, exec, s[90:91]
	s_and_saveexec_b64 s[90:91], s[12:13]
	s_cbranch_execnz .LBB38_132
.LBB38_98:                              ;   in Loop: Header=BB38_21 Depth=1
	s_or_b64 exec, exec, s[90:91]
	s_and_saveexec_b64 s[90:91], s[76:77]
	s_cbranch_execnz .LBB38_133
.LBB38_99:                              ;   in Loop: Header=BB38_21 Depth=1
	s_or_b64 exec, exec, s[90:91]
	s_and_saveexec_b64 s[90:91], s[78:79]
	s_cbranch_execnz .LBB38_134
.LBB38_100:                             ;   in Loop: Header=BB38_21 Depth=1
	s_or_b64 exec, exec, s[90:91]
	s_and_saveexec_b64 s[90:91], s[80:81]
	s_cbranch_execnz .LBB38_135
.LBB38_101:                             ;   in Loop: Header=BB38_21 Depth=1
	s_or_b64 exec, exec, s[90:91]
	s_and_saveexec_b64 s[90:91], s[82:83]
	s_cbranch_execnz .LBB38_136
.LBB38_102:                             ;   in Loop: Header=BB38_21 Depth=1
	s_or_b64 exec, exec, s[90:91]
	s_and_saveexec_b64 s[90:91], s[84:85]
	s_cbranch_execnz .LBB38_137
.LBB38_103:                             ;   in Loop: Header=BB38_21 Depth=1
	s_or_b64 exec, exec, s[90:91]
	s_and_saveexec_b64 s[90:91], s[86:87]
	s_cbranch_execnz .LBB38_138
.LBB38_104:                             ;   in Loop: Header=BB38_21 Depth=1
	s_or_b64 exec, exec, s[90:91]
	s_and_saveexec_b64 s[90:91], s[6:7]
	s_cbranch_execnz .LBB38_139
.LBB38_105:                             ;   in Loop: Header=BB38_21 Depth=1
	s_or_b64 exec, exec, s[90:91]
	s_and_saveexec_b64 s[90:91], s[14:15]
	s_cbranch_execnz .LBB38_140
.LBB38_106:                             ;   in Loop: Header=BB38_21 Depth=1
	s_or_b64 exec, exec, s[90:91]
	s_and_saveexec_b64 s[90:91], s[18:19]
	s_cbranch_execnz .LBB38_141
.LBB38_107:                             ;   in Loop: Header=BB38_21 Depth=1
	s_or_b64 exec, exec, s[90:91]
	s_and_saveexec_b64 s[90:91], s[20:21]
	s_cbranch_execnz .LBB38_142
.LBB38_108:                             ;   in Loop: Header=BB38_21 Depth=1
	s_or_b64 exec, exec, s[90:91]
	s_and_saveexec_b64 s[90:91], s[22:23]
	s_cbranch_execnz .LBB38_143
.LBB38_109:                             ;   in Loop: Header=BB38_21 Depth=1
	s_or_b64 exec, exec, s[90:91]
	s_and_saveexec_b64 s[90:91], s[24:25]
	s_cbranch_execnz .LBB38_144
.LBB38_110:                             ;   in Loop: Header=BB38_21 Depth=1
	s_or_b64 exec, exec, s[90:91]
	s_and_saveexec_b64 s[90:91], s[26:27]
	s_cbranch_execnz .LBB38_145
.LBB38_111:                             ;   in Loop: Header=BB38_21 Depth=1
	s_or_b64 exec, exec, s[90:91]
	s_and_saveexec_b64 s[90:91], s[28:29]
	s_cbranch_execnz .LBB38_146
.LBB38_112:                             ;   in Loop: Header=BB38_21 Depth=1
	s_or_b64 exec, exec, s[90:91]
	s_and_saveexec_b64 s[90:91], s[30:31]
	s_cbranch_execnz .LBB38_147
.LBB38_113:                             ;   in Loop: Header=BB38_21 Depth=1
	s_or_b64 exec, exec, s[90:91]
	s_and_saveexec_b64 s[90:91], s[16:17]
	s_cbranch_execz .LBB38_20
	s_branch .LBB38_148
.LBB38_114:                             ;   in Loop: Header=BB38_21 Depth=1
	v_mov_b32_e32 v29, s43
	v_add_co_u32_e32 v31, vcc, s42, v40
	v_addc_co_u32_e32 v80, vcc, v29, v41, vcc
	v_add_co_u32_e32 v31, vcc, s92, v31
	v_addc_co_u32_e32 v80, vcc, 0, v80, vcc
	;; [unrolled: 2-line block ×4, first 2 shown]
	v_cndmask_b32_e64 v81, v29, v80, s[0:1]
	v_cndmask_b32_e64 v80, v82, v31, s[0:1]
	global_load_dword v29, v[80:81], off
	v_add_co_u32_e32 v31, vcc, 0, v24
	v_addc_co_u32_e32 v81, vcc, v3, v13, vcc
	v_add_co_u32_e32 v80, vcc, 0, v31
	v_addc_co_u32_e32 v81, vcc, v81, v23, vcc
	v_ashrrev_i64 v[82:83], 29, v[80:81]
	v_mov_b32_e32 v31, s5
	v_add_co_u32_e32 v82, vcc, s4, v82
	v_addc_co_u32_e32 v83, vcc, v31, v83, vcc
	v_ashrrev_i64 v[80:81], 30, v[80:81]
	v_mov_b32_e32 v31, s41
	v_add_co_u32_e32 v80, vcc, s40, v80
	v_addc_co_u32_e32 v81, vcc, v31, v81, vcc
	global_store_dwordx2 v[82:83], v[74:75], off
	s_waitcnt vmcnt(1)
	global_store_dword v[80:81], v29, off
	s_or_b64 exec, exec, s[90:91]
	s_and_saveexec_b64 s[90:91], s[48:49]
	s_cbranch_execz .LBB38_81
.LBB38_115:                             ;   in Loop: Header=BB38_21 Depth=1
	v_mov_b32_e32 v29, s43
	v_add_co_u32_e32 v31, vcc, s42, v40
	v_addc_co_u32_e32 v80, vcc, v29, v41, vcc
	v_add_co_u32_e32 v31, vcc, s33, v31
	v_addc_co_u32_e32 v80, vcc, 0, v80, vcc
	;; [unrolled: 2-line block ×4, first 2 shown]
	v_cndmask_b32_e64 v81, v29, v80, s[0:1]
	v_cndmask_b32_e64 v80, v82, v31, s[0:1]
	global_load_dword v29, v[80:81], off
	v_add_co_u32_e32 v31, vcc, 0, v24
	v_addc_co_u32_e32 v81, vcc, v3, v13, vcc
	v_add_co_u32_e32 v80, vcc, 0, v31
	v_addc_co_u32_e32 v81, vcc, v81, v25, vcc
	v_ashrrev_i64 v[82:83], 29, v[80:81]
	v_mov_b32_e32 v31, s5
	v_add_co_u32_e32 v82, vcc, s4, v82
	v_addc_co_u32_e32 v83, vcc, v31, v83, vcc
	v_ashrrev_i64 v[80:81], 30, v[80:81]
	v_mov_b32_e32 v31, s41
	v_add_co_u32_e32 v80, vcc, s40, v80
	v_addc_co_u32_e32 v81, vcc, v31, v81, vcc
	global_store_dwordx2 v[82:83], v[76:77], off
	s_waitcnt vmcnt(1)
	global_store_dword v[80:81], v29, off
	s_or_b64 exec, exec, s[90:91]
	s_and_saveexec_b64 s[90:91], s[8:9]
	s_cbranch_execz .LBB38_82
.LBB38_116:                             ;   in Loop: Header=BB38_21 Depth=1
	v_mov_b32_e32 v29, s43
	v_add_co_u32_e32 v31, vcc, s42, v40
	v_addc_co_u32_e32 v80, vcc, v29, v41, vcc
	v_add_co_u32_e32 v31, vcc, s39, v31
	v_addc_co_u32_e32 v80, vcc, 0, v80, vcc
	v_add_co_u32_e32 v81, vcc, s42, v62
	v_addc_co_u32_e32 v29, vcc, v29, v63, vcc
	v_add_co_u32_e32 v82, vcc, 0x180, v81
	v_addc_co_u32_e32 v29, vcc, 0, v29, vcc
	v_cndmask_b32_e64 v81, v29, v80, s[0:1]
	v_cndmask_b32_e64 v80, v82, v31, s[0:1]
	global_load_dword v29, v[80:81], off
	v_add_co_u32_e32 v31, vcc, 0, v24
	v_addc_co_u32_e32 v81, vcc, v3, v13, vcc
	v_add_co_u32_e32 v80, vcc, 0, v31
	v_addc_co_u32_e32 v81, vcc, v81, v27, vcc
	v_ashrrev_i64 v[82:83], 29, v[80:81]
	v_mov_b32_e32 v31, s5
	v_add_co_u32_e32 v82, vcc, s4, v82
	v_addc_co_u32_e32 v83, vcc, v31, v83, vcc
	v_ashrrev_i64 v[80:81], 30, v[80:81]
	v_mov_b32_e32 v31, s41
	v_add_co_u32_e32 v80, vcc, s40, v80
	v_addc_co_u32_e32 v81, vcc, v31, v81, vcc
	global_store_dwordx2 v[82:83], v[78:79], off
	s_waitcnt vmcnt(1)
	global_store_dword v[80:81], v29, off
	s_or_b64 exec, exec, s[90:91]
	s_and_saveexec_b64 s[90:91], s[50:51]
	s_cbranch_execz .LBB38_83
.LBB38_117:                             ;   in Loop: Header=BB38_21 Depth=1
	v_mov_b32_e32 v29, s43
	v_add_co_u32_e32 v31, vcc, s42, v38
	v_addc_co_u32_e32 v80, vcc, v29, v39, vcc
	v_add_co_u32_e32 v81, vcc, s42, v48
	v_addc_co_u32_e32 v29, vcc, v29, v49, vcc
	;; [unrolled: 2-line block ×3, first 2 shown]
	v_cndmask_b32_e64 v81, v29, v80, s[0:1]
	v_cndmask_b32_e64 v80, v82, v31, s[0:1]
	global_load_dword v29, v[80:81], off
	v_add_co_u32_e32 v80, vcc, 0, v22
	v_addc_co_u32_e32 v81, vcc, v3, v11, vcc
	v_ashrrev_i64 v[82:83], 29, v[80:81]
	v_mov_b32_e32 v31, s5
	v_add_co_u32_e32 v82, vcc, s4, v82
	v_addc_co_u32_e32 v83, vcc, v31, v83, vcc
	v_ashrrev_i64 v[80:81], 30, v[80:81]
	v_mov_b32_e32 v31, s41
	v_add_co_u32_e32 v80, vcc, s40, v80
	v_addc_co_u32_e32 v81, vcc, v31, v81, vcc
	global_store_dwordx2 v[82:83], v[68:69], off
	s_waitcnt vmcnt(1)
	global_store_dword v[80:81], v29, off
	s_or_b64 exec, exec, s[90:91]
	s_and_saveexec_b64 s[90:91], s[52:53]
	s_cbranch_execz .LBB38_84
.LBB38_118:                             ;   in Loop: Header=BB38_21 Depth=1
	v_mov_b32_e32 v29, s43
	v_add_co_u32_e32 v31, vcc, s42, v38
	v_addc_co_u32_e32 v80, vcc, v29, v39, vcc
	v_add_co_u32_e32 v31, vcc, s44, v31
	v_addc_co_u32_e32 v80, vcc, 0, v80, vcc
	;; [unrolled: 2-line block ×4, first 2 shown]
	v_cndmask_b32_e64 v81, v29, v80, s[0:1]
	v_cndmask_b32_e64 v80, v82, v31, s[0:1]
	global_load_dword v29, v[80:81], off
	v_add_co_u32_e32 v31, vcc, 0, v22
	v_addc_co_u32_e32 v81, vcc, v3, v11, vcc
	v_add_co_u32_e32 v80, vcc, 0, v31
	v_addc_co_u32_e32 v81, vcc, 32, v81, vcc
	v_ashrrev_i64 v[82:83], 29, v[80:81]
	v_mov_b32_e32 v31, s5
	v_add_co_u32_e32 v82, vcc, s4, v82
	v_addc_co_u32_e32 v83, vcc, v31, v83, vcc
	v_ashrrev_i64 v[80:81], 30, v[80:81]
	v_mov_b32_e32 v31, s41
	v_add_co_u32_e32 v80, vcc, s40, v80
	v_addc_co_u32_e32 v81, vcc, v31, v81, vcc
	global_store_dwordx2 v[82:83], v[64:65], off
	s_waitcnt vmcnt(1)
	global_store_dword v[80:81], v29, off
	s_or_b64 exec, exec, s[90:91]
	s_and_saveexec_b64 s[90:91], s[54:55]
	s_cbranch_execz .LBB38_85
.LBB38_119:                             ;   in Loop: Header=BB38_21 Depth=1
	v_mov_b32_e32 v29, s43
	v_add_co_u32_e32 v31, vcc, s42, v38
	v_addc_co_u32_e32 v80, vcc, v29, v39, vcc
	v_add_co_u32_e32 v31, vcc, s95, v31
	v_addc_co_u32_e32 v80, vcc, 0, v80, vcc
	;; [unrolled: 2-line block ×4, first 2 shown]
	v_cndmask_b32_e64 v81, v29, v80, s[0:1]
	v_cndmask_b32_e64 v80, v82, v31, s[0:1]
	global_load_dword v29, v[80:81], off
	v_add_co_u32_e32 v31, vcc, 0, v22
	v_addc_co_u32_e32 v81, vcc, v3, v11, vcc
	v_add_co_u32_e32 v80, vcc, 0, v31
	v_addc_co_u32_e32 v81, vcc, 64, v81, vcc
	v_ashrrev_i64 v[82:83], 29, v[80:81]
	v_mov_b32_e32 v31, s5
	v_add_co_u32_e32 v82, vcc, s4, v82
	v_addc_co_u32_e32 v83, vcc, v31, v83, vcc
	v_ashrrev_i64 v[80:81], 30, v[80:81]
	v_mov_b32_e32 v31, s41
	v_add_co_u32_e32 v80, vcc, s40, v80
	v_addc_co_u32_e32 v81, vcc, v31, v81, vcc
	global_store_dwordx2 v[82:83], v[66:67], off
	s_waitcnt vmcnt(1)
	global_store_dword v[80:81], v29, off
	s_or_b64 exec, exec, s[90:91]
	s_and_saveexec_b64 s[90:91], s[56:57]
	s_cbranch_execz .LBB38_86
.LBB38_120:                             ;   in Loop: Header=BB38_21 Depth=1
	v_mov_b32_e32 v29, s43
	v_add_co_u32_e32 v31, vcc, s42, v38
	v_addc_co_u32_e32 v80, vcc, v29, v39, vcc
	v_add_co_u32_e32 v31, vcc, s94, v31
	v_addc_co_u32_e32 v80, vcc, 0, v80, vcc
	;; [unrolled: 2-line block ×4, first 2 shown]
	v_cndmask_b32_e64 v81, v29, v80, s[0:1]
	v_cndmask_b32_e64 v80, v82, v31, s[0:1]
	global_load_dword v29, v[80:81], off
	v_add_co_u32_e32 v31, vcc, 0, v22
	v_addc_co_u32_e32 v81, vcc, v3, v11, vcc
	v_add_co_u32_e32 v80, vcc, 0, v31
	v_addc_co_u32_e32 v81, vcc, v81, v1, vcc
	v_ashrrev_i64 v[82:83], 29, v[80:81]
	v_mov_b32_e32 v31, s5
	v_add_co_u32_e32 v82, vcc, s4, v82
	v_addc_co_u32_e32 v83, vcc, v31, v83, vcc
	v_ashrrev_i64 v[80:81], 30, v[80:81]
	v_mov_b32_e32 v31, s41
	v_add_co_u32_e32 v80, vcc, s40, v80
	v_addc_co_u32_e32 v81, vcc, v31, v81, vcc
	global_store_dwordx2 v[82:83], v[70:71], off
	s_waitcnt vmcnt(1)
	global_store_dword v[80:81], v29, off
	s_or_b64 exec, exec, s[90:91]
	s_and_saveexec_b64 s[90:91], s[58:59]
	s_cbranch_execz .LBB38_87
.LBB38_121:                             ;   in Loop: Header=BB38_21 Depth=1
	v_cndmask_b32_e64 v31, v56, v38, s[0:1]
	v_cndmask_b32_e64 v29, v57, v39, s[0:1]
	v_mov_b32_e32 v81, s43
	v_add_co_u32_e32 v80, vcc, s42, v31
	v_addc_co_u32_e32 v81, vcc, v81, v29, vcc
	global_load_dword v29, v[80:81], off offset:512
	v_add_co_u32_e32 v31, vcc, 0, v22
	v_addc_co_u32_e32 v81, vcc, v3, v11, vcc
	v_add_co_u32_e32 v80, vcc, 0, v31
	v_addc_co_u32_e32 v81, vcc, v81, v21, vcc
	v_ashrrev_i64 v[82:83], 29, v[80:81]
	v_mov_b32_e32 v31, s5
	v_add_co_u32_e32 v82, vcc, s4, v82
	v_addc_co_u32_e32 v83, vcc, v31, v83, vcc
	v_ashrrev_i64 v[80:81], 30, v[80:81]
	v_mov_b32_e32 v31, s41
	v_add_co_u32_e32 v80, vcc, s40, v80
	v_addc_co_u32_e32 v81, vcc, v31, v81, vcc
	global_store_dwordx2 v[82:83], v[72:73], off
	s_waitcnt vmcnt(1)
	global_store_dword v[80:81], v29, off
	s_or_b64 exec, exec, s[90:91]
	s_and_saveexec_b64 s[90:91], s[60:61]
	s_cbranch_execz .LBB38_88
.LBB38_122:                             ;   in Loop: Header=BB38_21 Depth=1
	v_mov_b32_e32 v29, s43
	v_add_co_u32_e32 v31, vcc, s42, v38
	v_addc_co_u32_e32 v80, vcc, v29, v39, vcc
	v_add_co_u32_e32 v31, vcc, s92, v31
	v_addc_co_u32_e32 v80, vcc, 0, v80, vcc
	;; [unrolled: 2-line block ×4, first 2 shown]
	v_cndmask_b32_e64 v81, v29, v80, s[0:1]
	v_cndmask_b32_e64 v80, v82, v31, s[0:1]
	global_load_dword v29, v[80:81], off
	v_add_co_u32_e32 v31, vcc, 0, v22
	v_addc_co_u32_e32 v81, vcc, v3, v11, vcc
	v_add_co_u32_e32 v80, vcc, 0, v31
	v_addc_co_u32_e32 v81, vcc, v81, v23, vcc
	v_ashrrev_i64 v[82:83], 29, v[80:81]
	v_mov_b32_e32 v31, s5
	v_add_co_u32_e32 v82, vcc, s4, v82
	v_addc_co_u32_e32 v83, vcc, v31, v83, vcc
	v_ashrrev_i64 v[80:81], 30, v[80:81]
	v_mov_b32_e32 v31, s41
	v_add_co_u32_e32 v80, vcc, s40, v80
	v_addc_co_u32_e32 v81, vcc, v31, v81, vcc
	global_store_dwordx2 v[82:83], v[74:75], off
	s_waitcnt vmcnt(1)
	global_store_dword v[80:81], v29, off
	s_or_b64 exec, exec, s[90:91]
	s_and_saveexec_b64 s[90:91], s[62:63]
	s_cbranch_execz .LBB38_89
.LBB38_123:                             ;   in Loop: Header=BB38_21 Depth=1
	v_mov_b32_e32 v29, s43
	v_add_co_u32_e32 v31, vcc, s42, v38
	v_addc_co_u32_e32 v80, vcc, v29, v39, vcc
	v_add_co_u32_e32 v31, vcc, s33, v31
	v_addc_co_u32_e32 v80, vcc, 0, v80, vcc
	;; [unrolled: 2-line block ×4, first 2 shown]
	v_cndmask_b32_e64 v81, v29, v80, s[0:1]
	v_cndmask_b32_e64 v80, v82, v31, s[0:1]
	global_load_dword v29, v[80:81], off
	v_add_co_u32_e32 v31, vcc, 0, v22
	v_addc_co_u32_e32 v81, vcc, v3, v11, vcc
	v_add_co_u32_e32 v80, vcc, 0, v31
	v_addc_co_u32_e32 v81, vcc, v81, v25, vcc
	v_ashrrev_i64 v[82:83], 29, v[80:81]
	v_mov_b32_e32 v31, s5
	v_add_co_u32_e32 v82, vcc, s4, v82
	v_addc_co_u32_e32 v83, vcc, v31, v83, vcc
	v_ashrrev_i64 v[80:81], 30, v[80:81]
	v_mov_b32_e32 v31, s41
	v_add_co_u32_e32 v80, vcc, s40, v80
	v_addc_co_u32_e32 v81, vcc, v31, v81, vcc
	global_store_dwordx2 v[82:83], v[76:77], off
	s_waitcnt vmcnt(1)
	global_store_dword v[80:81], v29, off
	s_or_b64 exec, exec, s[90:91]
	s_and_saveexec_b64 s[90:91], s[10:11]
	s_cbranch_execz .LBB38_90
.LBB38_124:                             ;   in Loop: Header=BB38_21 Depth=1
	v_mov_b32_e32 v29, s43
	v_add_co_u32_e32 v31, vcc, s42, v38
	v_addc_co_u32_e32 v80, vcc, v29, v39, vcc
	v_add_co_u32_e32 v31, vcc, s39, v31
	v_addc_co_u32_e32 v80, vcc, 0, v80, vcc
	;; [unrolled: 2-line block ×4, first 2 shown]
	v_cndmask_b32_e64 v81, v29, v80, s[0:1]
	v_cndmask_b32_e64 v80, v82, v31, s[0:1]
	global_load_dword v29, v[80:81], off
	v_add_co_u32_e32 v31, vcc, 0, v22
	v_addc_co_u32_e32 v81, vcc, v3, v11, vcc
	v_add_co_u32_e32 v80, vcc, 0, v31
	v_addc_co_u32_e32 v81, vcc, v81, v27, vcc
	v_ashrrev_i64 v[82:83], 29, v[80:81]
	v_mov_b32_e32 v31, s5
	v_add_co_u32_e32 v82, vcc, s4, v82
	v_addc_co_u32_e32 v83, vcc, v31, v83, vcc
	v_ashrrev_i64 v[80:81], 30, v[80:81]
	v_mov_b32_e32 v31, s41
	v_add_co_u32_e32 v80, vcc, s40, v80
	v_addc_co_u32_e32 v81, vcc, v31, v81, vcc
	global_store_dwordx2 v[82:83], v[78:79], off
	s_waitcnt vmcnt(1)
	global_store_dword v[80:81], v29, off
	s_or_b64 exec, exec, s[90:91]
	s_and_saveexec_b64 s[90:91], s[64:65]
	s_cbranch_execz .LBB38_91
.LBB38_125:                             ;   in Loop: Header=BB38_21 Depth=1
	v_mov_b32_e32 v29, s43
	v_add_co_u32_e32 v31, vcc, s42, v36
	v_addc_co_u32_e32 v80, vcc, v29, v37, vcc
	v_add_co_u32_e32 v81, vcc, s42, v48
	v_addc_co_u32_e32 v29, vcc, v29, v49, vcc
	;; [unrolled: 2-line block ×3, first 2 shown]
	v_cndmask_b32_e64 v81, v29, v80, s[0:1]
	v_cndmask_b32_e64 v80, v82, v31, s[0:1]
	global_load_dword v29, v[80:81], off
	v_add_co_u32_e32 v80, vcc, 0, v20
	v_addc_co_u32_e32 v81, vcc, v3, v9, vcc
	v_ashrrev_i64 v[82:83], 29, v[80:81]
	v_mov_b32_e32 v31, s5
	v_add_co_u32_e32 v82, vcc, s4, v82
	v_addc_co_u32_e32 v83, vcc, v31, v83, vcc
	v_ashrrev_i64 v[80:81], 30, v[80:81]
	v_mov_b32_e32 v31, s41
	v_add_co_u32_e32 v80, vcc, s40, v80
	v_addc_co_u32_e32 v81, vcc, v31, v81, vcc
	global_store_dwordx2 v[82:83], v[68:69], off
	s_waitcnt vmcnt(1)
	global_store_dword v[80:81], v29, off
	s_or_b64 exec, exec, s[90:91]
	s_and_saveexec_b64 s[90:91], s[66:67]
	s_cbranch_execz .LBB38_92
.LBB38_126:                             ;   in Loop: Header=BB38_21 Depth=1
	v_mov_b32_e32 v29, s43
	v_add_co_u32_e32 v31, vcc, s42, v36
	v_addc_co_u32_e32 v80, vcc, v29, v37, vcc
	v_add_co_u32_e32 v31, vcc, s44, v31
	v_addc_co_u32_e32 v80, vcc, 0, v80, vcc
	;; [unrolled: 2-line block ×4, first 2 shown]
	v_cndmask_b32_e64 v81, v29, v80, s[0:1]
	v_cndmask_b32_e64 v80, v82, v31, s[0:1]
	global_load_dword v29, v[80:81], off
	v_add_co_u32_e32 v31, vcc, 0, v20
	v_addc_co_u32_e32 v81, vcc, v3, v9, vcc
	v_add_co_u32_e32 v80, vcc, 0, v31
	v_addc_co_u32_e32 v81, vcc, 32, v81, vcc
	v_ashrrev_i64 v[82:83], 29, v[80:81]
	v_mov_b32_e32 v31, s5
	v_add_co_u32_e32 v82, vcc, s4, v82
	v_addc_co_u32_e32 v83, vcc, v31, v83, vcc
	v_ashrrev_i64 v[80:81], 30, v[80:81]
	v_mov_b32_e32 v31, s41
	v_add_co_u32_e32 v80, vcc, s40, v80
	v_addc_co_u32_e32 v81, vcc, v31, v81, vcc
	global_store_dwordx2 v[82:83], v[64:65], off
	s_waitcnt vmcnt(1)
	global_store_dword v[80:81], v29, off
	s_or_b64 exec, exec, s[90:91]
	s_and_saveexec_b64 s[90:91], s[68:69]
	s_cbranch_execz .LBB38_93
.LBB38_127:                             ;   in Loop: Header=BB38_21 Depth=1
	v_mov_b32_e32 v29, s43
	v_add_co_u32_e32 v31, vcc, s42, v36
	v_addc_co_u32_e32 v80, vcc, v29, v37, vcc
	v_add_co_u32_e32 v31, vcc, s95, v31
	v_addc_co_u32_e32 v80, vcc, 0, v80, vcc
	;; [unrolled: 2-line block ×4, first 2 shown]
	v_cndmask_b32_e64 v81, v29, v80, s[0:1]
	v_cndmask_b32_e64 v80, v82, v31, s[0:1]
	global_load_dword v29, v[80:81], off
	v_add_co_u32_e32 v31, vcc, 0, v20
	v_addc_co_u32_e32 v81, vcc, v3, v9, vcc
	v_add_co_u32_e32 v80, vcc, 0, v31
	v_addc_co_u32_e32 v81, vcc, 64, v81, vcc
	v_ashrrev_i64 v[82:83], 29, v[80:81]
	v_mov_b32_e32 v31, s5
	v_add_co_u32_e32 v82, vcc, s4, v82
	v_addc_co_u32_e32 v83, vcc, v31, v83, vcc
	v_ashrrev_i64 v[80:81], 30, v[80:81]
	v_mov_b32_e32 v31, s41
	v_add_co_u32_e32 v80, vcc, s40, v80
	v_addc_co_u32_e32 v81, vcc, v31, v81, vcc
	global_store_dwordx2 v[82:83], v[66:67], off
	s_waitcnt vmcnt(1)
	global_store_dword v[80:81], v29, off
	s_or_b64 exec, exec, s[90:91]
	s_and_saveexec_b64 s[90:91], s[70:71]
	s_cbranch_execz .LBB38_94
.LBB38_128:                             ;   in Loop: Header=BB38_21 Depth=1
	v_mov_b32_e32 v29, s43
	v_add_co_u32_e32 v31, vcc, s42, v36
	v_addc_co_u32_e32 v80, vcc, v29, v37, vcc
	v_add_co_u32_e32 v31, vcc, s94, v31
	v_addc_co_u32_e32 v80, vcc, 0, v80, vcc
	;; [unrolled: 2-line block ×4, first 2 shown]
	v_cndmask_b32_e64 v81, v29, v80, s[0:1]
	v_cndmask_b32_e64 v80, v82, v31, s[0:1]
	global_load_dword v29, v[80:81], off
	v_add_co_u32_e32 v31, vcc, 0, v20
	v_addc_co_u32_e32 v81, vcc, v3, v9, vcc
	v_add_co_u32_e32 v80, vcc, 0, v31
	v_addc_co_u32_e32 v81, vcc, v81, v1, vcc
	v_ashrrev_i64 v[82:83], 29, v[80:81]
	v_mov_b32_e32 v31, s5
	v_add_co_u32_e32 v82, vcc, s4, v82
	v_addc_co_u32_e32 v83, vcc, v31, v83, vcc
	v_ashrrev_i64 v[80:81], 30, v[80:81]
	v_mov_b32_e32 v31, s41
	v_add_co_u32_e32 v80, vcc, s40, v80
	v_addc_co_u32_e32 v81, vcc, v31, v81, vcc
	global_store_dwordx2 v[82:83], v[70:71], off
	s_waitcnt vmcnt(1)
	global_store_dword v[80:81], v29, off
	s_or_b64 exec, exec, s[90:91]
	s_and_saveexec_b64 s[90:91], s[72:73]
	s_cbranch_execz .LBB38_95
.LBB38_129:                             ;   in Loop: Header=BB38_21 Depth=1
	v_mov_b32_e32 v29, s43
	v_add_co_u32_e32 v31, vcc, s42, v36
	v_addc_co_u32_e32 v80, vcc, v29, v37, vcc
	v_add_co_u32_e32 v31, vcc, s93, v31
	v_addc_co_u32_e32 v80, vcc, 0, v80, vcc
	;; [unrolled: 2-line block ×4, first 2 shown]
	v_cndmask_b32_e64 v81, v29, v80, s[0:1]
	v_cndmask_b32_e64 v80, v82, v31, s[0:1]
	global_load_dword v29, v[80:81], off
	v_add_co_u32_e32 v31, vcc, 0, v20
	v_addc_co_u32_e32 v81, vcc, v3, v9, vcc
	v_add_co_u32_e32 v80, vcc, 0, v31
	v_addc_co_u32_e32 v81, vcc, v81, v21, vcc
	v_ashrrev_i64 v[82:83], 29, v[80:81]
	v_mov_b32_e32 v31, s5
	v_add_co_u32_e32 v82, vcc, s4, v82
	v_addc_co_u32_e32 v83, vcc, v31, v83, vcc
	v_ashrrev_i64 v[80:81], 30, v[80:81]
	v_mov_b32_e32 v31, s41
	v_add_co_u32_e32 v80, vcc, s40, v80
	v_addc_co_u32_e32 v81, vcc, v31, v81, vcc
	global_store_dwordx2 v[82:83], v[72:73], off
	s_waitcnt vmcnt(1)
	global_store_dword v[80:81], v29, off
	s_or_b64 exec, exec, s[90:91]
	s_and_saveexec_b64 s[90:91], s[2:3]
	s_cbranch_execz .LBB38_96
.LBB38_130:                             ;   in Loop: Header=BB38_21 Depth=1
	v_cndmask_b32_e64 v31, v58, v36, s[0:1]
	v_cndmask_b32_e64 v29, v59, v37, s[0:1]
	v_mov_b32_e32 v81, s43
	v_add_co_u32_e32 v80, vcc, s42, v31
	v_addc_co_u32_e32 v81, vcc, v81, v29, vcc
	global_load_dword v29, v[80:81], off offset:640
	v_add_co_u32_e32 v31, vcc, 0, v20
	v_addc_co_u32_e32 v81, vcc, v3, v9, vcc
	v_add_co_u32_e32 v80, vcc, 0, v31
	v_addc_co_u32_e32 v81, vcc, v81, v23, vcc
	v_ashrrev_i64 v[82:83], 29, v[80:81]
	v_mov_b32_e32 v31, s5
	v_add_co_u32_e32 v82, vcc, s4, v82
	v_addc_co_u32_e32 v83, vcc, v31, v83, vcc
	v_ashrrev_i64 v[80:81], 30, v[80:81]
	v_mov_b32_e32 v31, s41
	v_add_co_u32_e32 v80, vcc, s40, v80
	v_addc_co_u32_e32 v81, vcc, v31, v81, vcc
	global_store_dwordx2 v[82:83], v[74:75], off
	s_waitcnt vmcnt(1)
	global_store_dword v[80:81], v29, off
	s_or_b64 exec, exec, s[90:91]
	s_and_saveexec_b64 s[90:91], s[74:75]
	s_cbranch_execz .LBB38_97
.LBB38_131:                             ;   in Loop: Header=BB38_21 Depth=1
	v_mov_b32_e32 v29, s43
	v_add_co_u32_e32 v31, vcc, s42, v36
	v_addc_co_u32_e32 v80, vcc, v29, v37, vcc
	v_add_co_u32_e32 v31, vcc, s33, v31
	v_addc_co_u32_e32 v80, vcc, 0, v80, vcc
	;; [unrolled: 2-line block ×4, first 2 shown]
	v_cndmask_b32_e64 v81, v29, v80, s[0:1]
	v_cndmask_b32_e64 v80, v82, v31, s[0:1]
	global_load_dword v29, v[80:81], off
	v_add_co_u32_e32 v31, vcc, 0, v20
	v_addc_co_u32_e32 v81, vcc, v3, v9, vcc
	v_add_co_u32_e32 v80, vcc, 0, v31
	v_addc_co_u32_e32 v81, vcc, v81, v25, vcc
	v_ashrrev_i64 v[82:83], 29, v[80:81]
	v_mov_b32_e32 v31, s5
	v_add_co_u32_e32 v82, vcc, s4, v82
	v_addc_co_u32_e32 v83, vcc, v31, v83, vcc
	v_ashrrev_i64 v[80:81], 30, v[80:81]
	v_mov_b32_e32 v31, s41
	v_add_co_u32_e32 v80, vcc, s40, v80
	v_addc_co_u32_e32 v81, vcc, v31, v81, vcc
	global_store_dwordx2 v[82:83], v[76:77], off
	s_waitcnt vmcnt(1)
	global_store_dword v[80:81], v29, off
	s_or_b64 exec, exec, s[90:91]
	s_and_saveexec_b64 s[90:91], s[12:13]
	s_cbranch_execz .LBB38_98
.LBB38_132:                             ;   in Loop: Header=BB38_21 Depth=1
	v_mov_b32_e32 v29, s43
	v_add_co_u32_e32 v31, vcc, s42, v36
	v_addc_co_u32_e32 v80, vcc, v29, v37, vcc
	v_add_co_u32_e32 v31, vcc, s39, v31
	v_addc_co_u32_e32 v80, vcc, 0, v80, vcc
	;; [unrolled: 2-line block ×4, first 2 shown]
	v_cndmask_b32_e64 v81, v29, v80, s[0:1]
	v_cndmask_b32_e64 v80, v82, v31, s[0:1]
	global_load_dword v29, v[80:81], off
	v_add_co_u32_e32 v31, vcc, 0, v20
	v_addc_co_u32_e32 v81, vcc, v3, v9, vcc
	v_add_co_u32_e32 v80, vcc, 0, v31
	v_addc_co_u32_e32 v81, vcc, v81, v27, vcc
	v_ashrrev_i64 v[82:83], 29, v[80:81]
	v_mov_b32_e32 v31, s5
	v_add_co_u32_e32 v82, vcc, s4, v82
	v_addc_co_u32_e32 v83, vcc, v31, v83, vcc
	v_ashrrev_i64 v[80:81], 30, v[80:81]
	v_mov_b32_e32 v31, s41
	v_add_co_u32_e32 v80, vcc, s40, v80
	v_addc_co_u32_e32 v81, vcc, v31, v81, vcc
	global_store_dwordx2 v[82:83], v[78:79], off
	s_waitcnt vmcnt(1)
	global_store_dword v[80:81], v29, off
	s_or_b64 exec, exec, s[90:91]
	s_and_saveexec_b64 s[90:91], s[76:77]
	s_cbranch_execz .LBB38_99
.LBB38_133:                             ;   in Loop: Header=BB38_21 Depth=1
	v_mov_b32_e32 v29, s43
	v_add_co_u32_e32 v31, vcc, s42, v34
	v_addc_co_u32_e32 v80, vcc, v29, v35, vcc
	v_add_co_u32_e32 v81, vcc, s42, v48
	v_addc_co_u32_e32 v29, vcc, v29, v49, vcc
	;; [unrolled: 2-line block ×3, first 2 shown]
	v_cndmask_b32_e64 v81, v29, v80, s[0:1]
	v_cndmask_b32_e64 v80, v82, v31, s[0:1]
	global_load_dword v29, v[80:81], off
	v_add_co_u32_e32 v80, vcc, 0, v18
	v_addc_co_u32_e32 v81, vcc, v3, v7, vcc
	v_ashrrev_i64 v[82:83], 29, v[80:81]
	v_mov_b32_e32 v31, s5
	v_add_co_u32_e32 v82, vcc, s4, v82
	v_addc_co_u32_e32 v83, vcc, v31, v83, vcc
	v_ashrrev_i64 v[80:81], 30, v[80:81]
	v_mov_b32_e32 v31, s41
	v_add_co_u32_e32 v80, vcc, s40, v80
	v_addc_co_u32_e32 v81, vcc, v31, v81, vcc
	global_store_dwordx2 v[82:83], v[68:69], off
	s_waitcnt vmcnt(1)
	global_store_dword v[80:81], v29, off
	s_or_b64 exec, exec, s[90:91]
	s_and_saveexec_b64 s[90:91], s[78:79]
	s_cbranch_execz .LBB38_100
.LBB38_134:                             ;   in Loop: Header=BB38_21 Depth=1
	v_mov_b32_e32 v29, s43
	v_add_co_u32_e32 v31, vcc, s42, v34
	v_addc_co_u32_e32 v80, vcc, v29, v35, vcc
	v_add_co_u32_e32 v31, vcc, s44, v31
	v_addc_co_u32_e32 v80, vcc, 0, v80, vcc
	;; [unrolled: 2-line block ×4, first 2 shown]
	v_cndmask_b32_e64 v81, v29, v80, s[0:1]
	v_cndmask_b32_e64 v80, v82, v31, s[0:1]
	global_load_dword v29, v[80:81], off
	v_add_co_u32_e32 v31, vcc, 0, v18
	v_addc_co_u32_e32 v81, vcc, v3, v7, vcc
	v_add_co_u32_e32 v80, vcc, 0, v31
	v_addc_co_u32_e32 v81, vcc, 32, v81, vcc
	v_ashrrev_i64 v[82:83], 29, v[80:81]
	v_mov_b32_e32 v31, s5
	v_add_co_u32_e32 v82, vcc, s4, v82
	v_addc_co_u32_e32 v83, vcc, v31, v83, vcc
	v_ashrrev_i64 v[80:81], 30, v[80:81]
	v_mov_b32_e32 v31, s41
	v_add_co_u32_e32 v80, vcc, s40, v80
	v_addc_co_u32_e32 v81, vcc, v31, v81, vcc
	global_store_dwordx2 v[82:83], v[64:65], off
	s_waitcnt vmcnt(1)
	global_store_dword v[80:81], v29, off
	s_or_b64 exec, exec, s[90:91]
	s_and_saveexec_b64 s[90:91], s[80:81]
	s_cbranch_execz .LBB38_101
.LBB38_135:                             ;   in Loop: Header=BB38_21 Depth=1
	v_mov_b32_e32 v29, s43
	v_add_co_u32_e32 v31, vcc, s42, v34
	v_addc_co_u32_e32 v80, vcc, v29, v35, vcc
	v_add_co_u32_e32 v31, vcc, s95, v31
	v_addc_co_u32_e32 v80, vcc, 0, v80, vcc
	v_add_co_u32_e32 v81, vcc, s42, v52
	v_addc_co_u32_e32 v29, vcc, v29, v53, vcc
	v_add_co_u32_e32 v82, vcc, 0x300, v81
	v_addc_co_u32_e32 v29, vcc, 0, v29, vcc
	v_cndmask_b32_e64 v81, v29, v80, s[0:1]
	v_cndmask_b32_e64 v80, v82, v31, s[0:1]
	global_load_dword v29, v[80:81], off
	v_add_co_u32_e32 v31, vcc, 0, v18
	v_addc_co_u32_e32 v81, vcc, v3, v7, vcc
	v_add_co_u32_e32 v80, vcc, 0, v31
	v_addc_co_u32_e32 v81, vcc, 64, v81, vcc
	v_ashrrev_i64 v[82:83], 29, v[80:81]
	v_mov_b32_e32 v31, s5
	v_add_co_u32_e32 v82, vcc, s4, v82
	v_addc_co_u32_e32 v83, vcc, v31, v83, vcc
	v_ashrrev_i64 v[80:81], 30, v[80:81]
	v_mov_b32_e32 v31, s41
	v_add_co_u32_e32 v80, vcc, s40, v80
	v_addc_co_u32_e32 v81, vcc, v31, v81, vcc
	global_store_dwordx2 v[82:83], v[66:67], off
	s_waitcnt vmcnt(1)
	global_store_dword v[80:81], v29, off
	s_or_b64 exec, exec, s[90:91]
	s_and_saveexec_b64 s[90:91], s[82:83]
	s_cbranch_execz .LBB38_102
.LBB38_136:                             ;   in Loop: Header=BB38_21 Depth=1
	v_mov_b32_e32 v29, s43
	v_add_co_u32_e32 v31, vcc, s42, v34
	v_addc_co_u32_e32 v80, vcc, v29, v35, vcc
	v_add_co_u32_e32 v31, vcc, s94, v31
	v_addc_co_u32_e32 v80, vcc, 0, v80, vcc
	;; [unrolled: 2-line block ×4, first 2 shown]
	v_cndmask_b32_e64 v81, v29, v80, s[0:1]
	v_cndmask_b32_e64 v80, v82, v31, s[0:1]
	global_load_dword v29, v[80:81], off
	v_add_co_u32_e32 v31, vcc, 0, v18
	v_addc_co_u32_e32 v81, vcc, v3, v7, vcc
	v_add_co_u32_e32 v80, vcc, 0, v31
	v_addc_co_u32_e32 v81, vcc, v81, v1, vcc
	v_ashrrev_i64 v[82:83], 29, v[80:81]
	v_mov_b32_e32 v31, s5
	v_add_co_u32_e32 v82, vcc, s4, v82
	v_addc_co_u32_e32 v83, vcc, v31, v83, vcc
	v_ashrrev_i64 v[80:81], 30, v[80:81]
	v_mov_b32_e32 v31, s41
	v_add_co_u32_e32 v80, vcc, s40, v80
	v_addc_co_u32_e32 v81, vcc, v31, v81, vcc
	global_store_dwordx2 v[82:83], v[70:71], off
	s_waitcnt vmcnt(1)
	global_store_dword v[80:81], v29, off
	s_or_b64 exec, exec, s[90:91]
	s_and_saveexec_b64 s[90:91], s[84:85]
	s_cbranch_execz .LBB38_103
.LBB38_137:                             ;   in Loop: Header=BB38_21 Depth=1
	v_mov_b32_e32 v29, s43
	v_add_co_u32_e32 v31, vcc, s42, v34
	v_addc_co_u32_e32 v80, vcc, v29, v35, vcc
	v_add_co_u32_e32 v31, vcc, s93, v31
	v_addc_co_u32_e32 v80, vcc, 0, v80, vcc
	;; [unrolled: 2-line block ×4, first 2 shown]
	v_cndmask_b32_e64 v81, v29, v80, s[0:1]
	v_cndmask_b32_e64 v80, v82, v31, s[0:1]
	global_load_dword v29, v[80:81], off
	v_add_co_u32_e32 v31, vcc, 0, v18
	v_addc_co_u32_e32 v81, vcc, v3, v7, vcc
	v_add_co_u32_e32 v80, vcc, 0, v31
	v_addc_co_u32_e32 v81, vcc, v81, v21, vcc
	v_ashrrev_i64 v[82:83], 29, v[80:81]
	v_mov_b32_e32 v31, s5
	v_add_co_u32_e32 v82, vcc, s4, v82
	v_addc_co_u32_e32 v83, vcc, v31, v83, vcc
	v_ashrrev_i64 v[80:81], 30, v[80:81]
	v_mov_b32_e32 v31, s41
	v_add_co_u32_e32 v80, vcc, s40, v80
	v_addc_co_u32_e32 v81, vcc, v31, v81, vcc
	global_store_dwordx2 v[82:83], v[72:73], off
	s_waitcnt vmcnt(1)
	global_store_dword v[80:81], v29, off
	s_or_b64 exec, exec, s[90:91]
	s_and_saveexec_b64 s[90:91], s[86:87]
	s_cbranch_execz .LBB38_104
.LBB38_138:                             ;   in Loop: Header=BB38_21 Depth=1
	v_mov_b32_e32 v29, s43
	v_add_co_u32_e32 v31, vcc, s42, v34
	v_addc_co_u32_e32 v80, vcc, v29, v35, vcc
	v_add_co_u32_e32 v31, vcc, s92, v31
	v_addc_co_u32_e32 v80, vcc, 0, v80, vcc
	;; [unrolled: 2-line block ×4, first 2 shown]
	v_cndmask_b32_e64 v81, v29, v80, s[0:1]
	v_cndmask_b32_e64 v80, v82, v31, s[0:1]
	global_load_dword v29, v[80:81], off
	v_add_co_u32_e32 v31, vcc, 0, v18
	v_addc_co_u32_e32 v81, vcc, v3, v7, vcc
	v_add_co_u32_e32 v80, vcc, 0, v31
	v_addc_co_u32_e32 v81, vcc, v81, v23, vcc
	v_ashrrev_i64 v[82:83], 29, v[80:81]
	v_mov_b32_e32 v31, s5
	v_add_co_u32_e32 v82, vcc, s4, v82
	v_addc_co_u32_e32 v83, vcc, v31, v83, vcc
	v_ashrrev_i64 v[80:81], 30, v[80:81]
	v_mov_b32_e32 v31, s41
	v_add_co_u32_e32 v80, vcc, s40, v80
	v_addc_co_u32_e32 v81, vcc, v31, v81, vcc
	global_store_dwordx2 v[82:83], v[74:75], off
	s_waitcnt vmcnt(1)
	global_store_dword v[80:81], v29, off
	s_or_b64 exec, exec, s[90:91]
	s_and_saveexec_b64 s[90:91], s[6:7]
	s_cbranch_execz .LBB38_105
.LBB38_139:                             ;   in Loop: Header=BB38_21 Depth=1
	v_cndmask_b32_e64 v31, v60, v34, s[0:1]
	v_cndmask_b32_e64 v29, v61, v35, s[0:1]
	v_mov_b32_e32 v81, s43
	v_add_co_u32_e32 v80, vcc, s42, v31
	v_addc_co_u32_e32 v81, vcc, v81, v29, vcc
	global_load_dword v29, v[80:81], off offset:768
	v_add_co_u32_e32 v31, vcc, 0, v18
	v_addc_co_u32_e32 v81, vcc, v3, v7, vcc
	v_add_co_u32_e32 v80, vcc, 0, v31
	v_addc_co_u32_e32 v81, vcc, v81, v25, vcc
	v_ashrrev_i64 v[82:83], 29, v[80:81]
	v_mov_b32_e32 v31, s5
	v_add_co_u32_e32 v82, vcc, s4, v82
	v_addc_co_u32_e32 v83, vcc, v31, v83, vcc
	v_ashrrev_i64 v[80:81], 30, v[80:81]
	v_mov_b32_e32 v31, s41
	v_add_co_u32_e32 v80, vcc, s40, v80
	v_addc_co_u32_e32 v81, vcc, v31, v81, vcc
	global_store_dwordx2 v[82:83], v[76:77], off
	s_waitcnt vmcnt(1)
	global_store_dword v[80:81], v29, off
	s_or_b64 exec, exec, s[90:91]
	s_and_saveexec_b64 s[90:91], s[14:15]
	s_cbranch_execz .LBB38_106
.LBB38_140:                             ;   in Loop: Header=BB38_21 Depth=1
	v_mov_b32_e32 v29, s43
	v_add_co_u32_e32 v31, vcc, s42, v34
	v_addc_co_u32_e32 v80, vcc, v29, v35, vcc
	v_add_co_u32_e32 v31, vcc, s39, v31
	v_addc_co_u32_e32 v80, vcc, 0, v80, vcc
	;; [unrolled: 2-line block ×4, first 2 shown]
	v_cndmask_b32_e64 v81, v29, v80, s[0:1]
	v_cndmask_b32_e64 v80, v82, v31, s[0:1]
	global_load_dword v29, v[80:81], off
	v_add_co_u32_e32 v31, vcc, 0, v18
	v_addc_co_u32_e32 v81, vcc, v3, v7, vcc
	v_add_co_u32_e32 v80, vcc, 0, v31
	v_addc_co_u32_e32 v81, vcc, v81, v27, vcc
	v_ashrrev_i64 v[82:83], 29, v[80:81]
	v_mov_b32_e32 v31, s5
	v_add_co_u32_e32 v82, vcc, s4, v82
	v_addc_co_u32_e32 v83, vcc, v31, v83, vcc
	v_ashrrev_i64 v[80:81], 30, v[80:81]
	v_mov_b32_e32 v31, s41
	v_add_co_u32_e32 v80, vcc, s40, v80
	v_addc_co_u32_e32 v81, vcc, v31, v81, vcc
	global_store_dwordx2 v[82:83], v[78:79], off
	s_waitcnt vmcnt(1)
	global_store_dword v[80:81], v29, off
	s_or_b64 exec, exec, s[90:91]
	s_and_saveexec_b64 s[90:91], s[18:19]
	s_cbranch_execz .LBB38_107
.LBB38_141:                             ;   in Loop: Header=BB38_21 Depth=1
	v_mov_b32_e32 v29, s43
	v_add_co_u32_e32 v31, vcc, s42, v32
	v_addc_co_u32_e32 v80, vcc, v29, v33, vcc
	v_add_co_u32_e32 v81, vcc, s42, v48
	v_addc_co_u32_e32 v29, vcc, v29, v49, vcc
	;; [unrolled: 2-line block ×3, first 2 shown]
	v_cndmask_b32_e64 v81, v29, v80, s[0:1]
	v_cndmask_b32_e64 v80, v82, v31, s[0:1]
	global_load_dword v29, v[80:81], off
	v_add_co_u32_e32 v80, vcc, 0, v16
	v_addc_co_u32_e32 v81, vcc, v3, v5, vcc
	v_ashrrev_i64 v[82:83], 29, v[80:81]
	v_mov_b32_e32 v31, s5
	v_add_co_u32_e32 v82, vcc, s4, v82
	v_addc_co_u32_e32 v83, vcc, v31, v83, vcc
	global_store_dwordx2 v[82:83], v[68:69], off
	v_ashrrev_i64 v[68:69], 30, v[80:81]
	v_mov_b32_e32 v31, s41
	v_add_co_u32_e32 v68, vcc, s40, v68
	v_addc_co_u32_e32 v69, vcc, v31, v69, vcc
	s_waitcnt vmcnt(1)
	global_store_dword v[68:69], v29, off
	s_or_b64 exec, exec, s[90:91]
	s_and_saveexec_b64 s[90:91], s[20:21]
	s_cbranch_execz .LBB38_108
.LBB38_142:                             ;   in Loop: Header=BB38_21 Depth=1
	v_mov_b32_e32 v29, s43
	v_add_co_u32_e32 v31, vcc, s42, v32
	v_addc_co_u32_e32 v68, vcc, v29, v33, vcc
	v_add_co_u32_e32 v31, vcc, s44, v31
	v_addc_co_u32_e32 v68, vcc, 0, v68, vcc
	;; [unrolled: 2-line block ×4, first 2 shown]
	v_cndmask_b32_e64 v69, v29, v68, s[0:1]
	v_cndmask_b32_e64 v68, v80, v31, s[0:1]
	global_load_dword v29, v[68:69], off
	v_add_co_u32_e32 v31, vcc, 0, v16
	v_addc_co_u32_e32 v69, vcc, v3, v5, vcc
	v_add_co_u32_e32 v68, vcc, 0, v31
	v_addc_co_u32_e32 v69, vcc, 32, v69, vcc
	v_ashrrev_i64 v[80:81], 29, v[68:69]
	v_mov_b32_e32 v31, s5
	v_add_co_u32_e32 v80, vcc, s4, v80
	v_addc_co_u32_e32 v81, vcc, v31, v81, vcc
	global_store_dwordx2 v[80:81], v[64:65], off
	v_ashrrev_i64 v[64:65], 30, v[68:69]
	v_mov_b32_e32 v31, s41
	v_add_co_u32_e32 v64, vcc, s40, v64
	v_addc_co_u32_e32 v65, vcc, v31, v65, vcc
	s_waitcnt vmcnt(1)
	global_store_dword v[64:65], v29, off
	s_or_b64 exec, exec, s[90:91]
	s_and_saveexec_b64 s[90:91], s[22:23]
	s_cbranch_execz .LBB38_109
.LBB38_143:                             ;   in Loop: Header=BB38_21 Depth=1
	v_mov_b32_e32 v29, s43
	v_add_co_u32_e32 v31, vcc, s42, v32
	v_addc_co_u32_e32 v64, vcc, v29, v33, vcc
	v_add_co_u32_e32 v31, vcc, s95, v31
	v_addc_co_u32_e32 v64, vcc, 0, v64, vcc
	;; [unrolled: 2-line block ×4, first 2 shown]
	v_cndmask_b32_e64 v65, v29, v64, s[0:1]
	v_cndmask_b32_e64 v64, v68, v31, s[0:1]
	global_load_dword v29, v[64:65], off
	v_add_co_u32_e32 v31, vcc, 0, v16
	v_addc_co_u32_e32 v65, vcc, v3, v5, vcc
	v_add_co_u32_e32 v64, vcc, 0, v31
	v_addc_co_u32_e32 v65, vcc, 64, v65, vcc
	v_ashrrev_i64 v[68:69], 29, v[64:65]
	v_mov_b32_e32 v31, s5
	v_add_co_u32_e32 v68, vcc, s4, v68
	v_addc_co_u32_e32 v69, vcc, v31, v69, vcc
	v_ashrrev_i64 v[64:65], 30, v[64:65]
	v_mov_b32_e32 v31, s41
	v_add_co_u32_e32 v64, vcc, s40, v64
	v_addc_co_u32_e32 v65, vcc, v31, v65, vcc
	global_store_dwordx2 v[68:69], v[66:67], off
	s_waitcnt vmcnt(1)
	global_store_dword v[64:65], v29, off
	s_or_b64 exec, exec, s[90:91]
	s_and_saveexec_b64 s[90:91], s[24:25]
	s_cbranch_execz .LBB38_110
.LBB38_144:                             ;   in Loop: Header=BB38_21 Depth=1
	v_mov_b32_e32 v29, s43
	v_add_co_u32_e32 v31, vcc, s42, v32
	v_addc_co_u32_e32 v64, vcc, v29, v33, vcc
	v_add_co_u32_e32 v31, vcc, s94, v31
	v_addc_co_u32_e32 v64, vcc, 0, v64, vcc
	;; [unrolled: 2-line block ×4, first 2 shown]
	v_cndmask_b32_e64 v65, v29, v64, s[0:1]
	v_cndmask_b32_e64 v64, v66, v31, s[0:1]
	global_load_dword v29, v[64:65], off
	v_add_co_u32_e32 v31, vcc, 0, v16
	v_addc_co_u32_e32 v65, vcc, v3, v5, vcc
	v_add_co_u32_e32 v64, vcc, 0, v31
	v_addc_co_u32_e32 v65, vcc, v65, v1, vcc
	v_ashrrev_i64 v[66:67], 29, v[64:65]
	v_mov_b32_e32 v31, s5
	v_add_co_u32_e32 v66, vcc, s4, v66
	v_addc_co_u32_e32 v67, vcc, v31, v67, vcc
	v_ashrrev_i64 v[64:65], 30, v[64:65]
	v_mov_b32_e32 v31, s41
	v_add_co_u32_e32 v64, vcc, s40, v64
	v_addc_co_u32_e32 v65, vcc, v31, v65, vcc
	global_store_dwordx2 v[66:67], v[70:71], off
	s_waitcnt vmcnt(1)
	global_store_dword v[64:65], v29, off
	s_or_b64 exec, exec, s[90:91]
	s_and_saveexec_b64 s[90:91], s[26:27]
	s_cbranch_execz .LBB38_111
.LBB38_145:                             ;   in Loop: Header=BB38_21 Depth=1
	v_mov_b32_e32 v29, s43
	v_add_co_u32_e32 v31, vcc, s42, v32
	v_addc_co_u32_e32 v64, vcc, v29, v33, vcc
	v_add_co_u32_e32 v31, vcc, s93, v31
	v_addc_co_u32_e32 v64, vcc, 0, v64, vcc
	;; [unrolled: 2-line block ×4, first 2 shown]
	v_cndmask_b32_e64 v65, v29, v64, s[0:1]
	v_cndmask_b32_e64 v64, v66, v31, s[0:1]
	global_load_dword v29, v[64:65], off
	v_add_co_u32_e32 v31, vcc, 0, v16
	v_addc_co_u32_e32 v65, vcc, v3, v5, vcc
	v_add_co_u32_e32 v64, vcc, 0, v31
	v_addc_co_u32_e32 v65, vcc, v65, v21, vcc
	v_ashrrev_i64 v[66:67], 29, v[64:65]
	v_mov_b32_e32 v31, s5
	v_add_co_u32_e32 v66, vcc, s4, v66
	v_addc_co_u32_e32 v67, vcc, v31, v67, vcc
	v_ashrrev_i64 v[64:65], 30, v[64:65]
	v_mov_b32_e32 v31, s41
	v_add_co_u32_e32 v64, vcc, s40, v64
	v_addc_co_u32_e32 v65, vcc, v31, v65, vcc
	global_store_dwordx2 v[66:67], v[72:73], off
	s_waitcnt vmcnt(1)
	global_store_dword v[64:65], v29, off
	s_or_b64 exec, exec, s[90:91]
	s_and_saveexec_b64 s[90:91], s[28:29]
	s_cbranch_execz .LBB38_112
.LBB38_146:                             ;   in Loop: Header=BB38_21 Depth=1
	v_mov_b32_e32 v29, s43
	v_add_co_u32_e32 v31, vcc, s42, v32
	v_addc_co_u32_e32 v64, vcc, v29, v33, vcc
	v_add_co_u32_e32 v31, vcc, s92, v31
	v_addc_co_u32_e32 v64, vcc, 0, v64, vcc
	;; [unrolled: 2-line block ×4, first 2 shown]
	v_cndmask_b32_e64 v65, v29, v64, s[0:1]
	v_cndmask_b32_e64 v64, v66, v31, s[0:1]
	global_load_dword v29, v[64:65], off
	v_add_co_u32_e32 v31, vcc, 0, v16
	v_addc_co_u32_e32 v65, vcc, v3, v5, vcc
	v_add_co_u32_e32 v64, vcc, 0, v31
	v_addc_co_u32_e32 v65, vcc, v65, v23, vcc
	v_ashrrev_i64 v[66:67], 29, v[64:65]
	v_mov_b32_e32 v31, s5
	v_add_co_u32_e32 v66, vcc, s4, v66
	v_addc_co_u32_e32 v67, vcc, v31, v67, vcc
	v_ashrrev_i64 v[64:65], 30, v[64:65]
	v_mov_b32_e32 v31, s41
	v_add_co_u32_e32 v64, vcc, s40, v64
	v_addc_co_u32_e32 v65, vcc, v31, v65, vcc
	global_store_dwordx2 v[66:67], v[74:75], off
	s_waitcnt vmcnt(1)
	global_store_dword v[64:65], v29, off
	s_or_b64 exec, exec, s[90:91]
	s_and_saveexec_b64 s[90:91], s[30:31]
	s_cbranch_execz .LBB38_113
.LBB38_147:                             ;   in Loop: Header=BB38_21 Depth=1
	v_mov_b32_e32 v29, s43
	v_add_co_u32_e32 v31, vcc, s42, v32
	v_addc_co_u32_e32 v64, vcc, v29, v33, vcc
	v_add_co_u32_e32 v31, vcc, s33, v31
	v_addc_co_u32_e32 v64, vcc, 0, v64, vcc
	v_add_co_u32_e32 v65, vcc, s42, v60
	v_addc_co_u32_e32 v29, vcc, v29, v61, vcc
	v_add_co_u32_e32 v66, vcc, 0x380, v65
	v_addc_co_u32_e32 v29, vcc, 0, v29, vcc
	v_cndmask_b32_e64 v65, v29, v64, s[0:1]
	v_cndmask_b32_e64 v64, v66, v31, s[0:1]
	global_load_dword v29, v[64:65], off
	v_add_co_u32_e32 v31, vcc, 0, v16
	v_addc_co_u32_e32 v65, vcc, v3, v5, vcc
	v_add_co_u32_e32 v64, vcc, 0, v31
	v_addc_co_u32_e32 v65, vcc, v65, v25, vcc
	v_ashrrev_i64 v[66:67], 29, v[64:65]
	v_mov_b32_e32 v31, s5
	v_add_co_u32_e32 v66, vcc, s4, v66
	v_addc_co_u32_e32 v67, vcc, v31, v67, vcc
	v_ashrrev_i64 v[64:65], 30, v[64:65]
	v_mov_b32_e32 v31, s41
	v_add_co_u32_e32 v64, vcc, s40, v64
	v_addc_co_u32_e32 v65, vcc, v31, v65, vcc
	global_store_dwordx2 v[66:67], v[76:77], off
	s_waitcnt vmcnt(1)
	global_store_dword v[64:65], v29, off
	s_or_b64 exec, exec, s[90:91]
	s_and_saveexec_b64 s[90:91], s[16:17]
	s_cbranch_execz .LBB38_20
.LBB38_148:                             ;   in Loop: Header=BB38_21 Depth=1
	v_cndmask_b32_e64 v31, v62, v32, s[0:1]
	v_cndmask_b32_e64 v29, v63, v33, s[0:1]
	v_mov_b32_e32 v65, s43
	v_add_co_u32_e32 v64, vcc, s42, v31
	v_addc_co_u32_e32 v65, vcc, v65, v29, vcc
	global_load_dword v29, v[64:65], off offset:896
	v_add_co_u32_e32 v31, vcc, 0, v16
	v_addc_co_u32_e32 v65, vcc, v3, v5, vcc
	v_add_co_u32_e32 v64, vcc, 0, v31
	v_addc_co_u32_e32 v65, vcc, v65, v27, vcc
	v_ashrrev_i64 v[66:67], 29, v[64:65]
	v_mov_b32_e32 v31, s5
	v_add_co_u32_e32 v66, vcc, s4, v66
	v_addc_co_u32_e32 v67, vcc, v31, v67, vcc
	v_ashrrev_i64 v[64:65], 30, v[64:65]
	v_mov_b32_e32 v31, s41
	v_add_co_u32_e32 v64, vcc, s40, v64
	v_addc_co_u32_e32 v65, vcc, v31, v65, vcc
	global_store_dwordx2 v[66:67], v[78:79], off
	s_waitcnt vmcnt(1)
	global_store_dword v[64:65], v29, off
	s_branch .LBB38_20
.LBB38_149:
	s_endpgm
	.section	.rodata,"a",@progbits
	.p2align	6, 0x0
	.amdhsa_kernel _ZN9rocsparseL35bsr2csr_block_per_row_33_256_kernelILj1024ELj256ELj32EiilEEv20rocsparse_direction_T4_S2_21rocsparse_index_base_PKT2_PKT3_PKS2_S2_S3_PS4_PS7_PS2_
		.amdhsa_group_segment_fixed_size 0
		.amdhsa_private_segment_fixed_size 0
		.amdhsa_kernarg_size 96
		.amdhsa_user_sgpr_count 6
		.amdhsa_user_sgpr_private_segment_buffer 1
		.amdhsa_user_sgpr_dispatch_ptr 0
		.amdhsa_user_sgpr_queue_ptr 0
		.amdhsa_user_sgpr_kernarg_segment_ptr 1
		.amdhsa_user_sgpr_dispatch_id 0
		.amdhsa_user_sgpr_flat_scratch_init 0
		.amdhsa_user_sgpr_kernarg_preload_length 0
		.amdhsa_user_sgpr_kernarg_preload_offset 0
		.amdhsa_user_sgpr_private_segment_size 0
		.amdhsa_uses_dynamic_stack 0
		.amdhsa_system_sgpr_private_segment_wavefront_offset 0
		.amdhsa_system_sgpr_workgroup_id_x 1
		.amdhsa_system_sgpr_workgroup_id_y 0
		.amdhsa_system_sgpr_workgroup_id_z 0
		.amdhsa_system_sgpr_workgroup_info 0
		.amdhsa_system_vgpr_workitem_id 0
		.amdhsa_next_free_vgpr 85
		.amdhsa_next_free_sgpr 96
		.amdhsa_accum_offset 88
		.amdhsa_reserve_vcc 1
		.amdhsa_reserve_flat_scratch 0
		.amdhsa_float_round_mode_32 0
		.amdhsa_float_round_mode_16_64 0
		.amdhsa_float_denorm_mode_32 3
		.amdhsa_float_denorm_mode_16_64 3
		.amdhsa_dx10_clamp 1
		.amdhsa_ieee_mode 1
		.amdhsa_fp16_overflow 0
		.amdhsa_tg_split 0
		.amdhsa_exception_fp_ieee_invalid_op 0
		.amdhsa_exception_fp_denorm_src 0
		.amdhsa_exception_fp_ieee_div_zero 0
		.amdhsa_exception_fp_ieee_overflow 0
		.amdhsa_exception_fp_ieee_underflow 0
		.amdhsa_exception_fp_ieee_inexact 0
		.amdhsa_exception_int_div_zero 0
	.end_amdhsa_kernel
	.section	.text._ZN9rocsparseL35bsr2csr_block_per_row_33_256_kernelILj1024ELj256ELj32EiilEEv20rocsparse_direction_T4_S2_21rocsparse_index_base_PKT2_PKT3_PKS2_S2_S3_PS4_PS7_PS2_,"axG",@progbits,_ZN9rocsparseL35bsr2csr_block_per_row_33_256_kernelILj1024ELj256ELj32EiilEEv20rocsparse_direction_T4_S2_21rocsparse_index_base_PKT2_PKT3_PKS2_S2_S3_PS4_PS7_PS2_,comdat
.Lfunc_end38:
	.size	_ZN9rocsparseL35bsr2csr_block_per_row_33_256_kernelILj1024ELj256ELj32EiilEEv20rocsparse_direction_T4_S2_21rocsparse_index_base_PKT2_PKT3_PKS2_S2_S3_PS4_PS7_PS2_, .Lfunc_end38-_ZN9rocsparseL35bsr2csr_block_per_row_33_256_kernelILj1024ELj256ELj32EiilEEv20rocsparse_direction_T4_S2_21rocsparse_index_base_PKT2_PKT3_PKS2_S2_S3_PS4_PS7_PS2_
                                        ; -- End function
	.section	.AMDGPU.csdata,"",@progbits
; Kernel info:
; codeLenInByte = 13320
; NumSgprs: 100
; NumVgprs: 85
; NumAgprs: 0
; TotalNumVgprs: 85
; ScratchSize: 0
; MemoryBound: 0
; FloatMode: 240
; IeeeMode: 1
; LDSByteSize: 0 bytes/workgroup (compile time only)
; SGPRBlocks: 12
; VGPRBlocks: 10
; NumSGPRsForWavesPerEU: 100
; NumVGPRsForWavesPerEU: 85
; AccumOffset: 88
; Occupancy: 5
; WaveLimiterHint : 1
; COMPUTE_PGM_RSRC2:SCRATCH_EN: 0
; COMPUTE_PGM_RSRC2:USER_SGPR: 6
; COMPUTE_PGM_RSRC2:TRAP_HANDLER: 0
; COMPUTE_PGM_RSRC2:TGID_X_EN: 1
; COMPUTE_PGM_RSRC2:TGID_Y_EN: 0
; COMPUTE_PGM_RSRC2:TGID_Z_EN: 0
; COMPUTE_PGM_RSRC2:TIDIG_COMP_CNT: 0
; COMPUTE_PGM_RSRC3_GFX90A:ACCUM_OFFSET: 21
; COMPUTE_PGM_RSRC3_GFX90A:TG_SPLIT: 0
	.section	.text._ZN9rocsparseL35bsr2csr_block_dim_equals_one_kernelILj1024EillEEvT2_S1_21rocsparse_index_base_PKT0_PKT1_PKS1_S2_PS3_PS6_PS1_,"axG",@progbits,_ZN9rocsparseL35bsr2csr_block_dim_equals_one_kernelILj1024EillEEvT2_S1_21rocsparse_index_base_PKT0_PKT1_PKS1_S2_PS3_PS6_PS1_,comdat
	.globl	_ZN9rocsparseL35bsr2csr_block_dim_equals_one_kernelILj1024EillEEvT2_S1_21rocsparse_index_base_PKT0_PKT1_PKS1_S2_PS3_PS6_PS1_ ; -- Begin function _ZN9rocsparseL35bsr2csr_block_dim_equals_one_kernelILj1024EillEEvT2_S1_21rocsparse_index_base_PKT0_PKT1_PKS1_S2_PS3_PS6_PS1_
	.p2align	8
	.type	_ZN9rocsparseL35bsr2csr_block_dim_equals_one_kernelILj1024EillEEvT2_S1_21rocsparse_index_base_PKT0_PKT1_PKS1_S2_PS3_PS6_PS1_,@function
_ZN9rocsparseL35bsr2csr_block_dim_equals_one_kernelILj1024EillEEvT2_S1_21rocsparse_index_base_PKT0_PKT1_PKS1_S2_PS3_PS6_PS1_: ; @_ZN9rocsparseL35bsr2csr_block_dim_equals_one_kernelILj1024EillEEvT2_S1_21rocsparse_index_base_PKT0_PKT1_PKS1_S2_PS3_PS6_PS1_
; %bb.0:
	v_lshl_or_b32 v0, s6, 10, v0
	v_mov_b32_e32 v1, 0
	s_load_dwordx2 s[14:15], s[4:5], 0x0
	s_load_dword s22, s[4:5], 0x10
	s_load_dwordx4 s[0:3], s[4:5], 0x18
	s_load_dwordx2 s[8:9], s[4:5], 0x28
	s_load_dword s23, s[4:5], 0x30
	s_load_dwordx2 s[10:11], s[4:5], 0x48
	s_load_dwordx2 s[12:13], s[4:5], 0x38
	s_waitcnt lgkmcnt(0)
	v_cmp_gt_i64_e32 vcc, s[14:15], v[0:1]
	s_and_saveexec_b64 s[6:7], vcc
	s_cbranch_execz .LBB39_6
; %bb.1:
	s_load_dwordx2 s[16:17], s[4:5], 0x40
	v_cmp_ne_u32_e32 vcc, 0, v0
                                        ; implicit-def: $sgpr20_sgpr21
	s_and_saveexec_b64 s[18:19], vcc
	s_xor_b64 s[18:19], exec, s[18:19]
; %bb.2:
	s_sub_u32 s20, s23, s22
	s_subb_u32 s21, 0, 0
; %bb.3:
	s_or_saveexec_b64 s[18:19], s[18:19]
	v_pk_mov_b32 v[2:3], s[20:21], s[20:21] op_sel:[0,1]
	s_xor_b64 exec, exec, s[18:19]
	s_cbranch_execz .LBB39_5
; %bb.4:
	s_load_dwordx2 s[20:21], s[2:3], 0x0
	s_sub_u32 s24, s23, s22
	s_subb_u32 s25, 0, 0
	v_mov_b32_e32 v4, 0
	s_waitcnt lgkmcnt(0)
	s_add_u32 s20, s24, s20
	s_addc_u32 s21, s25, s21
	v_pk_mov_b32 v[2:3], s[20:21], s[20:21] op_sel:[0,1]
	global_store_dwordx2 v4, v[2:3], s[16:17]
	v_pk_mov_b32 v[2:3], s[24:25], s[24:25] op_sel:[0,1]
.LBB39_5:
	s_or_b64 exec, exec, s[18:19]
	v_lshlrev_b64 v[4:5], 3, v[0:1]
	v_mov_b32_e32 v7, s3
	v_add_co_u32_e32 v6, vcc, s2, v4
	v_addc_co_u32_e32 v7, vcc, v7, v5, vcc
	global_load_dwordx2 v[6:7], v[6:7], off offset:8
	s_waitcnt lgkmcnt(0)
	v_mov_b32_e32 v8, s17
	s_waitcnt vmcnt(0)
	v_add_co_u32_e32 v2, vcc, v2, v6
	v_addc_co_u32_e32 v3, vcc, v3, v7, vcc
	v_add_co_u32_e32 v4, vcc, s16, v4
	v_addc_co_u32_e32 v5, vcc, v8, v5, vcc
	global_store_dwordx2 v[4:5], v[2:3], off offset:8
.LBB39_6:
	s_or_b64 exec, exec, s[6:7]
	s_lshl_b64 s[6:7], s[14:15], 3
	s_add_u32 s6, s2, s6
	s_addc_u32 s7, s3, s7
	s_load_dwordx2 s[14:15], s[6:7], 0x0
	s_load_dwordx2 s[16:17], s[2:3], 0x0
	s_waitcnt lgkmcnt(0)
	s_sub_u32 s2, s14, s16
	s_subb_u32 s3, s15, s17
	v_cmp_gt_i64_e32 vcc, s[2:3], v[0:1]
	s_and_saveexec_b64 s[6:7], vcc
	s_cbranch_execz .LBB39_9
; %bb.7:
	s_load_dword s4, s[4:5], 0x50
	s_sub_u32 s18, s23, s22
	s_mov_b32 s5, 0
	s_subb_u32 s19, 0, 0
	v_lshlrev_b64 v[2:3], 2, v[0:1]
	s_waitcnt lgkmcnt(0)
	s_lshl_b32 s4, s4, 10
	s_lshl_b64 s[6:7], s[4:5], 2
	s_lshl_b64 s[14:15], s[4:5], 3
	v_lshlrev_b64 v[4:5], 3, v[0:1]
	s_mov_b64 s[16:17], 0
	v_mov_b32_e32 v6, s9
	v_mov_b32_e32 v7, s19
	;; [unrolled: 1-line block ×8, first 2 shown]
.LBB39_8:                               ; =>This Inner Loop Header: Depth=1
	v_add_co_u32_e32 v14, vcc, s8, v4
	v_addc_co_u32_e32 v15, vcc, v6, v5, vcc
	v_add_co_u32_e32 v16, vcc, s0, v2
	v_addc_co_u32_e32 v17, vcc, v9, v3, vcc
	global_load_dwordx2 v[18:19], v[14:15], off
	global_load_dword v20, v[16:17], off
	v_add_co_u32_e32 v14, vcc, s10, v4
	v_addc_co_u32_e32 v15, vcc, v8, v5, vcc
	v_add_co_u32_e32 v16, vcc, s12, v2
	v_addc_co_u32_e32 v17, vcc, v10, v3, vcc
	;; [unrolled: 2-line block ×5, first 2 shown]
	v_cmp_le_i64_e32 vcc, s[2:3], v[0:1]
	s_or_b64 s[16:17], vcc, s[16:17]
	s_waitcnt vmcnt(1)
	v_add_co_u32_e32 v18, vcc, s18, v18
	v_addc_co_u32_e32 v19, vcc, v7, v19, vcc
	s_waitcnt vmcnt(0)
	global_store_dword v[16:17], v20, off
	global_store_dwordx2 v[14:15], v[18:19], off
	s_andn2_b64 exec, exec, s[16:17]
	s_cbranch_execnz .LBB39_8
.LBB39_9:
	s_endpgm
	.section	.rodata,"a",@progbits
	.p2align	6, 0x0
	.amdhsa_kernel _ZN9rocsparseL35bsr2csr_block_dim_equals_one_kernelILj1024EillEEvT2_S1_21rocsparse_index_base_PKT0_PKT1_PKS1_S2_PS3_PS6_PS1_
		.amdhsa_group_segment_fixed_size 0
		.amdhsa_private_segment_fixed_size 0
		.amdhsa_kernarg_size 336
		.amdhsa_user_sgpr_count 6
		.amdhsa_user_sgpr_private_segment_buffer 1
		.amdhsa_user_sgpr_dispatch_ptr 0
		.amdhsa_user_sgpr_queue_ptr 0
		.amdhsa_user_sgpr_kernarg_segment_ptr 1
		.amdhsa_user_sgpr_dispatch_id 0
		.amdhsa_user_sgpr_flat_scratch_init 0
		.amdhsa_user_sgpr_kernarg_preload_length 0
		.amdhsa_user_sgpr_kernarg_preload_offset 0
		.amdhsa_user_sgpr_private_segment_size 0
		.amdhsa_uses_dynamic_stack 0
		.amdhsa_system_sgpr_private_segment_wavefront_offset 0
		.amdhsa_system_sgpr_workgroup_id_x 1
		.amdhsa_system_sgpr_workgroup_id_y 0
		.amdhsa_system_sgpr_workgroup_id_z 0
		.amdhsa_system_sgpr_workgroup_info 0
		.amdhsa_system_vgpr_workitem_id 0
		.amdhsa_next_free_vgpr 21
		.amdhsa_next_free_sgpr 26
		.amdhsa_accum_offset 24
		.amdhsa_reserve_vcc 1
		.amdhsa_reserve_flat_scratch 0
		.amdhsa_float_round_mode_32 0
		.amdhsa_float_round_mode_16_64 0
		.amdhsa_float_denorm_mode_32 3
		.amdhsa_float_denorm_mode_16_64 3
		.amdhsa_dx10_clamp 1
		.amdhsa_ieee_mode 1
		.amdhsa_fp16_overflow 0
		.amdhsa_tg_split 0
		.amdhsa_exception_fp_ieee_invalid_op 0
		.amdhsa_exception_fp_denorm_src 0
		.amdhsa_exception_fp_ieee_div_zero 0
		.amdhsa_exception_fp_ieee_overflow 0
		.amdhsa_exception_fp_ieee_underflow 0
		.amdhsa_exception_fp_ieee_inexact 0
		.amdhsa_exception_int_div_zero 0
	.end_amdhsa_kernel
	.section	.text._ZN9rocsparseL35bsr2csr_block_dim_equals_one_kernelILj1024EillEEvT2_S1_21rocsparse_index_base_PKT0_PKT1_PKS1_S2_PS3_PS6_PS1_,"axG",@progbits,_ZN9rocsparseL35bsr2csr_block_dim_equals_one_kernelILj1024EillEEvT2_S1_21rocsparse_index_base_PKT0_PKT1_PKS1_S2_PS3_PS6_PS1_,comdat
.Lfunc_end39:
	.size	_ZN9rocsparseL35bsr2csr_block_dim_equals_one_kernelILj1024EillEEvT2_S1_21rocsparse_index_base_PKT0_PKT1_PKS1_S2_PS3_PS6_PS1_, .Lfunc_end39-_ZN9rocsparseL35bsr2csr_block_dim_equals_one_kernelILj1024EillEEvT2_S1_21rocsparse_index_base_PKT0_PKT1_PKS1_S2_PS3_PS6_PS1_
                                        ; -- End function
	.section	.AMDGPU.csdata,"",@progbits
; Kernel info:
; codeLenInByte = 524
; NumSgprs: 30
; NumVgprs: 21
; NumAgprs: 0
; TotalNumVgprs: 21
; ScratchSize: 0
; MemoryBound: 0
; FloatMode: 240
; IeeeMode: 1
; LDSByteSize: 0 bytes/workgroup (compile time only)
; SGPRBlocks: 3
; VGPRBlocks: 2
; NumSGPRsForWavesPerEU: 30
; NumVGPRsForWavesPerEU: 21
; AccumOffset: 24
; Occupancy: 8
; WaveLimiterHint : 0
; COMPUTE_PGM_RSRC2:SCRATCH_EN: 0
; COMPUTE_PGM_RSRC2:USER_SGPR: 6
; COMPUTE_PGM_RSRC2:TRAP_HANDLER: 0
; COMPUTE_PGM_RSRC2:TGID_X_EN: 1
; COMPUTE_PGM_RSRC2:TGID_Y_EN: 0
; COMPUTE_PGM_RSRC2:TGID_Z_EN: 0
; COMPUTE_PGM_RSRC2:TIDIG_COMP_CNT: 0
; COMPUTE_PGM_RSRC3_GFX90A:ACCUM_OFFSET: 5
; COMPUTE_PGM_RSRC3_GFX90A:TG_SPLIT: 0
	.section	.text._ZN9rocsparseL32bsr2csr_block_per_row_2_7_kernelILj256ELj2EillEEv20rocsparse_direction_T3_S2_21rocsparse_index_base_PKT1_PKT2_PKS2_S2_S3_PS4_PS7_PS2_,"axG",@progbits,_ZN9rocsparseL32bsr2csr_block_per_row_2_7_kernelILj256ELj2EillEEv20rocsparse_direction_T3_S2_21rocsparse_index_base_PKT1_PKT2_PKS2_S2_S3_PS4_PS7_PS2_,comdat
	.globl	_ZN9rocsparseL32bsr2csr_block_per_row_2_7_kernelILj256ELj2EillEEv20rocsparse_direction_T3_S2_21rocsparse_index_base_PKT1_PKT2_PKS2_S2_S3_PS4_PS7_PS2_ ; -- Begin function _ZN9rocsparseL32bsr2csr_block_per_row_2_7_kernelILj256ELj2EillEEv20rocsparse_direction_T3_S2_21rocsparse_index_base_PKT1_PKT2_PKS2_S2_S3_PS4_PS7_PS2_
	.p2align	8
	.type	_ZN9rocsparseL32bsr2csr_block_per_row_2_7_kernelILj256ELj2EillEEv20rocsparse_direction_T3_S2_21rocsparse_index_base_PKT1_PKT2_PKS2_S2_S3_PS4_PS7_PS2_,@function
_ZN9rocsparseL32bsr2csr_block_per_row_2_7_kernelILj256ELj2EillEEv20rocsparse_direction_T3_S2_21rocsparse_index_base_PKT1_PKT2_PKS2_S2_S3_PS4_PS7_PS2_: ; @_ZN9rocsparseL32bsr2csr_block_per_row_2_7_kernelILj256ELj2EillEEv20rocsparse_direction_T3_S2_21rocsparse_index_base_PKT1_PKT2_PKS2_S2_S3_PS4_PS7_PS2_
; %bb.0:
	s_load_dwordx2 s[2:3], s[4:5], 0x28
	s_load_dword s12, s[4:5], 0x40
	s_load_dwordx2 s[0:1], s[4:5], 0x50
	s_mov_b32 s15, 0
	s_mov_b32 s7, s15
	s_lshl_b64 s[8:9], s[6:7], 3
	s_waitcnt lgkmcnt(0)
	s_add_u32 s2, s2, s8
	s_addc_u32 s3, s3, s9
	s_load_dwordx4 s[8:11], s[2:3], 0x0
	v_or_b32_e32 v1, s6, v0
	s_mov_b32 s13, s15
	v_cmp_eq_u32_e32 vcc, 0, v1
	s_and_saveexec_b64 s[2:3], vcc
	s_cbranch_execz .LBB40_2
; %bb.1:
	v_mov_b32_e32 v1, 0
	v_pk_mov_b32 v[2:3], s[12:13], s[12:13] op_sel:[0,1]
	global_store_dwordx2 v1, v[2:3], s[0:1]
.LBB40_2:
	s_or_b64 exec, exec, s[2:3]
	s_load_dword s14, s[4:5], 0x18
	v_and_b32_e32 v16, 1, v0
	v_lshrrev_b32_e32 v4, 1, v0
	v_mov_b32_e32 v6, s1
	s_waitcnt lgkmcnt(0)
	s_sub_u32 s16, s8, s14
	s_subb_u32 s17, s9, 0
	s_sub_u32 s10, s10, s14
	s_subb_u32 s11, s11, 0
	s_lshl_b64 s[18:19], s[16:17], 2
	s_sub_u32 s20, s10, s16
	s_subb_u32 s21, s11, s17
	s_lshl_b64 s[2:3], s[20:21], 1
	v_mov_b32_e32 v0, s20
	s_add_u32 s20, s2, s12
	s_addc_u32 s3, s3, 0
	s_add_u32 s18, s20, s18
	v_alignbit_b32 v0, s21, v0, 31
	s_addc_u32 s19, s3, s19
	s_lshl_b64 s[6:7], s[6:7], 4
	v_mul_lo_u32 v5, v0, v16
	v_pk_mov_b32 v[0:1], s[18:19], s[18:19] op_sel:[0,1]
	v_lshl_or_b32 v2, v16, 3, s6
	v_mad_u64_u32 v[0:1], s[18:19], s2, v16, v[0:1]
	v_mov_b32_e32 v3, s7
	v_add_co_u32_e32 v2, vcc, s0, v2
	v_add_u32_e32 v1, v5, v1
	v_addc_co_u32_e32 v3, vcc, v6, v3, vcc
	global_store_dwordx2 v[2:3], v[0:1], off offset:8
	v_mov_b32_e32 v1, s17
	v_add_co_u32_e32 v0, vcc, s16, v4
	v_addc_co_u32_e32 v1, vcc, 0, v1, vcc
	v_cmp_gt_i64_e32 vcc, s[10:11], v[0:1]
	s_and_saveexec_b64 s[0:1], vcc
	s_cbranch_execz .LBB40_7
; %bb.3:
	s_load_dwordx2 s[18:19], s[4:5], 0x30
	s_load_dwordx2 s[20:21], s[4:5], 0x48
	s_load_dword s3, s[4:5], 0x0
	s_load_dwordx2 s[6:7], s[4:5], 0x20
	s_load_dwordx2 s[22:23], s[4:5], 0x58
	v_lshlrev_b64 v[2:3], 3, v[0:1]
	s_waitcnt lgkmcnt(0)
	v_mov_b32_e32 v7, s19
	s_cmp_eq_u32 s3, 0
	s_cselect_b64 s[0:1], -1, 0
	s_cmp_lg_u32 s3, 0
	s_cselect_b64 s[4:5], -1, 0
	s_add_u32 s16, s6, 8
	v_add_co_u32_e32 v2, vcc, s18, v2
	v_mul_lo_u32 v6, s2, v16
	s_addc_u32 s17, s7, 0
	v_addc_co_u32_e32 v3, vcc, v7, v3, vcc
	s_lshl_b64 s[2:3], s[8:9], 2
	v_mov_b32_e32 v7, s3
	v_add_co_u32_e32 v6, vcc, s2, v6
	v_addc_co_u32_e32 v5, vcc, v5, v7, vcc
	v_lshlrev_b32_e32 v4, 1, v4
	v_add_co_u32_e32 v4, vcc, v6, v4
	v_addc_co_u32_e32 v5, vcc, 0, v5, vcc
	s_lshl_b64 s[2:3], s[14:15], 2
	v_mov_b32_e32 v6, s3
	v_subrev_co_u32_e32 v10, vcc, s2, v4
	v_subb_co_u32_e32 v11, vcc, v5, v6, vcc
	v_lshlrev_b64 v[4:5], 2, v[10:11]
	v_mov_b32_e32 v6, s21
	v_add_co_u32_e32 v4, vcc, s20, v4
	v_addc_co_u32_e32 v5, vcc, v5, v6, vcc
	v_add_co_u32_e32 v4, vcc, 4, v4
	v_addc_co_u32_e32 v5, vcc, 0, v5, vcc
	v_lshlrev_b64 v[10:11], 3, v[10:11]
	v_mov_b32_e32 v12, s23
	v_add_co_u32_e32 v10, vcc, s22, v10
	v_addc_co_u32_e32 v11, vcc, v11, v12, vcc
	v_add_co_u32_e32 v10, vcc, 8, v10
	v_lshlrev_b64 v[12:13], 4, v[0:1]
	v_addc_co_u32_e32 v11, vcc, 0, v11, vcc
	v_lshl_or_b32 v12, v16, 3, v12
	v_mov_b32_e32 v17, s7
	v_add_co_u32_e32 v12, vcc, s6, v12
	v_addc_co_u32_e32 v13, vcc, v13, v17, vcc
	v_lshlrev_b64 v[6:7], 2, v[0:1]
	v_add_co_u32_e32 v12, vcc, 4, v12
	v_or_b32_e32 v8, v6, v16
	v_mov_b32_e32 v9, v7
	v_addc_co_u32_e32 v13, vcc, 0, v13, vcc
	v_lshl_or_b32 v6, v16, 1, v6
	s_mov_b64 s[8:9], 0
	v_mov_b32_e32 v18, s15
	v_mov_b32_e32 v19, s13
	s_branch .LBB40_5
.LBB40_4:                               ;   in Loop: Header=BB40_5 Depth=1
	global_load_dword v14, v[14:15], off
	v_add_co_u32_e32 v0, vcc, 0x80, v0
	v_addc_co_u32_e32 v1, vcc, 0, v1, vcc
	v_add_co_u32_e32 v2, vcc, 0x400, v2
	v_addc_co_u32_e32 v3, vcc, 0, v3, vcc
	v_cmp_le_i64_e32 vcc, s[10:11], v[0:1]
	s_or_b64 s[8:9], vcc, s[8:9]
	s_waitcnt vmcnt(0)
	global_store_dword v[4:5], v14, off
	v_add_co_u32_e32 v4, vcc, 0x400, v4
	v_addc_co_u32_e32 v5, vcc, 0, v5, vcc
	v_add_co_u32_e32 v8, vcc, 0x200, v8
	v_addc_co_u32_e32 v9, vcc, 0, v9, vcc
	v_add_co_u32_e32 v10, vcc, 0x800, v10
	v_addc_co_u32_e32 v11, vcc, 0, v11, vcc
	v_add_co_u32_e32 v12, vcc, 0x800, v12
	v_addc_co_u32_e32 v13, vcc, 0, v13, vcc
	v_add_co_u32_e32 v6, vcc, 0x200, v6
	v_addc_co_u32_e32 v7, vcc, 0, v7, vcc
	s_andn2_b64 exec, exec, s[8:9]
	s_cbranch_execz .LBB40_7
.LBB40_5:                               ; =>This Inner Loop Header: Depth=1
	global_load_dwordx2 v[14:15], v[2:3], off
	v_cndmask_b32_e64 v21, v9, v7, s[0:1]
	v_cndmask_b32_e64 v20, v8, v6, s[0:1]
	v_lshlrev_b64 v[20:21], 2, v[20:21]
	v_add_co_u32_e32 v20, vcc, s6, v20
	v_addc_co_u32_e32 v21, vcc, v17, v21, vcc
	global_load_dword v22, v[20:21], off
	s_andn2_b64 vcc, exec, s[4:5]
	s_waitcnt vmcnt(1)
	v_subrev_co_u32_e64 v14, s[2:3], s14, v14
	v_subb_co_u32_e64 v15, s[2:3], v15, v18, s[2:3]
	v_lshlrev_b64 v[14:15], 1, v[14:15]
	v_add_co_u32_e64 v20, s[2:3], s12, v14
	v_addc_co_u32_e64 v21, s[2:3], v15, v19, s[2:3]
	s_waitcnt vmcnt(0)
	global_store_dword v[4:5], v22, off offset:-4
	v_add_co_u32_e64 v22, s[2:3], 1, v20
	v_addc_co_u32_e64 v23, s[2:3], 0, v21, s[2:3]
	v_pk_mov_b32 v[14:15], v[12:13], v[12:13] op_sel:[0,1]
	global_store_dwordx4 v[10:11], v[20:23], off offset:-8
	s_cbranch_vccnz .LBB40_4
; %bb.6:                                ;   in Loop: Header=BB40_5 Depth=1
	v_lshlrev_b64 v[14:15], 4, v[0:1]
	v_lshl_or_b32 v14, v16, 2, v14
	v_mov_b32_e32 v20, s17
	v_add_co_u32_e32 v14, vcc, s16, v14
	v_addc_co_u32_e32 v15, vcc, v20, v15, vcc
	s_branch .LBB40_4
.LBB40_7:
	s_endpgm
	.section	.rodata,"a",@progbits
	.p2align	6, 0x0
	.amdhsa_kernel _ZN9rocsparseL32bsr2csr_block_per_row_2_7_kernelILj256ELj2EillEEv20rocsparse_direction_T3_S2_21rocsparse_index_base_PKT1_PKT2_PKS2_S2_S3_PS4_PS7_PS2_
		.amdhsa_group_segment_fixed_size 0
		.amdhsa_private_segment_fixed_size 0
		.amdhsa_kernarg_size 96
		.amdhsa_user_sgpr_count 6
		.amdhsa_user_sgpr_private_segment_buffer 1
		.amdhsa_user_sgpr_dispatch_ptr 0
		.amdhsa_user_sgpr_queue_ptr 0
		.amdhsa_user_sgpr_kernarg_segment_ptr 1
		.amdhsa_user_sgpr_dispatch_id 0
		.amdhsa_user_sgpr_flat_scratch_init 0
		.amdhsa_user_sgpr_kernarg_preload_length 0
		.amdhsa_user_sgpr_kernarg_preload_offset 0
		.amdhsa_user_sgpr_private_segment_size 0
		.amdhsa_uses_dynamic_stack 0
		.amdhsa_system_sgpr_private_segment_wavefront_offset 0
		.amdhsa_system_sgpr_workgroup_id_x 1
		.amdhsa_system_sgpr_workgroup_id_y 0
		.amdhsa_system_sgpr_workgroup_id_z 0
		.amdhsa_system_sgpr_workgroup_info 0
		.amdhsa_system_vgpr_workitem_id 0
		.amdhsa_next_free_vgpr 24
		.amdhsa_next_free_sgpr 24
		.amdhsa_accum_offset 24
		.amdhsa_reserve_vcc 1
		.amdhsa_reserve_flat_scratch 0
		.amdhsa_float_round_mode_32 0
		.amdhsa_float_round_mode_16_64 0
		.amdhsa_float_denorm_mode_32 3
		.amdhsa_float_denorm_mode_16_64 3
		.amdhsa_dx10_clamp 1
		.amdhsa_ieee_mode 1
		.amdhsa_fp16_overflow 0
		.amdhsa_tg_split 0
		.amdhsa_exception_fp_ieee_invalid_op 0
		.amdhsa_exception_fp_denorm_src 0
		.amdhsa_exception_fp_ieee_div_zero 0
		.amdhsa_exception_fp_ieee_overflow 0
		.amdhsa_exception_fp_ieee_underflow 0
		.amdhsa_exception_fp_ieee_inexact 0
		.amdhsa_exception_int_div_zero 0
	.end_amdhsa_kernel
	.section	.text._ZN9rocsparseL32bsr2csr_block_per_row_2_7_kernelILj256ELj2EillEEv20rocsparse_direction_T3_S2_21rocsparse_index_base_PKT1_PKT2_PKS2_S2_S3_PS4_PS7_PS2_,"axG",@progbits,_ZN9rocsparseL32bsr2csr_block_per_row_2_7_kernelILj256ELj2EillEEv20rocsparse_direction_T3_S2_21rocsparse_index_base_PKT1_PKT2_PKS2_S2_S3_PS4_PS7_PS2_,comdat
.Lfunc_end40:
	.size	_ZN9rocsparseL32bsr2csr_block_per_row_2_7_kernelILj256ELj2EillEEv20rocsparse_direction_T3_S2_21rocsparse_index_base_PKT1_PKT2_PKS2_S2_S3_PS4_PS7_PS2_, .Lfunc_end40-_ZN9rocsparseL32bsr2csr_block_per_row_2_7_kernelILj256ELj2EillEEv20rocsparse_direction_T3_S2_21rocsparse_index_base_PKT1_PKT2_PKS2_S2_S3_PS4_PS7_PS2_
                                        ; -- End function
	.section	.AMDGPU.csdata,"",@progbits
; Kernel info:
; codeLenInByte = 840
; NumSgprs: 28
; NumVgprs: 24
; NumAgprs: 0
; TotalNumVgprs: 24
; ScratchSize: 0
; MemoryBound: 0
; FloatMode: 240
; IeeeMode: 1
; LDSByteSize: 0 bytes/workgroup (compile time only)
; SGPRBlocks: 3
; VGPRBlocks: 2
; NumSGPRsForWavesPerEU: 28
; NumVGPRsForWavesPerEU: 24
; AccumOffset: 24
; Occupancy: 8
; WaveLimiterHint : 0
; COMPUTE_PGM_RSRC2:SCRATCH_EN: 0
; COMPUTE_PGM_RSRC2:USER_SGPR: 6
; COMPUTE_PGM_RSRC2:TRAP_HANDLER: 0
; COMPUTE_PGM_RSRC2:TGID_X_EN: 1
; COMPUTE_PGM_RSRC2:TGID_Y_EN: 0
; COMPUTE_PGM_RSRC2:TGID_Z_EN: 0
; COMPUTE_PGM_RSRC2:TIDIG_COMP_CNT: 0
; COMPUTE_PGM_RSRC3_GFX90A:ACCUM_OFFSET: 5
; COMPUTE_PGM_RSRC3_GFX90A:TG_SPLIT: 0
	.section	.text._ZN9rocsparseL32bsr2csr_block_per_row_2_7_kernelILj256ELj3EillEEv20rocsparse_direction_T3_S2_21rocsparse_index_base_PKT1_PKT2_PKS2_S2_S3_PS4_PS7_PS2_,"axG",@progbits,_ZN9rocsparseL32bsr2csr_block_per_row_2_7_kernelILj256ELj3EillEEv20rocsparse_direction_T3_S2_21rocsparse_index_base_PKT1_PKT2_PKS2_S2_S3_PS4_PS7_PS2_,comdat
	.globl	_ZN9rocsparseL32bsr2csr_block_per_row_2_7_kernelILj256ELj3EillEEv20rocsparse_direction_T3_S2_21rocsparse_index_base_PKT1_PKT2_PKS2_S2_S3_PS4_PS7_PS2_ ; -- Begin function _ZN9rocsparseL32bsr2csr_block_per_row_2_7_kernelILj256ELj3EillEEv20rocsparse_direction_T3_S2_21rocsparse_index_base_PKT1_PKT2_PKS2_S2_S3_PS4_PS7_PS2_
	.p2align	8
	.type	_ZN9rocsparseL32bsr2csr_block_per_row_2_7_kernelILj256ELj3EillEEv20rocsparse_direction_T3_S2_21rocsparse_index_base_PKT1_PKT2_PKS2_S2_S3_PS4_PS7_PS2_,@function
_ZN9rocsparseL32bsr2csr_block_per_row_2_7_kernelILj256ELj3EillEEv20rocsparse_direction_T3_S2_21rocsparse_index_base_PKT1_PKT2_PKS2_S2_S3_PS4_PS7_PS2_: ; @_ZN9rocsparseL32bsr2csr_block_per_row_2_7_kernelILj256ELj3EillEEv20rocsparse_direction_T3_S2_21rocsparse_index_base_PKT1_PKT2_PKS2_S2_S3_PS4_PS7_PS2_
; %bb.0:
	s_load_dwordx2 s[2:3], s[4:5], 0x28
	s_load_dword s12, s[4:5], 0x40
	s_load_dwordx2 s[0:1], s[4:5], 0x50
	s_mov_b32 s7, 0
	s_lshl_b64 s[8:9], s[6:7], 3
	s_waitcnt lgkmcnt(0)
	s_add_u32 s2, s2, s8
	v_or_b32_e32 v1, s6, v0
	s_addc_u32 s3, s3, s9
	v_cmp_eq_u32_e32 vcc, 0, v1
	s_and_saveexec_b64 s[8:9], vcc
	s_cbranch_execz .LBB41_2
; %bb.1:
	v_mov_b32_e32 v2, s12
	v_mov_b32_e32 v3, 0
	global_store_dwordx2 v3, v[2:3], s[0:1]
.LBB41_2:
	s_or_b64 exec, exec, s[8:9]
	v_and_b32_e32 v12, 3, v0
	v_cmp_ne_u32_e32 vcc, 3, v12
	s_and_saveexec_b64 s[8:9], vcc
	s_cbranch_execz .LBB41_6
; %bb.3:
	s_load_dwordx4 s[8:11], s[2:3], 0x0
	s_load_dword s7, s[4:5], 0x18
	v_lshrrev_b32_e32 v2, 2, v0
	v_lshlrev_b32_e32 v4, 3, v12
	s_mov_b32 s2, 0
	s_waitcnt lgkmcnt(0)
	s_sub_u32 s16, s8, s7
	s_subb_u32 s17, s9, 0
	s_sub_u32 s10, s10, s7
	s_mul_i32 s3, s17, 9
	s_mul_hi_u32 s13, s16, 9
	s_subb_u32 s11, s11, 0
	s_add_i32 s15, s13, s3
	s_sub_u32 s3, s10, s16
	s_subb_u32 s13, s11, s17
	s_mul_i32 s13, s13, 3
	s_mul_hi_u32 s18, s3, 3
	s_add_i32 s18, s18, s13
	s_mul_i32 s3, s3, 3
	s_add_u32 s19, s3, s12
	s_mul_i32 s14, s16, 9
	v_mul_lo_u32 v3, s18, v12
	s_addc_u32 s18, s18, 0
	s_add_u32 s14, s19, s14
	s_addc_u32 s15, s18, s15
	v_pk_mov_b32 v[0:1], s[14:15], s[14:15] op_sel:[0,1]
	v_mad_u64_u32 v[0:1], s[14:15], s3, v12, v[0:1]
	s_mul_hi_u32 s14, s6, 24
	s_mul_i32 s6, s6, 24
	s_add_u32 s0, s0, s6
	v_add_u32_e32 v1, v3, v1
	s_addc_u32 s1, s1, s14
	global_store_dwordx2 v4, v[0:1], s[0:1] offset:8
	v_mov_b32_e32 v1, s17
	v_add_co_u32_e32 v0, vcc, s16, v2
	v_addc_co_u32_e32 v1, vcc, 0, v1, vcc
	v_cmp_gt_i64_e32 vcc, s[10:11], v[0:1]
	s_and_b64 exec, exec, vcc
	s_cbranch_execz .LBB41_6
; %bb.4:
	v_mad_u64_u32 v[4:5], s[0:1], s3, v12, 0
	v_add_u32_e32 v5, v5, v3
	s_load_dwordx2 s[14:15], s[4:5], 0x30
	s_load_dwordx2 s[16:17], s[4:5], 0x48
	;; [unrolled: 1-line block ×3, first 2 shown]
	s_load_dword s6, s[4:5], 0x0
	s_load_dwordx2 s[20:21], s[4:5], 0x58
	v_mad_u64_u32 v[4:5], s[4:5], s8, 9, v[4:5]
	v_mov_b32_e32 v6, v5
	v_mad_u64_u32 v[6:7], s[4:5], s9, 9, v[6:7]
	v_mov_b32_e32 v5, v6
	v_mad_u64_u32 v[2:3], s[4:5], v2, 3, v[4:5]
	s_mul_hi_u32 s3, s7, 9
	s_mul_i32 s4, s7, 9
	v_mov_b32_e32 v4, s3
	v_subrev_co_u32_e32 v10, vcc, s4, v2
	v_subb_co_u32_e32 v11, vcc, v3, v4, vcc
	v_lshlrev_b64 v[2:3], 2, v[10:11]
	s_waitcnt lgkmcnt(0)
	v_mov_b32_e32 v4, s17
	v_add_co_u32_e32 v2, vcc, s16, v2
	v_addc_co_u32_e32 v3, vcc, v3, v4, vcc
	v_add_co_u32_e32 v2, vcc, 8, v2
	v_addc_co_u32_e32 v3, vcc, 0, v3, vcc
	v_lshlrev_b64 v[4:5], 3, v[0:1]
	v_mov_b32_e32 v6, s15
	v_add_co_u32_e32 v4, vcc, s14, v4
	v_addc_co_u32_e32 v5, vcc, v6, v5, vcc
	v_mad_u64_u32 v[8:9], s[4:5], v0, 36, s[18:19]
	v_lshlrev_b64 v[10:11], 3, v[10:11]
	v_mov_b32_e32 v14, v9
	v_mov_b32_e32 v9, s21
	v_add_co_u32_e32 v10, vcc, s20, v10
	v_addc_co_u32_e32 v9, vcc, v11, v9, vcc
	s_cmp_eq_u32 s6, 0
	v_mad_u64_u32 v[14:15], s[4:5], v1, 36, v[14:15]
	v_add_co_u32_e32 v10, vcc, 8, v10
	s_mov_b32 s13, s2
	s_cselect_b64 s[0:1], -1, 0
	v_lshlrev_b32_e32 v6, 2, v12
	v_mov_b32_e32 v7, v14
	v_addc_co_u32_e32 v11, vcc, 0, v9, vcc
	v_mul_hi_u32_u24_e32 v9, 12, v12
	v_mul_u32_u24_e32 v12, 12, v12
	s_mov_b64 s[4:5], 0
	v_mov_b32_e32 v13, s2
	s_movk_i32 s6, 0x300
	s_movk_i32 s8, 0x200
.LBB41_5:                               ; =>This Inner Loop Header: Depth=1
	v_add_co_u32_e32 v20, vcc, v8, v6
	v_addc_co_u32_e32 v21, vcc, 0, v7, vcc
	v_add_co_u32_e32 v22, vcc, v8, v12
	v_addc_co_u32_e32 v23, vcc, v7, v9, vcc
	v_cndmask_b32_e64 v17, v21, v23, s[0:1]
	v_cndmask_b32_e64 v16, v20, v22, s[0:1]
	global_load_dword v16, v[16:17], off
	v_add_co_u32_e32 v17, vcc, 4, v22
	v_addc_co_u32_e32 v18, vcc, 0, v23, vcc
	v_add_co_u32_e32 v24, vcc, 12, v20
	v_addc_co_u32_e32 v19, vcc, 0, v21, vcc
	v_cndmask_b32_e64 v19, v19, v18, s[0:1]
	v_cndmask_b32_e64 v18, v24, v17, s[0:1]
	global_load_dword v17, v[18:19], off
	v_add_co_u32_e32 v18, vcc, 8, v22
	v_addc_co_u32_e32 v19, vcc, 0, v23, vcc
	v_add_co_u32_e32 v20, vcc, 24, v20
	global_load_dwordx2 v[14:15], v[4:5], off
	v_addc_co_u32_e32 v21, vcc, 0, v21, vcc
	v_cndmask_b32_e64 v19, v21, v19, s[0:1]
	v_cndmask_b32_e64 v18, v20, v18, s[0:1]
	global_load_dword v18, v[18:19], off
	v_add_co_u32_e32 v0, vcc, 64, v0
	v_addc_co_u32_e32 v1, vcc, 0, v1, vcc
	v_cmp_le_i64_e32 vcc, s[10:11], v[0:1]
	s_or_b64 s[4:5], vcc, s[4:5]
	s_waitcnt vmcnt(1)
	v_subrev_co_u32_e32 v14, vcc, s7, v14
	v_subb_co_u32_e32 v15, vcc, v15, v13, vcc
	v_mad_u64_u32 v[20:21], s[2:3], v14, 3, s[12:13]
	s_waitcnt vmcnt(0)
	global_store_dwordx3 v[2:3], v[16:18], off offset:-8
	v_add_co_u32_e32 v2, vcc, s6, v2
	v_mov_b32_e32 v22, v21
	v_addc_co_u32_e32 v3, vcc, 0, v3, vcc
	v_mad_u64_u32 v[22:23], s[2:3], v15, 3, v[22:23]
	v_add_co_u32_e32 v4, vcc, s8, v4
	v_mov_b32_e32 v19, v22
	v_add_co_u32_e64 v16, s[2:3], 1, v20
	v_addc_co_u32_e32 v5, vcc, 0, v5, vcc
	v_addc_co_u32_e64 v17, s[2:3], 0, v19, s[2:3]
	v_add_co_u32_e32 v8, vcc, 0x900, v8
	v_mov_b32_e32 v14, v20
	v_mov_b32_e32 v15, v22
	v_add_co_u32_e64 v18, s[2:3], 2, v20
	v_addc_co_u32_e32 v7, vcc, 0, v7, vcc
	v_addc_co_u32_e64 v19, s[2:3], 0, v19, s[2:3]
	global_store_dwordx4 v[10:11], v[14:17], off offset:-8
	global_store_dwordx2 v[10:11], v[18:19], off offset:8
	v_add_co_u32_e32 v10, vcc, 0x600, v10
	v_addc_co_u32_e32 v11, vcc, 0, v11, vcc
	s_andn2_b64 exec, exec, s[4:5]
	s_cbranch_execnz .LBB41_5
.LBB41_6:
	s_endpgm
	.section	.rodata,"a",@progbits
	.p2align	6, 0x0
	.amdhsa_kernel _ZN9rocsparseL32bsr2csr_block_per_row_2_7_kernelILj256ELj3EillEEv20rocsparse_direction_T3_S2_21rocsparse_index_base_PKT1_PKT2_PKS2_S2_S3_PS4_PS7_PS2_
		.amdhsa_group_segment_fixed_size 0
		.amdhsa_private_segment_fixed_size 0
		.amdhsa_kernarg_size 96
		.amdhsa_user_sgpr_count 6
		.amdhsa_user_sgpr_private_segment_buffer 1
		.amdhsa_user_sgpr_dispatch_ptr 0
		.amdhsa_user_sgpr_queue_ptr 0
		.amdhsa_user_sgpr_kernarg_segment_ptr 1
		.amdhsa_user_sgpr_dispatch_id 0
		.amdhsa_user_sgpr_flat_scratch_init 0
		.amdhsa_user_sgpr_kernarg_preload_length 0
		.amdhsa_user_sgpr_kernarg_preload_offset 0
		.amdhsa_user_sgpr_private_segment_size 0
		.amdhsa_uses_dynamic_stack 0
		.amdhsa_system_sgpr_private_segment_wavefront_offset 0
		.amdhsa_system_sgpr_workgroup_id_x 1
		.amdhsa_system_sgpr_workgroup_id_y 0
		.amdhsa_system_sgpr_workgroup_id_z 0
		.amdhsa_system_sgpr_workgroup_info 0
		.amdhsa_system_vgpr_workitem_id 0
		.amdhsa_next_free_vgpr 25
		.amdhsa_next_free_sgpr 22
		.amdhsa_accum_offset 28
		.amdhsa_reserve_vcc 1
		.amdhsa_reserve_flat_scratch 0
		.amdhsa_float_round_mode_32 0
		.amdhsa_float_round_mode_16_64 0
		.amdhsa_float_denorm_mode_32 3
		.amdhsa_float_denorm_mode_16_64 3
		.amdhsa_dx10_clamp 1
		.amdhsa_ieee_mode 1
		.amdhsa_fp16_overflow 0
		.amdhsa_tg_split 0
		.amdhsa_exception_fp_ieee_invalid_op 0
		.amdhsa_exception_fp_denorm_src 0
		.amdhsa_exception_fp_ieee_div_zero 0
		.amdhsa_exception_fp_ieee_overflow 0
		.amdhsa_exception_fp_ieee_underflow 0
		.amdhsa_exception_fp_ieee_inexact 0
		.amdhsa_exception_int_div_zero 0
	.end_amdhsa_kernel
	.section	.text._ZN9rocsparseL32bsr2csr_block_per_row_2_7_kernelILj256ELj3EillEEv20rocsparse_direction_T3_S2_21rocsparse_index_base_PKT1_PKT2_PKS2_S2_S3_PS4_PS7_PS2_,"axG",@progbits,_ZN9rocsparseL32bsr2csr_block_per_row_2_7_kernelILj256ELj3EillEEv20rocsparse_direction_T3_S2_21rocsparse_index_base_PKT1_PKT2_PKS2_S2_S3_PS4_PS7_PS2_,comdat
.Lfunc_end41:
	.size	_ZN9rocsparseL32bsr2csr_block_per_row_2_7_kernelILj256ELj3EillEEv20rocsparse_direction_T3_S2_21rocsparse_index_base_PKT1_PKT2_PKS2_S2_S3_PS4_PS7_PS2_, .Lfunc_end41-_ZN9rocsparseL32bsr2csr_block_per_row_2_7_kernelILj256ELj3EillEEv20rocsparse_direction_T3_S2_21rocsparse_index_base_PKT1_PKT2_PKS2_S2_S3_PS4_PS7_PS2_
                                        ; -- End function
	.section	.AMDGPU.csdata,"",@progbits
; Kernel info:
; codeLenInByte = 824
; NumSgprs: 26
; NumVgprs: 25
; NumAgprs: 0
; TotalNumVgprs: 25
; ScratchSize: 0
; MemoryBound: 0
; FloatMode: 240
; IeeeMode: 1
; LDSByteSize: 0 bytes/workgroup (compile time only)
; SGPRBlocks: 3
; VGPRBlocks: 3
; NumSGPRsForWavesPerEU: 26
; NumVGPRsForWavesPerEU: 25
; AccumOffset: 28
; Occupancy: 8
; WaveLimiterHint : 0
; COMPUTE_PGM_RSRC2:SCRATCH_EN: 0
; COMPUTE_PGM_RSRC2:USER_SGPR: 6
; COMPUTE_PGM_RSRC2:TRAP_HANDLER: 0
; COMPUTE_PGM_RSRC2:TGID_X_EN: 1
; COMPUTE_PGM_RSRC2:TGID_Y_EN: 0
; COMPUTE_PGM_RSRC2:TGID_Z_EN: 0
; COMPUTE_PGM_RSRC2:TIDIG_COMP_CNT: 0
; COMPUTE_PGM_RSRC3_GFX90A:ACCUM_OFFSET: 6
; COMPUTE_PGM_RSRC3_GFX90A:TG_SPLIT: 0
	.section	.text._ZN9rocsparseL32bsr2csr_block_per_row_2_7_kernelILj256ELj4EillEEv20rocsparse_direction_T3_S2_21rocsparse_index_base_PKT1_PKT2_PKS2_S2_S3_PS4_PS7_PS2_,"axG",@progbits,_ZN9rocsparseL32bsr2csr_block_per_row_2_7_kernelILj256ELj4EillEEv20rocsparse_direction_T3_S2_21rocsparse_index_base_PKT1_PKT2_PKS2_S2_S3_PS4_PS7_PS2_,comdat
	.globl	_ZN9rocsparseL32bsr2csr_block_per_row_2_7_kernelILj256ELj4EillEEv20rocsparse_direction_T3_S2_21rocsparse_index_base_PKT1_PKT2_PKS2_S2_S3_PS4_PS7_PS2_ ; -- Begin function _ZN9rocsparseL32bsr2csr_block_per_row_2_7_kernelILj256ELj4EillEEv20rocsparse_direction_T3_S2_21rocsparse_index_base_PKT1_PKT2_PKS2_S2_S3_PS4_PS7_PS2_
	.p2align	8
	.type	_ZN9rocsparseL32bsr2csr_block_per_row_2_7_kernelILj256ELj4EillEEv20rocsparse_direction_T3_S2_21rocsparse_index_base_PKT1_PKT2_PKS2_S2_S3_PS4_PS7_PS2_,@function
_ZN9rocsparseL32bsr2csr_block_per_row_2_7_kernelILj256ELj4EillEEv20rocsparse_direction_T3_S2_21rocsparse_index_base_PKT1_PKT2_PKS2_S2_S3_PS4_PS7_PS2_: ; @_ZN9rocsparseL32bsr2csr_block_per_row_2_7_kernelILj256ELj4EillEEv20rocsparse_direction_T3_S2_21rocsparse_index_base_PKT1_PKT2_PKS2_S2_S3_PS4_PS7_PS2_
; %bb.0:
	s_load_dwordx2 s[2:3], s[4:5], 0x28
	s_load_dword s12, s[4:5], 0x40
	s_load_dwordx2 s[0:1], s[4:5], 0x50
	s_mov_b32 s15, 0
	s_mov_b32 s7, s15
	s_lshl_b64 s[8:9], s[6:7], 3
	s_waitcnt lgkmcnt(0)
	s_add_u32 s2, s2, s8
	s_addc_u32 s3, s3, s9
	s_load_dwordx4 s[8:11], s[2:3], 0x0
	v_or_b32_e32 v1, s6, v0
	s_mov_b32 s13, s15
	v_cmp_eq_u32_e32 vcc, 0, v1
	s_and_saveexec_b64 s[2:3], vcc
	s_cbranch_execz .LBB42_2
; %bb.1:
	v_mov_b32_e32 v1, 0
	v_pk_mov_b32 v[2:3], s[12:13], s[12:13] op_sel:[0,1]
	global_store_dwordx2 v1, v[2:3], s[0:1]
.LBB42_2:
	s_or_b64 exec, exec, s[2:3]
	s_load_dword s14, s[4:5], 0x18
	v_and_b32_e32 v20, 3, v0
	v_mov_b32_e32 v6, s1
	v_lshrrev_b32_e32 v0, 2, v0
	s_waitcnt lgkmcnt(0)
	s_sub_u32 s16, s8, s14
	s_subb_u32 s17, s9, 0
	s_sub_u32 s10, s10, s14
	s_subb_u32 s11, s11, 0
	s_lshl_b64 s[18:19], s[16:17], 4
	s_sub_u32 s20, s10, s16
	s_subb_u32 s21, s11, s17
	s_lshl_b64 s[2:3], s[20:21], 2
	v_mov_b32_e32 v1, s20
	s_add_u32 s20, s2, s12
	s_addc_u32 s3, s3, 0
	s_add_u32 s18, s20, s18
	s_addc_u32 s19, s3, s19
	s_lshl_b64 s[6:7], s[6:7], 5
	v_alignbit_b32 v1, s21, v1, 30
	v_pk_mov_b32 v[2:3], s[18:19], s[18:19] op_sel:[0,1]
	v_lshl_or_b32 v4, v20, 3, s6
	v_mul_lo_u32 v1, v1, v20
	v_mad_u64_u32 v[2:3], s[18:19], s2, v20, v[2:3]
	v_mov_b32_e32 v5, s7
	v_add_co_u32_e32 v4, vcc, s0, v4
	v_add_u32_e32 v3, v1, v3
	v_addc_co_u32_e32 v5, vcc, v6, v5, vcc
	global_store_dwordx2 v[4:5], v[2:3], off offset:8
	v_mov_b32_e32 v2, s17
	v_add_co_u32_e32 v4, vcc, s16, v0
	v_addc_co_u32_e32 v5, vcc, 0, v2, vcc
	v_cmp_gt_i64_e32 vcc, s[10:11], v[4:5]
	s_and_saveexec_b64 s[0:1], vcc
	s_cbranch_execz .LBB42_15
; %bb.3:
	s_load_dwordx2 s[24:25], s[4:5], 0x30
	s_load_dwordx2 s[26:27], s[4:5], 0x48
	;; [unrolled: 1-line block ×3, first 2 shown]
	s_load_dword s3, s[4:5], 0x0
	s_load_dwordx2 s[28:29], s[4:5], 0x58
	v_mad_u64_u32 v[2:3], s[0:1], s2, v20, 0
	v_lshlrev_b64 v[6:7], 3, v[4:5]
	s_waitcnt lgkmcnt(0)
	s_cmp_eq_u32 s3, 0
	s_cselect_b64 s[0:1], -1, 0
	s_cmp_lg_u32 s3, 0
	s_cselect_b64 s[16:17], -1, 0
	s_add_u32 s18, s6, 16
	s_addc_u32 s19, s7, 0
	s_add_u32 s20, s6, 32
	s_addc_u32 s21, s7, 0
	v_add_u32_e32 v1, v3, v1
	s_add_u32 s22, s6, 48
	v_mov_b32_e32 v3, s25
	v_add_co_u32_e32 v6, vcc, s24, v6
	s_addc_u32 s23, s7, 0
	v_addc_co_u32_e32 v7, vcc, v3, v7, vcc
	s_lshl_b64 s[2:3], s[8:9], 4
	v_mov_b32_e32 v3, s3
	v_add_co_u32_e32 v2, vcc, s2, v2
	v_addc_co_u32_e32 v1, vcc, v1, v3, vcc
	v_lshlrev_b32_e32 v0, 2, v0
	v_add_co_u32_e32 v0, vcc, v2, v0
	v_addc_co_u32_e32 v1, vcc, 0, v1, vcc
	s_lshl_b64 s[2:3], s[14:15], 4
	v_mov_b32_e32 v2, s3
	v_subrev_co_u32_e32 v0, vcc, s2, v0
	v_subb_co_u32_e32 v1, vcc, v1, v2, vcc
	v_lshlrev_b64 v[2:3], 2, v[0:1]
	v_mov_b32_e32 v12, s27
	v_add_co_u32_e32 v2, vcc, s26, v2
	v_addc_co_u32_e32 v3, vcc, v3, v12, vcc
	v_add_co_u32_e32 v12, vcc, 8, v2
	v_addc_co_u32_e32 v13, vcc, 0, v3, vcc
	v_lshlrev_b64 v[2:3], 6, v[4:5]
	v_lshl_or_b32 v2, v20, 4, v2
	v_mov_b32_e32 v21, s7
	v_add_co_u32_e32 v2, vcc, s6, v2
	v_addc_co_u32_e32 v3, vcc, v3, v21, vcc
	v_add_co_u32_e32 v14, vcc, 12, v2
	v_addc_co_u32_e32 v15, vcc, 0, v3, vcc
	v_lshlrev_b64 v[0:1], 3, v[0:1]
	v_mov_b32_e32 v2, s29
	v_add_co_u32_e32 v0, vcc, s28, v0
	v_addc_co_u32_e32 v1, vcc, v1, v2, vcc
	v_lshlrev_b64 v[8:9], 4, v[4:5]
	v_add_co_u32_e32 v16, vcc, 16, v0
	v_or_b32_e32 v10, v8, v20
	v_mov_b32_e32 v11, v9
	v_lshl_or_b32 v8, v20, 2, v8
	v_addc_co_u32_e32 v17, vcc, 0, v1, vcc
	s_mov_b64 s[8:9], 0
	v_mov_b32_e32 v22, s15
	v_mov_b32_e32 v23, s13
	v_cndmask_b32_e64 v24, 0, 1, s[16:17]
	s_branch .LBB42_5
.LBB42_4:                               ;   in Loop: Header=BB42_5 Depth=1
	global_load_dword v0, v[0:1], off
	v_add_co_u32_e32 v4, vcc, 64, v4
	v_addc_co_u32_e32 v5, vcc, 0, v5, vcc
	v_add_co_u32_e32 v6, vcc, 0x200, v6
	v_addc_co_u32_e32 v7, vcc, 0, v7, vcc
	;; [unrolled: 2-line block ×4, first 2 shown]
	v_cmp_le_i64_e64 s[2:3], s[10:11], v[4:5]
	s_or_b64 s[8:9], s[2:3], s[8:9]
	s_waitcnt vmcnt(0)
	global_store_dword v[12:13], v0, off offset:4
	v_add_co_u32_e32 v12, vcc, 0x400, v12
	v_addc_co_u32_e32 v13, vcc, 0, v13, vcc
	v_add_co_u32_e32 v14, vcc, 0x1000, v14
	v_addc_co_u32_e32 v15, vcc, 0, v15, vcc
	;; [unrolled: 2-line block ×3, first 2 shown]
	s_andn2_b64 exec, exec, s[8:9]
	s_cbranch_execz .LBB42_15
.LBB42_5:                               ; =>This Inner Loop Header: Depth=1
	global_load_dwordx2 v[0:1], v[6:7], off
	v_cndmask_b32_e64 v3, v11, v9, s[0:1]
	v_cndmask_b32_e64 v2, v10, v8, s[0:1]
	v_lshlrev_b64 v[2:3], 2, v[2:3]
	v_add_co_u32_e32 v2, vcc, s6, v2
	v_addc_co_u32_e32 v3, vcc, v21, v3, vcc
	global_load_dword v2, v[2:3], off
	v_lshlrev_b64 v[18:19], 4, v[4:5]
	v_or_b32_e32 v18, v18, v20
	v_cmp_ne_u32_e64 s[2:3], 1, v24
	s_andn2_b64 vcc, exec, s[16:17]
	s_waitcnt vmcnt(1)
	v_subrev_co_u32_e64 v0, s[4:5], s14, v0
	v_subb_co_u32_e64 v1, s[4:5], v1, v22, s[4:5]
	v_lshlrev_b64 v[0:1], 2, v[0:1]
	v_add_co_u32_e64 v0, s[4:5], s12, v0
	v_addc_co_u32_e64 v1, s[4:5], v1, v23, s[4:5]
	s_waitcnt vmcnt(0)
	global_store_dword v[12:13], v2, off offset:-8
	v_add_co_u32_e64 v2, s[4:5], 1, v0
	v_addc_co_u32_e64 v3, s[4:5], 0, v1, s[4:5]
	global_store_dwordx4 v[16:17], v[0:3], off offset:-16
	s_nop 0
	v_lshlrev_b64 v[2:3], 2, v[18:19]
	s_cbranch_vccnz .LBB42_7
; %bb.6:                                ;   in Loop: Header=BB42_5 Depth=1
	v_mov_b32_e32 v19, s19
	v_add_co_u32_e32 v18, vcc, s18, v2
	v_addc_co_u32_e32 v19, vcc, v19, v3, vcc
	s_cbranch_execz .LBB42_8
	s_branch .LBB42_9
.LBB42_7:                               ;   in Loop: Header=BB42_5 Depth=1
                                        ; implicit-def: $vgpr18_vgpr19
.LBB42_8:                               ;   in Loop: Header=BB42_5 Depth=1
	v_add_co_u32_e32 v18, vcc, -8, v14
	v_addc_co_u32_e32 v19, vcc, -1, v15, vcc
.LBB42_9:                               ;   in Loop: Header=BB42_5 Depth=1
	global_load_dword v25, v[18:19], off
	v_add_co_u32_e32 v18, vcc, 2, v0
	v_addc_co_u32_e32 v19, vcc, 0, v1, vcc
	s_and_b64 vcc, exec, s[2:3]
	s_waitcnt vmcnt(0)
	global_store_dword v[12:13], v25, off offset:-4
	global_store_dwordx2 v[16:17], v[18:19], off
	s_cbranch_vccnz .LBB42_11
; %bb.10:                               ;   in Loop: Header=BB42_5 Depth=1
	v_mov_b32_e32 v19, s21
	v_add_co_u32_e32 v18, vcc, s20, v2
	v_addc_co_u32_e32 v19, vcc, v19, v3, vcc
	s_cbranch_execz .LBB42_12
	s_branch .LBB42_13
.LBB42_11:                              ;   in Loop: Header=BB42_5 Depth=1
                                        ; implicit-def: $vgpr18_vgpr19
.LBB42_12:                              ;   in Loop: Header=BB42_5 Depth=1
	v_add_co_u32_e32 v18, vcc, -4, v14
	v_addc_co_u32_e32 v19, vcc, -1, v15, vcc
.LBB42_13:                              ;   in Loop: Header=BB42_5 Depth=1
	global_load_dword v18, v[18:19], off
	v_add_co_u32_e32 v0, vcc, 3, v0
	v_addc_co_u32_e32 v1, vcc, 0, v1, vcc
	s_and_b64 vcc, exec, s[2:3]
	global_store_dwordx2 v[16:17], v[0:1], off offset:8
	s_waitcnt vmcnt(1)
	global_store_dword v[12:13], v18, off
	v_pk_mov_b32 v[0:1], v[14:15], v[14:15] op_sel:[0,1]
	s_cbranch_vccnz .LBB42_4
; %bb.14:                               ;   in Loop: Header=BB42_5 Depth=1
	v_mov_b32_e32 v1, s23
	v_add_co_u32_e32 v0, vcc, s22, v2
	v_addc_co_u32_e32 v1, vcc, v1, v3, vcc
	s_branch .LBB42_4
.LBB42_15:
	s_endpgm
	.section	.rodata,"a",@progbits
	.p2align	6, 0x0
	.amdhsa_kernel _ZN9rocsparseL32bsr2csr_block_per_row_2_7_kernelILj256ELj4EillEEv20rocsparse_direction_T3_S2_21rocsparse_index_base_PKT1_PKT2_PKS2_S2_S3_PS4_PS7_PS2_
		.amdhsa_group_segment_fixed_size 0
		.amdhsa_private_segment_fixed_size 0
		.amdhsa_kernarg_size 96
		.amdhsa_user_sgpr_count 6
		.amdhsa_user_sgpr_private_segment_buffer 1
		.amdhsa_user_sgpr_dispatch_ptr 0
		.amdhsa_user_sgpr_queue_ptr 0
		.amdhsa_user_sgpr_kernarg_segment_ptr 1
		.amdhsa_user_sgpr_dispatch_id 0
		.amdhsa_user_sgpr_flat_scratch_init 0
		.amdhsa_user_sgpr_kernarg_preload_length 0
		.amdhsa_user_sgpr_kernarg_preload_offset 0
		.amdhsa_user_sgpr_private_segment_size 0
		.amdhsa_uses_dynamic_stack 0
		.amdhsa_system_sgpr_private_segment_wavefront_offset 0
		.amdhsa_system_sgpr_workgroup_id_x 1
		.amdhsa_system_sgpr_workgroup_id_y 0
		.amdhsa_system_sgpr_workgroup_id_z 0
		.amdhsa_system_sgpr_workgroup_info 0
		.amdhsa_system_vgpr_workitem_id 0
		.amdhsa_next_free_vgpr 26
		.amdhsa_next_free_sgpr 30
		.amdhsa_accum_offset 28
		.amdhsa_reserve_vcc 1
		.amdhsa_reserve_flat_scratch 0
		.amdhsa_float_round_mode_32 0
		.amdhsa_float_round_mode_16_64 0
		.amdhsa_float_denorm_mode_32 3
		.amdhsa_float_denorm_mode_16_64 3
		.amdhsa_dx10_clamp 1
		.amdhsa_ieee_mode 1
		.amdhsa_fp16_overflow 0
		.amdhsa_tg_split 0
		.amdhsa_exception_fp_ieee_invalid_op 0
		.amdhsa_exception_fp_denorm_src 0
		.amdhsa_exception_fp_ieee_div_zero 0
		.amdhsa_exception_fp_ieee_overflow 0
		.amdhsa_exception_fp_ieee_underflow 0
		.amdhsa_exception_fp_ieee_inexact 0
		.amdhsa_exception_int_div_zero 0
	.end_amdhsa_kernel
	.section	.text._ZN9rocsparseL32bsr2csr_block_per_row_2_7_kernelILj256ELj4EillEEv20rocsparse_direction_T3_S2_21rocsparse_index_base_PKT1_PKT2_PKS2_S2_S3_PS4_PS7_PS2_,"axG",@progbits,_ZN9rocsparseL32bsr2csr_block_per_row_2_7_kernelILj256ELj4EillEEv20rocsparse_direction_T3_S2_21rocsparse_index_base_PKT1_PKT2_PKS2_S2_S3_PS4_PS7_PS2_,comdat
.Lfunc_end42:
	.size	_ZN9rocsparseL32bsr2csr_block_per_row_2_7_kernelILj256ELj4EillEEv20rocsparse_direction_T3_S2_21rocsparse_index_base_PKT1_PKT2_PKS2_S2_S3_PS4_PS7_PS2_, .Lfunc_end42-_ZN9rocsparseL32bsr2csr_block_per_row_2_7_kernelILj256ELj4EillEEv20rocsparse_direction_T3_S2_21rocsparse_index_base_PKT1_PKT2_PKS2_S2_S3_PS4_PS7_PS2_
                                        ; -- End function
	.section	.AMDGPU.csdata,"",@progbits
; Kernel info:
; codeLenInByte = 1028
; NumSgprs: 34
; NumVgprs: 26
; NumAgprs: 0
; TotalNumVgprs: 26
; ScratchSize: 0
; MemoryBound: 0
; FloatMode: 240
; IeeeMode: 1
; LDSByteSize: 0 bytes/workgroup (compile time only)
; SGPRBlocks: 4
; VGPRBlocks: 3
; NumSGPRsForWavesPerEU: 34
; NumVGPRsForWavesPerEU: 26
; AccumOffset: 28
; Occupancy: 8
; WaveLimiterHint : 0
; COMPUTE_PGM_RSRC2:SCRATCH_EN: 0
; COMPUTE_PGM_RSRC2:USER_SGPR: 6
; COMPUTE_PGM_RSRC2:TRAP_HANDLER: 0
; COMPUTE_PGM_RSRC2:TGID_X_EN: 1
; COMPUTE_PGM_RSRC2:TGID_Y_EN: 0
; COMPUTE_PGM_RSRC2:TGID_Z_EN: 0
; COMPUTE_PGM_RSRC2:TIDIG_COMP_CNT: 0
; COMPUTE_PGM_RSRC3_GFX90A:ACCUM_OFFSET: 6
; COMPUTE_PGM_RSRC3_GFX90A:TG_SPLIT: 0
	.section	.text._ZN9rocsparseL32bsr2csr_block_per_row_2_7_kernelILj256ELj5EillEEv20rocsparse_direction_T3_S2_21rocsparse_index_base_PKT1_PKT2_PKS2_S2_S3_PS4_PS7_PS2_,"axG",@progbits,_ZN9rocsparseL32bsr2csr_block_per_row_2_7_kernelILj256ELj5EillEEv20rocsparse_direction_T3_S2_21rocsparse_index_base_PKT1_PKT2_PKS2_S2_S3_PS4_PS7_PS2_,comdat
	.globl	_ZN9rocsparseL32bsr2csr_block_per_row_2_7_kernelILj256ELj5EillEEv20rocsparse_direction_T3_S2_21rocsparse_index_base_PKT1_PKT2_PKS2_S2_S3_PS4_PS7_PS2_ ; -- Begin function _ZN9rocsparseL32bsr2csr_block_per_row_2_7_kernelILj256ELj5EillEEv20rocsparse_direction_T3_S2_21rocsparse_index_base_PKT1_PKT2_PKS2_S2_S3_PS4_PS7_PS2_
	.p2align	8
	.type	_ZN9rocsparseL32bsr2csr_block_per_row_2_7_kernelILj256ELj5EillEEv20rocsparse_direction_T3_S2_21rocsparse_index_base_PKT1_PKT2_PKS2_S2_S3_PS4_PS7_PS2_,@function
_ZN9rocsparseL32bsr2csr_block_per_row_2_7_kernelILj256ELj5EillEEv20rocsparse_direction_T3_S2_21rocsparse_index_base_PKT1_PKT2_PKS2_S2_S3_PS4_PS7_PS2_: ; @_ZN9rocsparseL32bsr2csr_block_per_row_2_7_kernelILj256ELj5EillEEv20rocsparse_direction_T3_S2_21rocsparse_index_base_PKT1_PKT2_PKS2_S2_S3_PS4_PS7_PS2_
; %bb.0:
	s_load_dwordx2 s[2:3], s[4:5], 0x28
	s_load_dword s12, s[4:5], 0x40
	s_load_dwordx2 s[0:1], s[4:5], 0x50
	s_mov_b32 s7, 0
	s_lshl_b64 s[8:9], s[6:7], 3
	s_waitcnt lgkmcnt(0)
	s_add_u32 s2, s2, s8
	v_or_b32_e32 v1, s6, v0
	s_addc_u32 s3, s3, s9
	v_cmp_eq_u32_e32 vcc, 0, v1
	s_and_saveexec_b64 s[8:9], vcc
	s_cbranch_execz .LBB43_2
; %bb.1:
	v_mov_b32_e32 v2, s12
	v_mov_b32_e32 v3, 0
	global_store_dwordx2 v3, v[2:3], s[0:1]
.LBB43_2:
	s_or_b64 exec, exec, s[8:9]
	v_and_b32_e32 v12, 7, v0
	v_cmp_gt_u32_e32 vcc, 5, v12
	s_and_saveexec_b64 s[8:9], vcc
	s_cbranch_execz .LBB43_6
; %bb.3:
	s_load_dwordx4 s[8:11], s[2:3], 0x0
	s_load_dword s7, s[4:5], 0x18
	v_lshrrev_b32_e32 v2, 3, v0
	v_lshlrev_b32_e32 v4, 3, v12
	s_mov_b32 s2, 0
	s_waitcnt lgkmcnt(0)
	s_sub_u32 s16, s8, s7
	s_subb_u32 s17, s9, 0
	s_sub_u32 s10, s10, s7
	s_mul_i32 s3, s17, 25
	s_mul_hi_u32 s13, s16, 25
	s_subb_u32 s11, s11, 0
	s_add_i32 s15, s13, s3
	s_sub_u32 s3, s10, s16
	s_subb_u32 s13, s11, s17
	s_mul_i32 s13, s13, 5
	s_mul_hi_u32 s18, s3, 5
	s_add_i32 s18, s18, s13
	s_mul_i32 s3, s3, 5
	s_add_u32 s19, s3, s12
	s_mul_i32 s14, s16, 25
	v_mul_lo_u32 v3, s18, v12
	s_addc_u32 s18, s18, 0
	s_add_u32 s14, s19, s14
	s_addc_u32 s15, s18, s15
	v_pk_mov_b32 v[0:1], s[14:15], s[14:15] op_sel:[0,1]
	v_mad_u64_u32 v[0:1], s[14:15], s3, v12, v[0:1]
	s_mul_hi_u32 s14, s6, 40
	s_mul_i32 s6, s6, 40
	s_add_u32 s0, s0, s6
	v_add_u32_e32 v1, v3, v1
	s_addc_u32 s1, s1, s14
	global_store_dwordx2 v4, v[0:1], s[0:1] offset:8
	v_mov_b32_e32 v1, s17
	v_add_co_u32_e32 v0, vcc, s16, v2
	v_addc_co_u32_e32 v1, vcc, 0, v1, vcc
	v_cmp_gt_i64_e32 vcc, s[10:11], v[0:1]
	s_and_b64 exec, exec, vcc
	s_cbranch_execz .LBB43_6
; %bb.4:
	v_mad_u64_u32 v[4:5], s[0:1], s3, v12, 0
	v_add_u32_e32 v5, v5, v3
	s_load_dwordx2 s[14:15], s[4:5], 0x30
	s_load_dwordx2 s[16:17], s[4:5], 0x48
	;; [unrolled: 1-line block ×3, first 2 shown]
	s_load_dword s6, s[4:5], 0x0
	s_load_dwordx2 s[20:21], s[4:5], 0x58
	v_mad_u64_u32 v[4:5], s[4:5], s8, 25, v[4:5]
	v_mov_b32_e32 v6, v5
	v_mad_u64_u32 v[6:7], s[4:5], s9, 25, v[6:7]
	v_mov_b32_e32 v5, v6
	v_mad_u64_u32 v[2:3], s[4:5], v2, 5, v[4:5]
	s_mul_hi_u32 s3, s7, 25
	s_mul_i32 s4, s7, 25
	v_mov_b32_e32 v4, s3
	v_subrev_co_u32_e32 v10, vcc, s4, v2
	v_subb_co_u32_e32 v11, vcc, v3, v4, vcc
	v_lshlrev_b64 v[2:3], 2, v[10:11]
	s_waitcnt lgkmcnt(0)
	v_mov_b32_e32 v4, s17
	v_add_co_u32_e32 v2, vcc, s16, v2
	v_addc_co_u32_e32 v3, vcc, v3, v4, vcc
	v_add_co_u32_e32 v2, vcc, 16, v2
	v_addc_co_u32_e32 v3, vcc, 0, v3, vcc
	v_lshlrev_b64 v[4:5], 3, v[0:1]
	v_mov_b32_e32 v6, s15
	v_add_co_u32_e32 v4, vcc, s14, v4
	s_movk_i32 s3, 0x64
	v_pk_mov_b32 v[8:9], s[18:19], s[18:19] op_sel:[0,1]
	v_addc_co_u32_e32 v5, vcc, v6, v5, vcc
	v_mad_u64_u32 v[8:9], s[4:5], v0, s3, v[8:9]
	v_lshlrev_b64 v[10:11], 3, v[10:11]
	v_mov_b32_e32 v14, v9
	v_mov_b32_e32 v9, s21
	v_add_co_u32_e32 v10, vcc, s20, v10
	v_addc_co_u32_e32 v9, vcc, v11, v9, vcc
	s_cmp_eq_u32 s6, 0
	v_mad_u64_u32 v[14:15], s[4:5], v1, s3, v[14:15]
	v_add_co_u32_e32 v10, vcc, 16, v10
	s_mov_b32 s13, s2
	s_cselect_b64 s[0:1], -1, 0
	v_lshlrev_b32_e32 v6, 2, v12
	v_mov_b32_e32 v7, v14
	v_addc_co_u32_e32 v11, vcc, 0, v9, vcc
	v_mul_hi_u32_u24_e32 v9, 20, v12
	v_mul_u32_u24_e32 v12, 20, v12
	s_mov_b64 s[4:5], 0
	v_mov_b32_e32 v13, s2
	s_movk_i32 s6, 0x50
	s_movk_i32 s8, 0x280
	;; [unrolled: 1-line block ×3, first 2 shown]
.LBB43_5:                               ; =>This Inner Loop Header: Depth=1
	v_add_co_u32_e32 v22, vcc, v8, v6
	v_addc_co_u32_e32 v23, vcc, 0, v7, vcc
	v_add_co_u32_e32 v24, vcc, v8, v12
	v_addc_co_u32_e32 v25, vcc, v7, v9, vcc
	v_cndmask_b32_e64 v15, v23, v25, s[0:1]
	v_cndmask_b32_e64 v14, v22, v24, s[0:1]
	global_load_dword v14, v[14:15], off
	v_add_co_u32_e32 v15, vcc, 4, v24
	v_addc_co_u32_e32 v16, vcc, 0, v25, vcc
	v_add_co_u32_e32 v20, vcc, 20, v22
	v_addc_co_u32_e32 v17, vcc, 0, v23, vcc
	v_cndmask_b32_e64 v17, v17, v16, s[0:1]
	v_cndmask_b32_e64 v16, v20, v15, s[0:1]
	global_load_dword v15, v[16:17], off
	v_add_co_u32_e32 v16, vcc, 8, v24
	v_addc_co_u32_e32 v17, vcc, 0, v25, vcc
	v_add_co_u32_e32 v20, vcc, 40, v22
	v_addc_co_u32_e32 v21, vcc, 0, v23, vcc
	global_load_dwordx2 v[18:19], v[4:5], off
	v_cndmask_b32_e64 v17, v21, v17, s[0:1]
	v_cndmask_b32_e64 v16, v20, v16, s[0:1]
	global_load_dword v16, v[16:17], off
	v_add_co_u32_e32 v17, vcc, 12, v24
	v_addc_co_u32_e32 v20, vcc, 0, v25, vcc
	v_add_co_u32_e32 v26, vcc, 60, v22
	v_addc_co_u32_e32 v21, vcc, 0, v23, vcc
	v_cndmask_b32_e64 v21, v21, v20, s[0:1]
	v_cndmask_b32_e64 v20, v26, v17, s[0:1]
	global_load_dword v17, v[20:21], off
	v_add_co_u32_e32 v20, vcc, 16, v24
	v_addc_co_u32_e32 v21, vcc, 0, v25, vcc
	v_add_co_u32_e32 v22, vcc, s6, v22
	v_addc_co_u32_e32 v23, vcc, 0, v23, vcc
	v_cndmask_b32_e64 v21, v23, v21, s[0:1]
	v_cndmask_b32_e64 v20, v22, v20, s[0:1]
	global_load_dword v24, v[20:21], off
	s_waitcnt vmcnt(3)
	v_subrev_co_u32_e32 v18, vcc, s7, v18
	v_mad_u64_u32 v[22:23], s[2:3], v18, 5, s[12:13]
	v_subb_co_u32_e32 v19, vcc, v19, v13, vcc
	v_mov_b32_e32 v20, v23
	v_mad_u64_u32 v[20:21], s[2:3], v19, 5, v[20:21]
	v_mov_b32_e32 v23, v20
	v_mov_b32_e32 v19, v20
	v_add_co_u32_e32 v20, vcc, 1, v22
	v_addc_co_u32_e32 v21, vcc, 0, v23, vcc
	s_waitcnt vmcnt(1)
	global_store_dwordx4 v[2:3], v[14:17], off offset:-16
	v_mov_b32_e32 v18, v22
	v_add_co_u32_e32 v14, vcc, 2, v22
	v_addc_co_u32_e32 v15, vcc, 0, v23, vcc
	v_add_co_u32_e32 v16, vcc, 3, v22
	v_addc_co_u32_e32 v17, vcc, 0, v23, vcc
	;; [unrolled: 2-line block ×4, first 2 shown]
	global_store_dwordx4 v[10:11], v[18:21], off offset:-16
	global_store_dwordx4 v[10:11], v[14:17], off
	global_store_dwordx2 v[10:11], v[22:23], off offset:16
	s_waitcnt vmcnt(4)
	global_store_dword v[2:3], v24, off
	v_add_co_u32_e32 v2, vcc, s8, v2
	v_addc_co_u32_e32 v3, vcc, 0, v3, vcc
	v_add_co_u32_e32 v4, vcc, s9, v4
	v_addc_co_u32_e32 v5, vcc, 0, v5, vcc
	;; [unrolled: 2-line block ×3, first 2 shown]
	v_add_co_u32_e32 v10, vcc, 0x500, v10
	v_cmp_le_i64_e64 s[2:3], s[10:11], v[0:1]
	s_or_b64 s[4:5], s[2:3], s[4:5]
	v_addc_co_u32_e32 v11, vcc, 0, v11, vcc
	s_andn2_b64 exec, exec, s[4:5]
	s_cbranch_execnz .LBB43_5
.LBB43_6:
	s_endpgm
	.section	.rodata,"a",@progbits
	.p2align	6, 0x0
	.amdhsa_kernel _ZN9rocsparseL32bsr2csr_block_per_row_2_7_kernelILj256ELj5EillEEv20rocsparse_direction_T3_S2_21rocsparse_index_base_PKT1_PKT2_PKS2_S2_S3_PS4_PS7_PS2_
		.amdhsa_group_segment_fixed_size 0
		.amdhsa_private_segment_fixed_size 0
		.amdhsa_kernarg_size 96
		.amdhsa_user_sgpr_count 6
		.amdhsa_user_sgpr_private_segment_buffer 1
		.amdhsa_user_sgpr_dispatch_ptr 0
		.amdhsa_user_sgpr_queue_ptr 0
		.amdhsa_user_sgpr_kernarg_segment_ptr 1
		.amdhsa_user_sgpr_dispatch_id 0
		.amdhsa_user_sgpr_flat_scratch_init 0
		.amdhsa_user_sgpr_kernarg_preload_length 0
		.amdhsa_user_sgpr_kernarg_preload_offset 0
		.amdhsa_user_sgpr_private_segment_size 0
		.amdhsa_uses_dynamic_stack 0
		.amdhsa_system_sgpr_private_segment_wavefront_offset 0
		.amdhsa_system_sgpr_workgroup_id_x 1
		.amdhsa_system_sgpr_workgroup_id_y 0
		.amdhsa_system_sgpr_workgroup_id_z 0
		.amdhsa_system_sgpr_workgroup_info 0
		.amdhsa_system_vgpr_workitem_id 0
		.amdhsa_next_free_vgpr 27
		.amdhsa_next_free_sgpr 22
		.amdhsa_accum_offset 28
		.amdhsa_reserve_vcc 1
		.amdhsa_reserve_flat_scratch 0
		.amdhsa_float_round_mode_32 0
		.amdhsa_float_round_mode_16_64 0
		.amdhsa_float_denorm_mode_32 3
		.amdhsa_float_denorm_mode_16_64 3
		.amdhsa_dx10_clamp 1
		.amdhsa_ieee_mode 1
		.amdhsa_fp16_overflow 0
		.amdhsa_tg_split 0
		.amdhsa_exception_fp_ieee_invalid_op 0
		.amdhsa_exception_fp_denorm_src 0
		.amdhsa_exception_fp_ieee_div_zero 0
		.amdhsa_exception_fp_ieee_overflow 0
		.amdhsa_exception_fp_ieee_underflow 0
		.amdhsa_exception_fp_ieee_inexact 0
		.amdhsa_exception_int_div_zero 0
	.end_amdhsa_kernel
	.section	.text._ZN9rocsparseL32bsr2csr_block_per_row_2_7_kernelILj256ELj5EillEEv20rocsparse_direction_T3_S2_21rocsparse_index_base_PKT1_PKT2_PKS2_S2_S3_PS4_PS7_PS2_,"axG",@progbits,_ZN9rocsparseL32bsr2csr_block_per_row_2_7_kernelILj256ELj5EillEEv20rocsparse_direction_T3_S2_21rocsparse_index_base_PKT1_PKT2_PKS2_S2_S3_PS4_PS7_PS2_,comdat
.Lfunc_end43:
	.size	_ZN9rocsparseL32bsr2csr_block_per_row_2_7_kernelILj256ELj5EillEEv20rocsparse_direction_T3_S2_21rocsparse_index_base_PKT1_PKT2_PKS2_S2_S3_PS4_PS7_PS2_, .Lfunc_end43-_ZN9rocsparseL32bsr2csr_block_per_row_2_7_kernelILj256ELj5EillEEv20rocsparse_direction_T3_S2_21rocsparse_index_base_PKT1_PKT2_PKS2_S2_S3_PS4_PS7_PS2_
                                        ; -- End function
	.section	.AMDGPU.csdata,"",@progbits
; Kernel info:
; codeLenInByte = 944
; NumSgprs: 26
; NumVgprs: 27
; NumAgprs: 0
; TotalNumVgprs: 27
; ScratchSize: 0
; MemoryBound: 0
; FloatMode: 240
; IeeeMode: 1
; LDSByteSize: 0 bytes/workgroup (compile time only)
; SGPRBlocks: 3
; VGPRBlocks: 3
; NumSGPRsForWavesPerEU: 26
; NumVGPRsForWavesPerEU: 27
; AccumOffset: 28
; Occupancy: 8
; WaveLimiterHint : 0
; COMPUTE_PGM_RSRC2:SCRATCH_EN: 0
; COMPUTE_PGM_RSRC2:USER_SGPR: 6
; COMPUTE_PGM_RSRC2:TRAP_HANDLER: 0
; COMPUTE_PGM_RSRC2:TGID_X_EN: 1
; COMPUTE_PGM_RSRC2:TGID_Y_EN: 0
; COMPUTE_PGM_RSRC2:TGID_Z_EN: 0
; COMPUTE_PGM_RSRC2:TIDIG_COMP_CNT: 0
; COMPUTE_PGM_RSRC3_GFX90A:ACCUM_OFFSET: 6
; COMPUTE_PGM_RSRC3_GFX90A:TG_SPLIT: 0
	.section	.text._ZN9rocsparseL32bsr2csr_block_per_row_2_7_kernelILj256ELj6EillEEv20rocsparse_direction_T3_S2_21rocsparse_index_base_PKT1_PKT2_PKS2_S2_S3_PS4_PS7_PS2_,"axG",@progbits,_ZN9rocsparseL32bsr2csr_block_per_row_2_7_kernelILj256ELj6EillEEv20rocsparse_direction_T3_S2_21rocsparse_index_base_PKT1_PKT2_PKS2_S2_S3_PS4_PS7_PS2_,comdat
	.globl	_ZN9rocsparseL32bsr2csr_block_per_row_2_7_kernelILj256ELj6EillEEv20rocsparse_direction_T3_S2_21rocsparse_index_base_PKT1_PKT2_PKS2_S2_S3_PS4_PS7_PS2_ ; -- Begin function _ZN9rocsparseL32bsr2csr_block_per_row_2_7_kernelILj256ELj6EillEEv20rocsparse_direction_T3_S2_21rocsparse_index_base_PKT1_PKT2_PKS2_S2_S3_PS4_PS7_PS2_
	.p2align	8
	.type	_ZN9rocsparseL32bsr2csr_block_per_row_2_7_kernelILj256ELj6EillEEv20rocsparse_direction_T3_S2_21rocsparse_index_base_PKT1_PKT2_PKS2_S2_S3_PS4_PS7_PS2_,@function
_ZN9rocsparseL32bsr2csr_block_per_row_2_7_kernelILj256ELj6EillEEv20rocsparse_direction_T3_S2_21rocsparse_index_base_PKT1_PKT2_PKS2_S2_S3_PS4_PS7_PS2_: ; @_ZN9rocsparseL32bsr2csr_block_per_row_2_7_kernelILj256ELj6EillEEv20rocsparse_direction_T3_S2_21rocsparse_index_base_PKT1_PKT2_PKS2_S2_S3_PS4_PS7_PS2_
; %bb.0:
	s_load_dwordx2 s[2:3], s[4:5], 0x28
	s_load_dword s12, s[4:5], 0x40
	s_load_dwordx2 s[0:1], s[4:5], 0x50
	s_mov_b32 s7, 0
	s_lshl_b64 s[8:9], s[6:7], 3
	s_waitcnt lgkmcnt(0)
	s_add_u32 s2, s2, s8
	v_or_b32_e32 v1, s6, v0
	s_addc_u32 s3, s3, s9
	v_cmp_eq_u32_e32 vcc, 0, v1
	s_and_saveexec_b64 s[8:9], vcc
	s_cbranch_execz .LBB44_2
; %bb.1:
	v_mov_b32_e32 v2, s12
	v_mov_b32_e32 v3, 0
	global_store_dwordx2 v3, v[2:3], s[0:1]
.LBB44_2:
	s_or_b64 exec, exec, s[8:9]
	v_and_b32_e32 v6, 7, v0
	v_cmp_gt_u32_e32 vcc, 6, v6
	s_and_saveexec_b64 s[8:9], vcc
	s_cbranch_execz .LBB44_6
; %bb.3:
	s_load_dwordx4 s[8:11], s[2:3], 0x0
	s_load_dword s16, s[4:5], 0x18
	v_lshrrev_b32_e32 v8, 3, v0
	v_lshlrev_b32_e32 v3, 3, v6
	s_mov_b32 s2, 0
	v_mov_b32_e32 v7, 0
	s_waitcnt lgkmcnt(0)
	s_sub_u32 s7, s8, s16
	s_subb_u32 s17, s9, 0
	s_sub_u32 s10, s10, s16
	s_mul_i32 s3, s17, 36
	s_mul_hi_u32 s13, s7, 36
	s_subb_u32 s11, s11, 0
	s_add_i32 s15, s13, s3
	s_sub_u32 s3, s10, s7
	s_subb_u32 s13, s11, s17
	s_mul_i32 s13, s13, 6
	s_mul_hi_u32 s18, s3, 6
	s_add_i32 s18, s18, s13
	s_mul_i32 s3, s3, 6
	s_add_u32 s19, s3, s12
	s_mul_i32 s14, s7, 36
	v_mul_lo_u32 v2, s18, v6
	s_addc_u32 s18, s18, 0
	s_add_u32 s14, s19, s14
	s_addc_u32 s15, s18, s15
	v_pk_mov_b32 v[0:1], s[14:15], s[14:15] op_sel:[0,1]
	v_mad_u64_u32 v[0:1], s[14:15], s3, v6, v[0:1]
	s_mul_hi_u32 s14, s6, 48
	s_mul_i32 s6, s6, 48
	s_add_u32 s0, s0, s6
	v_add_u32_e32 v1, v2, v1
	s_addc_u32 s1, s1, s14
	global_store_dwordx2 v3, v[0:1], s[0:1] offset:8
	v_mov_b32_e32 v1, s17
	v_add_co_u32_e32 v0, vcc, s7, v8
	v_addc_co_u32_e32 v1, vcc, 0, v1, vcc
	v_cmp_gt_i64_e32 vcc, s[10:11], v[0:1]
	s_and_b64 exec, exec, vcc
	s_cbranch_execz .LBB44_6
; %bb.4:
	v_mad_u64_u32 v[10:11], s[0:1], s3, v6, 0
	v_add_u32_e32 v11, v11, v2
	v_mul_hi_u32_u24_e32 v3, 20, v6
	v_mul_u32_u24_e32 v2, 20, v6
	v_lshlrev_b32_e32 v6, 2, v6
	s_movk_i32 s3, 0x90
	s_load_dwordx2 s[6:7], s[4:5], 0x30
	s_load_dwordx2 s[14:15], s[4:5], 0x48
	;; [unrolled: 1-line block ×3, first 2 shown]
	s_load_dword s17, s[4:5], 0x0
	s_load_dwordx2 s[20:21], s[4:5], 0x58
	v_mad_u64_u32 v[6:7], s[4:5], v0, s3, v[6:7]
	v_mov_b32_e32 v12, v7
	v_lshlrev_b64 v[4:5], 3, v[0:1]
	v_mad_u64_u32 v[12:13], s[4:5], v1, s3, v[12:13]
	v_mad_u64_u32 v[10:11], s[4:5], s8, 36, v[10:11]
	s_waitcnt lgkmcnt(0)
	v_mov_b32_e32 v9, s7
	v_add_co_u32_e32 v4, vcc, s6, v4
	v_mov_b32_e32 v7, v12
	v_mov_b32_e32 v12, v11
	v_addc_co_u32_e32 v5, vcc, v9, v5, vcc
	v_mad_u64_u32 v[12:13], s[4:5], s9, 36, v[12:13]
	v_mov_b32_e32 v9, s19
	v_add_co_u32_e32 v6, vcc, s18, v6
	v_mov_b32_e32 v11, v12
	v_addc_co_u32_e32 v7, vcc, v9, v7, vcc
	v_mad_u64_u32 v[8:9], s[4:5], v8, 6, v[10:11]
	s_mul_hi_u32 s3, s16, 36
	s_mul_i32 s4, s16, 36
	v_mov_b32_e32 v11, s3
	v_subrev_co_u32_e32 v10, vcc, s4, v8
	v_subb_co_u32_e32 v11, vcc, v9, v11, vcc
	v_lshlrev_b64 v[8:9], 2, v[10:11]
	v_mov_b32_e32 v12, s15
	v_add_co_u32_e32 v8, vcc, s14, v8
	v_addc_co_u32_e32 v9, vcc, v9, v12, vcc
	v_add_co_u32_e32 v8, vcc, 8, v8
	v_addc_co_u32_e32 v9, vcc, 0, v9, vcc
	v_lshlrev_b64 v[10:11], 3, v[10:11]
	v_mov_b32_e32 v12, s21
	v_add_co_u32_e32 v10, vcc, s20, v10
	v_addc_co_u32_e32 v11, vcc, v11, v12, vcc
	s_cmp_eq_u32 s17, 0
	v_add_co_u32_e32 v10, vcc, 24, v10
	s_mov_b32 s13, s2
	s_cselect_b64 s[0:1], -1, 0
	v_addc_co_u32_e32 v11, vcc, 0, v11, vcc
	s_mov_b64 s[14:15], 0
	v_mov_b32_e32 v12, s2
	s_movk_i32 s17, 0x48
	s_movk_i32 s18, 0x60
	s_movk_i32 s19, 0x78
	s_movk_i32 s20, 0x100
	s_movk_i32 s21, 0x1200
.LBB44_5:                               ; =>This Inner Loop Header: Depth=1
	v_add_co_u32_e32 v13, vcc, v6, v2
	v_addc_co_u32_e32 v16, vcc, v7, v3, vcc
	v_add_co_u32_e32 v17, vcc, 24, v6
	v_addc_co_u32_e32 v20, vcc, 0, v7, vcc
	;; [unrolled: 2-line block ×10, first 2 shown]
	global_load_dwordx2 v[18:19], v[4:5], off
	v_cndmask_b32_e64 v14, v6, v13, s[0:1]
	v_add_co_u32_e32 v13, vcc, 20, v13
	v_cndmask_b32_e64 v15, v7, v16, s[0:1]
	v_addc_co_u32_e32 v16, vcc, 0, v16, vcc
	v_cndmask_b32_e64 v21, v20, v21, s[0:1]
	v_cndmask_b32_e64 v20, v17, v30, s[0:1]
	global_load_dword v14, v[14:15], off
	v_cndmask_b32_e64 v23, v23, v32, s[0:1]
	v_cndmask_b32_e64 v22, v22, v31, s[0:1]
	;; [unrolled: 1-line block ×8, first 2 shown]
	global_load_dword v15, v[20:21], off
	global_load_dword v16, v[22:23], off
	;; [unrolled: 1-line block ×5, first 2 shown]
	v_add_co_u32_e32 v0, vcc, 32, v0
	v_addc_co_u32_e32 v1, vcc, 0, v1, vcc
	v_add_co_u32_e32 v4, vcc, s20, v4
	v_addc_co_u32_e32 v5, vcc, 0, v5, vcc
	;; [unrolled: 2-line block ×3, first 2 shown]
	v_cmp_le_i64_e64 s[2:3], s[10:11], v[0:1]
	s_or_b64 s[14:15], s[2:3], s[14:15]
	s_waitcnt vmcnt(2)
	global_store_dwordx4 v[8:9], v[14:17], off offset:-8
	s_waitcnt vmcnt(1)
	global_store_dwordx2 v[8:9], v[30:31], off offset:8
	v_subrev_co_u32_e32 v13, vcc, s16, v18
	v_subb_co_u32_e32 v19, vcc, v19, v12, vcc
	v_mad_u64_u32 v[20:21], s[2:3], v13, 6, s[12:13]
	v_mov_b32_e32 v22, v21
	v_add_co_u32_e32 v8, vcc, 0x300, v8
	v_mad_u64_u32 v[22:23], s[2:3], v19, 6, v[22:23]
	v_addc_co_u32_e32 v9, vcc, 0, v9, vcc
	v_mov_b32_e32 v18, v20
	v_mov_b32_e32 v13, v22
	;; [unrolled: 1-line block ×3, first 2 shown]
	v_add_co_u32_e64 v14, s[2:3], 2, v20
	v_add_co_u32_e64 v16, s[4:5], 3, v20
	;; [unrolled: 1-line block ×4, first 2 shown]
	v_add_co_u32_e32 v20, vcc, 1, v20
	v_addc_co_u32_e32 v21, vcc, 0, v13, vcc
	v_addc_co_u32_e64 v15, vcc, 0, v13, s[2:3]
	v_addc_co_u32_e64 v17, vcc, 0, v13, s[4:5]
	v_addc_co_u32_e64 v23, vcc, 0, v13, s[6:7]
	v_addc_co_u32_e64 v25, vcc, 0, v13, s[8:9]
	global_store_dwordx4 v[10:11], v[18:21], off offset:-24
	global_store_dwordx4 v[10:11], v[14:17], off offset:-8
	global_store_dwordx4 v[10:11], v[22:25], off offset:8
	v_add_co_u32_e32 v10, vcc, 0x600, v10
	v_addc_co_u32_e32 v11, vcc, 0, v11, vcc
	s_andn2_b64 exec, exec, s[14:15]
	s_cbranch_execnz .LBB44_5
.LBB44_6:
	s_endpgm
	.section	.rodata,"a",@progbits
	.p2align	6, 0x0
	.amdhsa_kernel _ZN9rocsparseL32bsr2csr_block_per_row_2_7_kernelILj256ELj6EillEEv20rocsparse_direction_T3_S2_21rocsparse_index_base_PKT1_PKT2_PKS2_S2_S3_PS4_PS7_PS2_
		.amdhsa_group_segment_fixed_size 0
		.amdhsa_private_segment_fixed_size 0
		.amdhsa_kernarg_size 96
		.amdhsa_user_sgpr_count 6
		.amdhsa_user_sgpr_private_segment_buffer 1
		.amdhsa_user_sgpr_dispatch_ptr 0
		.amdhsa_user_sgpr_queue_ptr 0
		.amdhsa_user_sgpr_kernarg_segment_ptr 1
		.amdhsa_user_sgpr_dispatch_id 0
		.amdhsa_user_sgpr_flat_scratch_init 0
		.amdhsa_user_sgpr_kernarg_preload_length 0
		.amdhsa_user_sgpr_kernarg_preload_offset 0
		.amdhsa_user_sgpr_private_segment_size 0
		.amdhsa_uses_dynamic_stack 0
		.amdhsa_system_sgpr_private_segment_wavefront_offset 0
		.amdhsa_system_sgpr_workgroup_id_x 1
		.amdhsa_system_sgpr_workgroup_id_y 0
		.amdhsa_system_sgpr_workgroup_id_z 0
		.amdhsa_system_sgpr_workgroup_info 0
		.amdhsa_system_vgpr_workitem_id 0
		.amdhsa_next_free_vgpr 37
		.amdhsa_next_free_sgpr 22
		.amdhsa_accum_offset 40
		.amdhsa_reserve_vcc 1
		.amdhsa_reserve_flat_scratch 0
		.amdhsa_float_round_mode_32 0
		.amdhsa_float_round_mode_16_64 0
		.amdhsa_float_denorm_mode_32 3
		.amdhsa_float_denorm_mode_16_64 3
		.amdhsa_dx10_clamp 1
		.amdhsa_ieee_mode 1
		.amdhsa_fp16_overflow 0
		.amdhsa_tg_split 0
		.amdhsa_exception_fp_ieee_invalid_op 0
		.amdhsa_exception_fp_denorm_src 0
		.amdhsa_exception_fp_ieee_div_zero 0
		.amdhsa_exception_fp_ieee_overflow 0
		.amdhsa_exception_fp_ieee_underflow 0
		.amdhsa_exception_fp_ieee_inexact 0
		.amdhsa_exception_int_div_zero 0
	.end_amdhsa_kernel
	.section	.text._ZN9rocsparseL32bsr2csr_block_per_row_2_7_kernelILj256ELj6EillEEv20rocsparse_direction_T3_S2_21rocsparse_index_base_PKT1_PKT2_PKS2_S2_S3_PS4_PS7_PS2_,"axG",@progbits,_ZN9rocsparseL32bsr2csr_block_per_row_2_7_kernelILj256ELj6EillEEv20rocsparse_direction_T3_S2_21rocsparse_index_base_PKT1_PKT2_PKS2_S2_S3_PS4_PS7_PS2_,comdat
.Lfunc_end44:
	.size	_ZN9rocsparseL32bsr2csr_block_per_row_2_7_kernelILj256ELj6EillEEv20rocsparse_direction_T3_S2_21rocsparse_index_base_PKT1_PKT2_PKS2_S2_S3_PS4_PS7_PS2_, .Lfunc_end44-_ZN9rocsparseL32bsr2csr_block_per_row_2_7_kernelILj256ELj6EillEEv20rocsparse_direction_T3_S2_21rocsparse_index_base_PKT1_PKT2_PKS2_S2_S3_PS4_PS7_PS2_
                                        ; -- End function
	.section	.AMDGPU.csdata,"",@progbits
; Kernel info:
; codeLenInByte = 1028
; NumSgprs: 26
; NumVgprs: 37
; NumAgprs: 0
; TotalNumVgprs: 37
; ScratchSize: 0
; MemoryBound: 0
; FloatMode: 240
; IeeeMode: 1
; LDSByteSize: 0 bytes/workgroup (compile time only)
; SGPRBlocks: 3
; VGPRBlocks: 4
; NumSGPRsForWavesPerEU: 26
; NumVGPRsForWavesPerEU: 37
; AccumOffset: 40
; Occupancy: 8
; WaveLimiterHint : 0
; COMPUTE_PGM_RSRC2:SCRATCH_EN: 0
; COMPUTE_PGM_RSRC2:USER_SGPR: 6
; COMPUTE_PGM_RSRC2:TRAP_HANDLER: 0
; COMPUTE_PGM_RSRC2:TGID_X_EN: 1
; COMPUTE_PGM_RSRC2:TGID_Y_EN: 0
; COMPUTE_PGM_RSRC2:TGID_Z_EN: 0
; COMPUTE_PGM_RSRC2:TIDIG_COMP_CNT: 0
; COMPUTE_PGM_RSRC3_GFX90A:ACCUM_OFFSET: 9
; COMPUTE_PGM_RSRC3_GFX90A:TG_SPLIT: 0
	.section	.text._ZN9rocsparseL32bsr2csr_block_per_row_2_7_kernelILj256ELj7EillEEv20rocsparse_direction_T3_S2_21rocsparse_index_base_PKT1_PKT2_PKS2_S2_S3_PS4_PS7_PS2_,"axG",@progbits,_ZN9rocsparseL32bsr2csr_block_per_row_2_7_kernelILj256ELj7EillEEv20rocsparse_direction_T3_S2_21rocsparse_index_base_PKT1_PKT2_PKS2_S2_S3_PS4_PS7_PS2_,comdat
	.globl	_ZN9rocsparseL32bsr2csr_block_per_row_2_7_kernelILj256ELj7EillEEv20rocsparse_direction_T3_S2_21rocsparse_index_base_PKT1_PKT2_PKS2_S2_S3_PS4_PS7_PS2_ ; -- Begin function _ZN9rocsparseL32bsr2csr_block_per_row_2_7_kernelILj256ELj7EillEEv20rocsparse_direction_T3_S2_21rocsparse_index_base_PKT1_PKT2_PKS2_S2_S3_PS4_PS7_PS2_
	.p2align	8
	.type	_ZN9rocsparseL32bsr2csr_block_per_row_2_7_kernelILj256ELj7EillEEv20rocsparse_direction_T3_S2_21rocsparse_index_base_PKT1_PKT2_PKS2_S2_S3_PS4_PS7_PS2_,@function
_ZN9rocsparseL32bsr2csr_block_per_row_2_7_kernelILj256ELj7EillEEv20rocsparse_direction_T3_S2_21rocsparse_index_base_PKT1_PKT2_PKS2_S2_S3_PS4_PS7_PS2_: ; @_ZN9rocsparseL32bsr2csr_block_per_row_2_7_kernelILj256ELj7EillEEv20rocsparse_direction_T3_S2_21rocsparse_index_base_PKT1_PKT2_PKS2_S2_S3_PS4_PS7_PS2_
; %bb.0:
	s_load_dwordx2 s[2:3], s[4:5], 0x28
	s_load_dword s12, s[4:5], 0x40
	s_load_dwordx2 s[0:1], s[4:5], 0x50
	s_mov_b32 s7, 0
	s_lshl_b64 s[8:9], s[6:7], 3
	s_waitcnt lgkmcnt(0)
	s_add_u32 s2, s2, s8
	v_or_b32_e32 v1, s6, v0
	s_addc_u32 s3, s3, s9
	v_cmp_eq_u32_e32 vcc, 0, v1
	s_and_saveexec_b64 s[8:9], vcc
	s_cbranch_execz .LBB45_2
; %bb.1:
	v_mov_b32_e32 v2, s12
	v_mov_b32_e32 v3, 0
	global_store_dwordx2 v3, v[2:3], s[0:1]
.LBB45_2:
	s_or_b64 exec, exec, s[8:9]
	v_and_b32_e32 v8, 7, v0
	v_cmp_ne_u32_e32 vcc, 7, v8
	s_and_saveexec_b64 s[8:9], vcc
	s_cbranch_execz .LBB45_6
; %bb.3:
	s_load_dwordx4 s[8:11], s[2:3], 0x0
	s_load_dword s7, s[4:5], 0x18
	v_lshrrev_b32_e32 v4, 3, v0
	v_lshlrev_b32_e32 v3, 3, v8
	s_mov_b32 s2, 0
	v_mov_b32_e32 v9, 0
	s_waitcnt lgkmcnt(0)
	s_sub_u32 s16, s8, s7
	s_subb_u32 s17, s9, 0
	s_sub_u32 s10, s10, s7
	s_mul_i32 s3, s17, 49
	s_mul_hi_u32 s13, s16, 49
	s_subb_u32 s11, s11, 0
	s_add_i32 s15, s13, s3
	s_sub_u32 s3, s10, s16
	s_subb_u32 s13, s11, s17
	s_mul_i32 s13, s13, 7
	s_mul_hi_u32 s18, s3, 7
	s_add_i32 s18, s18, s13
	s_mul_i32 s3, s3, 7
	s_add_u32 s19, s3, s12
	s_mul_i32 s14, s16, 49
	v_mul_lo_u32 v2, s18, v8
	s_addc_u32 s18, s18, 0
	s_add_u32 s14, s19, s14
	s_addc_u32 s15, s18, s15
	v_pk_mov_b32 v[0:1], s[14:15], s[14:15] op_sel:[0,1]
	v_mad_u64_u32 v[0:1], s[14:15], s3, v8, v[0:1]
	s_mul_hi_u32 s14, s6, 56
	s_mul_i32 s6, s6, 56
	s_add_u32 s0, s0, s6
	v_add_u32_e32 v1, v2, v1
	s_addc_u32 s1, s1, s14
	global_store_dwordx2 v3, v[0:1], s[0:1] offset:8
	v_mov_b32_e32 v1, s17
	v_add_co_u32_e32 v0, vcc, s16, v4
	v_addc_co_u32_e32 v1, vcc, 0, v1, vcc
	v_cmp_gt_i64_e32 vcc, s[10:11], v[0:1]
	s_and_b64 exec, exec, vcc
	s_cbranch_execz .LBB45_6
; %bb.4:
	v_mad_u64_u32 v[6:7], s[0:1], s3, v8, 0
	v_add_u32_e32 v7, v7, v2
	s_load_dwordx2 s[14:15], s[4:5], 0x30
	s_load_dwordx2 s[16:17], s[4:5], 0x48
	;; [unrolled: 1-line block ×3, first 2 shown]
	s_load_dword s6, s[4:5], 0x0
	s_load_dwordx2 s[20:21], s[4:5], 0x58
	v_mad_u64_u32 v[6:7], s[4:5], s8, 49, v[6:7]
	v_mov_b32_e32 v10, v7
	v_mad_u64_u32 v[10:11], s[4:5], s9, 49, v[10:11]
	v_mov_b32_e32 v7, v10
	v_mad_u64_u32 v[4:5], s[4:5], v4, 7, v[6:7]
	s_mul_hi_u32 s3, s7, 49
	s_mul_i32 s4, s7, 49
	v_mov_b32_e32 v6, s3
	v_subrev_co_u32_e32 v10, vcc, s4, v4
	v_subb_co_u32_e32 v11, vcc, v5, v6, vcc
	v_lshlrev_b64 v[4:5], 2, v[10:11]
	s_waitcnt lgkmcnt(0)
	v_mov_b32_e32 v6, s17
	v_add_co_u32_e32 v4, vcc, s16, v4
	v_addc_co_u32_e32 v5, vcc, v5, v6, vcc
	v_add_co_u32_e32 v4, vcc, 24, v4
	v_mul_hi_u32_u24_e32 v3, 24, v8
	v_mul_u32_u24_e32 v2, 24, v8
	v_addc_co_u32_e32 v5, vcc, 0, v5, vcc
	v_lshlrev_b64 v[6:7], 3, v[0:1]
	v_lshlrev_b32_e32 v8, 2, v8
	s_movk_i32 s3, 0xc4
	v_mov_b32_e32 v12, s15
	v_add_co_u32_e32 v6, vcc, s14, v6
	v_mad_u64_u32 v[8:9], s[4:5], v0, s3, v[8:9]
	v_addc_co_u32_e32 v7, vcc, v12, v7, vcc
	v_mov_b32_e32 v12, v9
	v_mad_u64_u32 v[12:13], s[4:5], v1, s3, v[12:13]
	v_mov_b32_e32 v9, v12
	v_mov_b32_e32 v12, s19
	v_add_co_u32_e32 v8, vcc, s18, v8
	v_addc_co_u32_e32 v9, vcc, v12, v9, vcc
	v_lshlrev_b64 v[10:11], 3, v[10:11]
	v_mov_b32_e32 v12, s21
	v_add_co_u32_e32 v10, vcc, s20, v10
	v_addc_co_u32_e32 v11, vcc, v11, v12, vcc
	s_cmp_eq_u32 s6, 0
	v_add_co_u32_e32 v10, vcc, 24, v10
	s_mov_b32 s13, s2
	s_cselect_b64 s[0:1], -1, 0
	v_addc_co_u32_e32 v11, vcc, 0, v11, vcc
	s_mov_b64 s[4:5], 0
	v_mov_b32_e32 v12, s2
	s_movk_i32 s6, 0x54
	s_movk_i32 s8, 0x70
	;; [unrolled: 1-line block ×6, first 2 shown]
.LBB45_5:                               ; =>This Inner Loop Header: Depth=1
	v_add_co_u32_e32 v13, vcc, v8, v2
	v_addc_co_u32_e32 v24, vcc, v9, v3, vcc
	v_cndmask_b32_e64 v15, v9, v24, s[0:1]
	v_cndmask_b32_e64 v14, v8, v13, s[0:1]
	global_load_dword v14, v[14:15], off
	v_add_co_u32_e32 v15, vcc, 4, v13
	v_addc_co_u32_e32 v16, vcc, 0, v24, vcc
	v_add_co_u32_e32 v20, vcc, 28, v8
	v_addc_co_u32_e32 v17, vcc, 0, v9, vcc
	v_cndmask_b32_e64 v17, v17, v16, s[0:1]
	v_cndmask_b32_e64 v16, v20, v15, s[0:1]
	global_load_dword v15, v[16:17], off
	v_add_co_u32_e32 v16, vcc, 8, v13
	v_addc_co_u32_e32 v17, vcc, 0, v24, vcc
	v_add_co_u32_e32 v20, vcc, 56, v8
	v_addc_co_u32_e32 v21, vcc, 0, v9, vcc
	v_cndmask_b32_e64 v17, v21, v17, s[0:1]
	v_cndmask_b32_e64 v16, v20, v16, s[0:1]
	global_load_dwordx2 v[18:19], v[6:7], off
	s_nop 0
	global_load_dword v16, v[16:17], off
	v_add_co_u32_e32 v17, vcc, 12, v13
	v_addc_co_u32_e32 v20, vcc, 0, v24, vcc
	v_add_co_u32_e32 v22, vcc, s6, v8
	v_addc_co_u32_e32 v21, vcc, 0, v9, vcc
	v_cndmask_b32_e64 v21, v21, v20, s[0:1]
	v_cndmask_b32_e64 v20, v22, v17, s[0:1]
	global_load_dword v17, v[20:21], off
	v_add_co_u32_e32 v20, vcc, 16, v13
	v_addc_co_u32_e32 v21, vcc, 0, v24, vcc
	v_add_co_u32_e32 v22, vcc, s8, v8
	v_addc_co_u32_e32 v23, vcc, 0, v9, vcc
	v_cndmask_b32_e64 v21, v23, v21, s[0:1]
	v_cndmask_b32_e64 v20, v22, v20, s[0:1]
	global_load_dword v22, v[20:21], off
	v_add_co_u32_e32 v20, vcc, 20, v13
	v_addc_co_u32_e32 v21, vcc, 0, v24, vcc
	v_add_co_u32_e32 v23, vcc, s9, v8
	v_addc_co_u32_e32 v25, vcc, 0, v9, vcc
	v_cndmask_b32_e64 v21, v25, v21, s[0:1]
	v_cndmask_b32_e64 v20, v23, v20, s[0:1]
	v_add_co_u32_e32 v13, vcc, 24, v13
	global_load_dword v23, v[20:21], off
	v_addc_co_u32_e32 v20, vcc, 0, v24, vcc
	v_add_co_u32_e32 v24, vcc, s14, v8
	v_addc_co_u32_e32 v21, vcc, 0, v9, vcc
	v_cndmask_b32_e64 v21, v21, v20, s[0:1]
	v_cndmask_b32_e64 v20, v24, v13, s[0:1]
	global_load_dword v24, v[20:21], off
	s_waitcnt vmcnt(5)
	v_subrev_co_u32_e32 v13, vcc, s7, v18
	v_mad_u64_u32 v[26:27], s[2:3], v13, 7, s[12:13]
	v_subb_co_u32_e32 v19, vcc, v19, v12, vcc
	v_mov_b32_e32 v18, v27
	v_mad_u64_u32 v[28:29], s[2:3], v19, 7, v[18:19]
	v_mov_b32_e32 v13, v28
	v_add_co_u32_e32 v20, vcc, 1, v26
	v_addc_co_u32_e32 v21, vcc, 0, v13, vcc
	v_mov_b32_e32 v18, v26
	v_mov_b32_e32 v19, v28
	global_store_dwordx4 v[10:11], v[18:21], off offset:-24
	s_nop 0
	v_add_co_u32_e32 v18, vcc, 2, v26
	v_addc_co_u32_e32 v19, vcc, 0, v13, vcc
	v_add_co_u32_e32 v20, vcc, 3, v26
	v_addc_co_u32_e32 v21, vcc, 0, v13, vcc
	global_store_dwordx4 v[10:11], v[18:21], off offset:-8
	s_waitcnt vmcnt(5)
	global_store_dwordx4 v[4:5], v[14:17], off offset:-24
	s_nop 0
	v_add_co_u32_e32 v14, vcc, 4, v26
	v_addc_co_u32_e32 v15, vcc, 0, v13, vcc
	v_add_co_u32_e32 v16, vcc, 5, v26
	v_addc_co_u32_e32 v17, vcc, 0, v13, vcc
	global_store_dwordx4 v[10:11], v[14:17], off offset:8
	s_nop 0
	v_add_co_u32_e32 v14, vcc, 6, v26
	v_addc_co_u32_e32 v15, vcc, 0, v13, vcc
	v_add_co_u32_e32 v0, vcc, 32, v0
	v_addc_co_u32_e32 v1, vcc, 0, v1, vcc
	global_store_dwordx2 v[10:11], v[14:15], off offset:24
	s_waitcnt vmcnt(5)
	global_store_dwordx3 v[4:5], v[22:24], off offset:-8
	v_add_co_u32_e32 v4, vcc, s15, v4
	v_addc_co_u32_e32 v5, vcc, 0, v5, vcc
	v_add_co_u32_e32 v6, vcc, s16, v6
	v_addc_co_u32_e32 v7, vcc, 0, v7, vcc
	;; [unrolled: 2-line block ×3, first 2 shown]
	v_add_co_u32_e32 v10, vcc, 0x700, v10
	v_cmp_le_i64_e64 s[2:3], s[10:11], v[0:1]
	s_or_b64 s[4:5], s[2:3], s[4:5]
	v_addc_co_u32_e32 v11, vcc, 0, v11, vcc
	s_andn2_b64 exec, exec, s[4:5]
	s_cbranch_execnz .LBB45_5
.LBB45_6:
	s_endpgm
	.section	.rodata,"a",@progbits
	.p2align	6, 0x0
	.amdhsa_kernel _ZN9rocsparseL32bsr2csr_block_per_row_2_7_kernelILj256ELj7EillEEv20rocsparse_direction_T3_S2_21rocsparse_index_base_PKT1_PKT2_PKS2_S2_S3_PS4_PS7_PS2_
		.amdhsa_group_segment_fixed_size 0
		.amdhsa_private_segment_fixed_size 0
		.amdhsa_kernarg_size 96
		.amdhsa_user_sgpr_count 6
		.amdhsa_user_sgpr_private_segment_buffer 1
		.amdhsa_user_sgpr_dispatch_ptr 0
		.amdhsa_user_sgpr_queue_ptr 0
		.amdhsa_user_sgpr_kernarg_segment_ptr 1
		.amdhsa_user_sgpr_dispatch_id 0
		.amdhsa_user_sgpr_flat_scratch_init 0
		.amdhsa_user_sgpr_kernarg_preload_length 0
		.amdhsa_user_sgpr_kernarg_preload_offset 0
		.amdhsa_user_sgpr_private_segment_size 0
		.amdhsa_uses_dynamic_stack 0
		.amdhsa_system_sgpr_private_segment_wavefront_offset 0
		.amdhsa_system_sgpr_workgroup_id_x 1
		.amdhsa_system_sgpr_workgroup_id_y 0
		.amdhsa_system_sgpr_workgroup_id_z 0
		.amdhsa_system_sgpr_workgroup_info 0
		.amdhsa_system_vgpr_workitem_id 0
		.amdhsa_next_free_vgpr 30
		.amdhsa_next_free_sgpr 22
		.amdhsa_accum_offset 32
		.amdhsa_reserve_vcc 1
		.amdhsa_reserve_flat_scratch 0
		.amdhsa_float_round_mode_32 0
		.amdhsa_float_round_mode_16_64 0
		.amdhsa_float_denorm_mode_32 3
		.amdhsa_float_denorm_mode_16_64 3
		.amdhsa_dx10_clamp 1
		.amdhsa_ieee_mode 1
		.amdhsa_fp16_overflow 0
		.amdhsa_tg_split 0
		.amdhsa_exception_fp_ieee_invalid_op 0
		.amdhsa_exception_fp_denorm_src 0
		.amdhsa_exception_fp_ieee_div_zero 0
		.amdhsa_exception_fp_ieee_overflow 0
		.amdhsa_exception_fp_ieee_underflow 0
		.amdhsa_exception_fp_ieee_inexact 0
		.amdhsa_exception_int_div_zero 0
	.end_amdhsa_kernel
	.section	.text._ZN9rocsparseL32bsr2csr_block_per_row_2_7_kernelILj256ELj7EillEEv20rocsparse_direction_T3_S2_21rocsparse_index_base_PKT1_PKT2_PKS2_S2_S3_PS4_PS7_PS2_,"axG",@progbits,_ZN9rocsparseL32bsr2csr_block_per_row_2_7_kernelILj256ELj7EillEEv20rocsparse_direction_T3_S2_21rocsparse_index_base_PKT1_PKT2_PKS2_S2_S3_PS4_PS7_PS2_,comdat
.Lfunc_end45:
	.size	_ZN9rocsparseL32bsr2csr_block_per_row_2_7_kernelILj256ELj7EillEEv20rocsparse_direction_T3_S2_21rocsparse_index_base_PKT1_PKT2_PKS2_S2_S3_PS4_PS7_PS2_, .Lfunc_end45-_ZN9rocsparseL32bsr2csr_block_per_row_2_7_kernelILj256ELj7EillEEv20rocsparse_direction_T3_S2_21rocsparse_index_base_PKT1_PKT2_PKS2_S2_S3_PS4_PS7_PS2_
                                        ; -- End function
	.section	.AMDGPU.csdata,"",@progbits
; Kernel info:
; codeLenInByte = 1076
; NumSgprs: 26
; NumVgprs: 30
; NumAgprs: 0
; TotalNumVgprs: 30
; ScratchSize: 0
; MemoryBound: 0
; FloatMode: 240
; IeeeMode: 1
; LDSByteSize: 0 bytes/workgroup (compile time only)
; SGPRBlocks: 3
; VGPRBlocks: 3
; NumSGPRsForWavesPerEU: 26
; NumVGPRsForWavesPerEU: 30
; AccumOffset: 32
; Occupancy: 8
; WaveLimiterHint : 0
; COMPUTE_PGM_RSRC2:SCRATCH_EN: 0
; COMPUTE_PGM_RSRC2:USER_SGPR: 6
; COMPUTE_PGM_RSRC2:TRAP_HANDLER: 0
; COMPUTE_PGM_RSRC2:TGID_X_EN: 1
; COMPUTE_PGM_RSRC2:TGID_Y_EN: 0
; COMPUTE_PGM_RSRC2:TGID_Z_EN: 0
; COMPUTE_PGM_RSRC2:TIDIG_COMP_CNT: 0
; COMPUTE_PGM_RSRC3_GFX90A:ACCUM_OFFSET: 7
; COMPUTE_PGM_RSRC3_GFX90A:TG_SPLIT: 0
	.section	.text._ZN9rocsparseL33bsr2csr_block_per_row_8_32_kernelILj1024ELj8EillEEv20rocsparse_direction_T3_S2_21rocsparse_index_base_PKT1_PKT2_PKS2_S2_S3_PS4_PS7_PS2_,"axG",@progbits,_ZN9rocsparseL33bsr2csr_block_per_row_8_32_kernelILj1024ELj8EillEEv20rocsparse_direction_T3_S2_21rocsparse_index_base_PKT1_PKT2_PKS2_S2_S3_PS4_PS7_PS2_,comdat
	.globl	_ZN9rocsparseL33bsr2csr_block_per_row_8_32_kernelILj1024ELj8EillEEv20rocsparse_direction_T3_S2_21rocsparse_index_base_PKT1_PKT2_PKS2_S2_S3_PS4_PS7_PS2_ ; -- Begin function _ZN9rocsparseL33bsr2csr_block_per_row_8_32_kernelILj1024ELj8EillEEv20rocsparse_direction_T3_S2_21rocsparse_index_base_PKT1_PKT2_PKS2_S2_S3_PS4_PS7_PS2_
	.p2align	8
	.type	_ZN9rocsparseL33bsr2csr_block_per_row_8_32_kernelILj1024ELj8EillEEv20rocsparse_direction_T3_S2_21rocsparse_index_base_PKT1_PKT2_PKS2_S2_S3_PS4_PS7_PS2_,@function
_ZN9rocsparseL33bsr2csr_block_per_row_8_32_kernelILj1024ELj8EillEEv20rocsparse_direction_T3_S2_21rocsparse_index_base_PKT1_PKT2_PKS2_S2_S3_PS4_PS7_PS2_: ; @_ZN9rocsparseL33bsr2csr_block_per_row_8_32_kernelILj1024ELj8EillEEv20rocsparse_direction_T3_S2_21rocsparse_index_base_PKT1_PKT2_PKS2_S2_S3_PS4_PS7_PS2_
; %bb.0:
	s_load_dwordx2 s[0:1], s[4:5], 0x28
	s_load_dword s12, s[4:5], 0x40
	s_load_dwordx2 s[10:11], s[4:5], 0x50
	s_mov_b32 s14, 0
	s_mov_b32 s7, s14
	s_lshl_b64 s[2:3], s[6:7], 3
	s_waitcnt lgkmcnt(0)
	s_add_u32 s8, s0, s2
	v_or_b32_e32 v1, s6, v0
	s_addc_u32 s9, s1, s3
	v_cmp_eq_u32_e32 vcc, 0, v1
	s_and_saveexec_b64 s[0:1], vcc
	s_cbranch_execz .LBB46_2
; %bb.1:
	v_mov_b32_e32 v2, s12
	v_mov_b32_e32 v3, 0
	global_store_dwordx2 v3, v[2:3], s[10:11]
.LBB46_2:
	s_or_b64 exec, exec, s[0:1]
	s_load_dwordx2 s[2:3], s[4:5], 0x38
	v_mov_b32_e32 v3, 0
	v_and_b32_e32 v2, 7, v0
	v_bfe_u32 v6, v0, 3, 3
	v_mov_b32_e32 v7, v3
	s_waitcnt lgkmcnt(0)
	v_cmp_gt_i64_e32 vcc, s[2:3], v[6:7]
	v_cmp_gt_i64_e64 s[0:1], s[2:3], v[2:3]
	s_and_b64 s[0:1], vcc, s[0:1]
	s_and_saveexec_b64 s[16:17], s[0:1]
	s_cbranch_execz .LBB46_6
; %bb.3:
	s_load_dwordx4 s[16:19], s[8:9], 0x0
	s_load_dword s15, s[4:5], 0x18
	s_mul_i32 s0, s2, s3
	s_mul_hi_u32 s1, s2, s2
	v_lshrrev_b32_e32 v8, 6, v0
	v_mov_b32_e32 v9, v3
	s_waitcnt lgkmcnt(0)
	s_sub_u32 s13, s16, s15
	s_subb_u32 s16, s17, 0
	s_sub_u32 s8, s18, s15
	s_subb_u32 s9, s19, 0
	s_add_i32 s1, s1, s0
	s_add_i32 s1, s1, s0
	s_mul_i32 s0, s2, s2
	s_mul_i32 s7, s13, s1
	s_mul_hi_u32 s17, s13, s0
	s_add_i32 s7, s17, s7
	s_mul_i32 s17, s16, s0
	s_add_i32 s7, s7, s17
	s_sub_u32 s18, s8, s13
	s_subb_u32 s17, s9, s16
	s_mul_i32 s19, s18, s3
	s_mul_hi_u32 s21, s18, s2
	s_add_i32 s19, s21, s19
	s_mul_i32 s21, s17, s2
	s_add_i32 s22, s19, s21
	s_mul_i32 s23, s18, s2
	s_add_u32 s21, s23, s12
	s_mul_i32 s20, s13, s0
	s_addc_u32 s24, s22, 0
	s_add_u32 s20, s21, s20
	s_addc_u32 s21, s24, s7
	v_pk_mov_b32 v[0:1], s[20:21], s[20:21] op_sel:[0,1]
	v_mad_u64_u32 v[0:1], s[20:21], s23, v6, v[0:1]
	v_mov_b32_e32 v4, v1
	v_mad_u64_u32 v[4:5], s[20:21], s22, v6, v[4:5]
	s_mul_i32 s7, s6, s3
	s_mul_hi_u32 s20, s6, s2
	s_add_i32 s7, s20, s7
	s_mul_i32 s6, s6, s2
	s_lshl_b64 s[6:7], s[6:7], 3
	s_add_u32 s6, s10, s6
	v_mov_b32_e32 v1, v4
	s_addc_u32 s7, s11, s7
	v_lshlrev_b32_e32 v3, 3, v6
	global_store_dwordx2 v3, v[0:1], s[6:7] offset:8
	v_mov_b32_e32 v1, s16
	v_add_co_u32_e32 v0, vcc, s13, v8
	v_addc_co_u32_e32 v1, vcc, 0, v1, vcc
	v_cmp_gt_i64_e32 vcc, s[8:9], v[0:1]
	s_and_b64 exec, exec, vcc
	s_cbranch_execz .LBB46_6
; %bb.4:
	s_load_dwordx2 s[6:7], s[4:5], 0x30
	s_load_dwordx2 s[10:11], s[4:5], 0x48
	;; [unrolled: 1-line block ×4, first 2 shown]
	s_load_dword s24, s[4:5], 0x0
	v_mad_u64_u32 v[10:11], s[4:5], v2, s2, 0
	v_mov_b32_e32 v12, v11
	v_mad_u64_u32 v[12:13], s[4:5], v2, s3, v[12:13]
	v_mov_b32_e32 v3, s14
	v_add_co_u32_e32 v4, vcc, s12, v2
	v_mov_b32_e32 v11, v12
	v_addc_co_u32_e32 v5, vcc, 0, v3, vcc
	v_lshlrev_b64 v[10:11], 2, v[10:11]
	s_waitcnt lgkmcnt(0)
	v_mov_b32_e32 v3, s23
	v_add_co_u32_e32 v7, vcc, s22, v10
	v_addc_co_u32_e32 v10, vcc, v3, v11, vcc
	v_lshlrev_b32_e32 v11, 2, v6
	v_add_co_u32_e32 v7, vcc, v7, v11
	v_addc_co_u32_e32 v14, vcc, 0, v10, vcc
	v_mad_u64_u32 v[10:11], s[4:5], v6, s2, 0
	v_mov_b32_e32 v12, v11
	v_mad_u64_u32 v[12:13], s[4:5], v6, s3, v[12:13]
	v_mov_b32_e32 v11, v12
	v_lshlrev_b64 v[10:11], 2, v[10:11]
	v_add_co_u32_e32 v10, vcc, s22, v10
	v_addc_co_u32_e32 v3, vcc, v3, v11, vcc
	v_lshlrev_b32_e32 v13, 2, v2
	v_add_co_u32_e32 v10, vcc, v10, v13
	s_cmp_eq_u32 s24, 0
	v_addc_co_u32_e32 v3, vcc, 0, v3, vcc
	s_cselect_b64 vcc, -1, 0
	v_cndmask_b32_e32 v3, v14, v3, vcc
	v_cndmask_b32_e32 v7, v7, v10, vcc
	v_mul_lo_u32 v12, s1, v0
	v_mul_lo_u32 v14, s0, v1
	v_mad_u64_u32 v[10:11], s[4:5], s0, v0, 0
	v_add3_u32 v11, v11, v14, v12
	v_lshlrev_b64 v[10:11], 2, v[10:11]
	v_add_co_u32_e32 v10, vcc, v7, v10
	v_addc_co_u32_e32 v11, vcc, v3, v11, vcc
	s_lshl_b64 s[4:5], s[0:1], 6
	s_mul_i32 s0, s3, s13
	s_mul_i32 s1, s2, s16
	v_mov_b32_e32 v3, s13
	s_add_i32 s12, s1, s0
	v_mad_u64_u32 v[8:9], s[0:1], s2, v3, v[8:9]
	v_add_u32_e32 v9, s12, v9
	v_mad_u64_u32 v[8:9], s[0:1], s18, v6, v[8:9]
	v_mov_b32_e32 v12, v9
	v_mad_u64_u32 v[6:7], s[0:1], s17, v6, v[12:13]
	v_mul_lo_u32 v3, s3, v8
	v_mul_lo_u32 v6, s2, v6
	v_mad_u64_u32 v[8:9], s[0:1], s2, v8, 0
	v_add3_u32 v9, v9, v6, v3
	v_lshlrev_b64 v[6:7], 2, v[8:9]
	v_add_co_u32_e32 v3, vcc, v6, v13
	v_addc_co_u32_e32 v7, vcc, 0, v7, vcc
	v_mov_b32_e32 v12, s11
	v_add_co_u32_e32 v6, vcc, s10, v3
	v_addc_co_u32_e32 v7, vcc, v12, v7, vcc
	v_lshlrev_b64 v[8:9], 3, v[8:9]
	v_lshlrev_b32_e32 v2, 3, v2
	v_add_co_u32_e32 v2, vcc, v8, v2
	v_addc_co_u32_e32 v3, vcc, 0, v9, vcc
	v_mov_b32_e32 v8, s21
	v_add_co_u32_e32 v2, vcc, s20, v2
	v_addc_co_u32_e32 v3, vcc, v8, v3, vcc
	v_lshlrev_b64 v[8:9], 3, v[0:1]
	v_mov_b32_e32 v12, s7
	v_add_co_u32_e32 v8, vcc, s6, v8
	s_lshl_b64 s[10:11], s[2:3], 6
	s_lshl_b64 s[12:13], s[2:3], 7
	v_addc_co_u32_e32 v9, vcc, v12, v9, vcc
	s_mov_b64 s[6:7], 0
.LBB46_5:                               ; =>This Inner Loop Header: Depth=1
	global_load_dwordx2 v[12:13], v[8:9], off
	global_load_dword v14, v[10:11], off
	v_add_co_u32_e32 v0, vcc, 16, v0
	v_addc_co_u32_e32 v1, vcc, 0, v1, vcc
	v_add_co_u32_e32 v8, vcc, 0x80, v8
	v_addc_co_u32_e32 v9, vcc, 0, v9, vcc
	v_cmp_le_i64_e32 vcc, s[8:9], v[0:1]
	v_mov_b32_e32 v15, s14
	s_or_b64 s[6:7], vcc, s[6:7]
	v_mov_b32_e32 v16, s5
	v_add_co_u32_e64 v10, s[0:1], s4, v10
	v_mov_b32_e32 v17, s11
	v_addc_co_u32_e64 v11, s[0:1], v11, v16, s[0:1]
	v_mov_b32_e32 v18, s13
	s_waitcnt vmcnt(1)
	v_subrev_co_u32_e32 v12, vcc, s15, v12
	v_subb_co_u32_e32 v13, vcc, v13, v15, vcc
	s_waitcnt vmcnt(0)
	global_store_dword v[6:7], v14, off
	v_add_co_u32_e32 v6, vcc, s10, v6
	v_mul_lo_u32 v14, v12, s3
	v_mul_lo_u32 v15, v13, s2
	v_mad_u64_u32 v[12:13], s[0:1], v12, s2, v[4:5]
	v_addc_co_u32_e32 v7, vcc, v7, v17, vcc
	v_add3_u32 v13, v15, v13, v14
	global_store_dwordx2 v[2:3], v[12:13], off
	v_add_co_u32_e32 v2, vcc, s12, v2
	v_addc_co_u32_e32 v3, vcc, v3, v18, vcc
	s_andn2_b64 exec, exec, s[6:7]
	s_cbranch_execnz .LBB46_5
.LBB46_6:
	s_endpgm
	.section	.rodata,"a",@progbits
	.p2align	6, 0x0
	.amdhsa_kernel _ZN9rocsparseL33bsr2csr_block_per_row_8_32_kernelILj1024ELj8EillEEv20rocsparse_direction_T3_S2_21rocsparse_index_base_PKT1_PKT2_PKS2_S2_S3_PS4_PS7_PS2_
		.amdhsa_group_segment_fixed_size 0
		.amdhsa_private_segment_fixed_size 0
		.amdhsa_kernarg_size 96
		.amdhsa_user_sgpr_count 6
		.amdhsa_user_sgpr_private_segment_buffer 1
		.amdhsa_user_sgpr_dispatch_ptr 0
		.amdhsa_user_sgpr_queue_ptr 0
		.amdhsa_user_sgpr_kernarg_segment_ptr 1
		.amdhsa_user_sgpr_dispatch_id 0
		.amdhsa_user_sgpr_flat_scratch_init 0
		.amdhsa_user_sgpr_kernarg_preload_length 0
		.amdhsa_user_sgpr_kernarg_preload_offset 0
		.amdhsa_user_sgpr_private_segment_size 0
		.amdhsa_uses_dynamic_stack 0
		.amdhsa_system_sgpr_private_segment_wavefront_offset 0
		.amdhsa_system_sgpr_workgroup_id_x 1
		.amdhsa_system_sgpr_workgroup_id_y 0
		.amdhsa_system_sgpr_workgroup_id_z 0
		.amdhsa_system_sgpr_workgroup_info 0
		.amdhsa_system_vgpr_workitem_id 0
		.amdhsa_next_free_vgpr 19
		.amdhsa_next_free_sgpr 25
		.amdhsa_accum_offset 20
		.amdhsa_reserve_vcc 1
		.amdhsa_reserve_flat_scratch 0
		.amdhsa_float_round_mode_32 0
		.amdhsa_float_round_mode_16_64 0
		.amdhsa_float_denorm_mode_32 3
		.amdhsa_float_denorm_mode_16_64 3
		.amdhsa_dx10_clamp 1
		.amdhsa_ieee_mode 1
		.amdhsa_fp16_overflow 0
		.amdhsa_tg_split 0
		.amdhsa_exception_fp_ieee_invalid_op 0
		.amdhsa_exception_fp_denorm_src 0
		.amdhsa_exception_fp_ieee_div_zero 0
		.amdhsa_exception_fp_ieee_overflow 0
		.amdhsa_exception_fp_ieee_underflow 0
		.amdhsa_exception_fp_ieee_inexact 0
		.amdhsa_exception_int_div_zero 0
	.end_amdhsa_kernel
	.section	.text._ZN9rocsparseL33bsr2csr_block_per_row_8_32_kernelILj1024ELj8EillEEv20rocsparse_direction_T3_S2_21rocsparse_index_base_PKT1_PKT2_PKS2_S2_S3_PS4_PS7_PS2_,"axG",@progbits,_ZN9rocsparseL33bsr2csr_block_per_row_8_32_kernelILj1024ELj8EillEEv20rocsparse_direction_T3_S2_21rocsparse_index_base_PKT1_PKT2_PKS2_S2_S3_PS4_PS7_PS2_,comdat
.Lfunc_end46:
	.size	_ZN9rocsparseL33bsr2csr_block_per_row_8_32_kernelILj1024ELj8EillEEv20rocsparse_direction_T3_S2_21rocsparse_index_base_PKT1_PKT2_PKS2_S2_S3_PS4_PS7_PS2_, .Lfunc_end46-_ZN9rocsparseL33bsr2csr_block_per_row_8_32_kernelILj1024ELj8EillEEv20rocsparse_direction_T3_S2_21rocsparse_index_base_PKT1_PKT2_PKS2_S2_S3_PS4_PS7_PS2_
                                        ; -- End function
	.section	.AMDGPU.csdata,"",@progbits
; Kernel info:
; codeLenInByte = 944
; NumSgprs: 29
; NumVgprs: 19
; NumAgprs: 0
; TotalNumVgprs: 19
; ScratchSize: 0
; MemoryBound: 0
; FloatMode: 240
; IeeeMode: 1
; LDSByteSize: 0 bytes/workgroup (compile time only)
; SGPRBlocks: 3
; VGPRBlocks: 2
; NumSGPRsForWavesPerEU: 29
; NumVGPRsForWavesPerEU: 19
; AccumOffset: 20
; Occupancy: 8
; WaveLimiterHint : 0
; COMPUTE_PGM_RSRC2:SCRATCH_EN: 0
; COMPUTE_PGM_RSRC2:USER_SGPR: 6
; COMPUTE_PGM_RSRC2:TRAP_HANDLER: 0
; COMPUTE_PGM_RSRC2:TGID_X_EN: 1
; COMPUTE_PGM_RSRC2:TGID_Y_EN: 0
; COMPUTE_PGM_RSRC2:TGID_Z_EN: 0
; COMPUTE_PGM_RSRC2:TIDIG_COMP_CNT: 0
; COMPUTE_PGM_RSRC3_GFX90A:ACCUM_OFFSET: 4
; COMPUTE_PGM_RSRC3_GFX90A:TG_SPLIT: 0
	.section	.text._ZN9rocsparseL33bsr2csr_block_per_row_8_32_kernelILj1024ELj16EillEEv20rocsparse_direction_T3_S2_21rocsparse_index_base_PKT1_PKT2_PKS2_S2_S3_PS4_PS7_PS2_,"axG",@progbits,_ZN9rocsparseL33bsr2csr_block_per_row_8_32_kernelILj1024ELj16EillEEv20rocsparse_direction_T3_S2_21rocsparse_index_base_PKT1_PKT2_PKS2_S2_S3_PS4_PS7_PS2_,comdat
	.globl	_ZN9rocsparseL33bsr2csr_block_per_row_8_32_kernelILj1024ELj16EillEEv20rocsparse_direction_T3_S2_21rocsparse_index_base_PKT1_PKT2_PKS2_S2_S3_PS4_PS7_PS2_ ; -- Begin function _ZN9rocsparseL33bsr2csr_block_per_row_8_32_kernelILj1024ELj16EillEEv20rocsparse_direction_T3_S2_21rocsparse_index_base_PKT1_PKT2_PKS2_S2_S3_PS4_PS7_PS2_
	.p2align	8
	.type	_ZN9rocsparseL33bsr2csr_block_per_row_8_32_kernelILj1024ELj16EillEEv20rocsparse_direction_T3_S2_21rocsparse_index_base_PKT1_PKT2_PKS2_S2_S3_PS4_PS7_PS2_,@function
_ZN9rocsparseL33bsr2csr_block_per_row_8_32_kernelILj1024ELj16EillEEv20rocsparse_direction_T3_S2_21rocsparse_index_base_PKT1_PKT2_PKS2_S2_S3_PS4_PS7_PS2_: ; @_ZN9rocsparseL33bsr2csr_block_per_row_8_32_kernelILj1024ELj16EillEEv20rocsparse_direction_T3_S2_21rocsparse_index_base_PKT1_PKT2_PKS2_S2_S3_PS4_PS7_PS2_
; %bb.0:
	s_load_dwordx2 s[0:1], s[4:5], 0x28
	s_load_dword s14, s[4:5], 0x40
	s_load_dwordx2 s[10:11], s[4:5], 0x50
	s_mov_b32 s12, 0
	s_mov_b32 s7, s12
	s_lshl_b64 s[2:3], s[6:7], 3
	s_waitcnt lgkmcnt(0)
	s_add_u32 s8, s0, s2
	v_or_b32_e32 v1, s6, v0
	s_addc_u32 s9, s1, s3
	v_cmp_eq_u32_e32 vcc, 0, v1
	s_and_saveexec_b64 s[0:1], vcc
	s_cbranch_execz .LBB47_2
; %bb.1:
	v_mov_b32_e32 v2, s14
	v_mov_b32_e32 v3, 0
	global_store_dwordx2 v3, v[2:3], s[10:11]
.LBB47_2:
	s_or_b64 exec, exec, s[0:1]
	s_load_dwordx2 s[2:3], s[4:5], 0x38
	v_mov_b32_e32 v3, 0
	v_and_b32_e32 v2, 15, v0
	v_bfe_u32 v6, v0, 4, 4
	v_mov_b32_e32 v7, v3
	s_waitcnt lgkmcnt(0)
	v_cmp_gt_i64_e32 vcc, s[2:3], v[6:7]
	v_cmp_gt_i64_e64 s[0:1], s[2:3], v[2:3]
	s_and_b64 s[0:1], vcc, s[0:1]
	s_and_saveexec_b64 s[16:17], s[0:1]
	s_cbranch_execz .LBB47_6
; %bb.3:
	s_load_dwordx4 s[16:19], s[8:9], 0x0
	s_load_dword s13, s[4:5], 0x18
	s_mul_i32 s7, s2, s3
	s_mul_hi_u32 s8, s2, s2
	v_lshrrev_b32_e32 v8, 8, v0
	v_mov_b32_e32 v9, v3
	s_waitcnt lgkmcnt(0)
	s_sub_u32 s15, s16, s13
	s_subb_u32 s16, s17, 0
	s_sub_u32 s0, s18, s13
	s_subb_u32 s1, s19, 0
	s_add_i32 s8, s8, s7
	s_add_i32 s9, s8, s7
	s_mul_i32 s8, s2, s2
	s_mul_i32 s7, s15, s9
	s_mul_hi_u32 s17, s15, s8
	s_add_i32 s7, s17, s7
	s_mul_i32 s17, s16, s8
	s_add_i32 s7, s7, s17
	s_sub_u32 s18, s0, s15
	s_subb_u32 s17, s1, s16
	s_mul_i32 s19, s18, s3
	s_mul_hi_u32 s21, s18, s2
	s_add_i32 s19, s21, s19
	s_mul_i32 s21, s17, s2
	s_add_i32 s22, s19, s21
	s_mul_i32 s23, s18, s2
	s_add_u32 s21, s23, s14
	s_mul_i32 s20, s15, s8
	s_addc_u32 s24, s22, 0
	s_add_u32 s20, s21, s20
	s_addc_u32 s21, s24, s7
	v_pk_mov_b32 v[0:1], s[20:21], s[20:21] op_sel:[0,1]
	v_mad_u64_u32 v[0:1], s[20:21], s23, v6, v[0:1]
	v_mov_b32_e32 v4, v1
	v_mad_u64_u32 v[4:5], s[20:21], s22, v6, v[4:5]
	s_mul_i32 s7, s6, s3
	s_mul_hi_u32 s20, s6, s2
	s_add_i32 s7, s20, s7
	s_mul_i32 s6, s6, s2
	s_lshl_b64 s[6:7], s[6:7], 3
	s_add_u32 s6, s10, s6
	v_mov_b32_e32 v1, v4
	s_addc_u32 s7, s11, s7
	v_lshlrev_b32_e32 v3, 3, v6
	global_store_dwordx2 v3, v[0:1], s[6:7] offset:8
	v_mov_b32_e32 v1, s16
	v_add_co_u32_e32 v0, vcc, s15, v8
	v_addc_co_u32_e32 v1, vcc, 0, v1, vcc
	v_cmp_gt_i64_e32 vcc, s[0:1], v[0:1]
	s_and_b64 exec, exec, vcc
	s_cbranch_execz .LBB47_6
; %bb.4:
	s_load_dwordx2 s[6:7], s[4:5], 0x30
	s_load_dwordx2 s[10:11], s[4:5], 0x48
	;; [unrolled: 1-line block ×4, first 2 shown]
	s_load_dword s24, s[4:5], 0x0
	v_mad_u64_u32 v[10:11], s[4:5], v2, s2, 0
	v_mov_b32_e32 v12, v11
	v_mad_u64_u32 v[12:13], s[4:5], v2, s3, v[12:13]
	v_mov_b32_e32 v3, s12
	v_add_co_u32_e32 v4, vcc, s14, v2
	v_mov_b32_e32 v11, v12
	v_addc_co_u32_e32 v5, vcc, 0, v3, vcc
	v_lshlrev_b64 v[10:11], 2, v[10:11]
	s_waitcnt lgkmcnt(0)
	v_mov_b32_e32 v3, s23
	v_add_co_u32_e32 v7, vcc, s22, v10
	v_addc_co_u32_e32 v10, vcc, v3, v11, vcc
	v_lshlrev_b32_e32 v11, 2, v6
	v_add_co_u32_e32 v7, vcc, v7, v11
	v_addc_co_u32_e32 v14, vcc, 0, v10, vcc
	v_mad_u64_u32 v[10:11], s[4:5], v6, s2, 0
	v_mov_b32_e32 v12, v11
	v_mad_u64_u32 v[12:13], s[4:5], v6, s3, v[12:13]
	v_mov_b32_e32 v11, v12
	v_lshlrev_b64 v[10:11], 2, v[10:11]
	v_add_co_u32_e32 v10, vcc, s22, v10
	v_addc_co_u32_e32 v3, vcc, v3, v11, vcc
	v_lshlrev_b32_e32 v13, 2, v2
	v_add_co_u32_e32 v10, vcc, v10, v13
	s_cmp_eq_u32 s24, 0
	v_addc_co_u32_e32 v3, vcc, 0, v3, vcc
	s_cselect_b64 vcc, -1, 0
	v_cndmask_b32_e32 v3, v14, v3, vcc
	v_cndmask_b32_e32 v7, v7, v10, vcc
	v_mul_lo_u32 v12, s9, v0
	v_mul_lo_u32 v14, s8, v1
	v_mad_u64_u32 v[10:11], s[4:5], s8, v0, 0
	v_add3_u32 v11, v11, v14, v12
	v_lshlrev_b64 v[10:11], 2, v[10:11]
	v_add_co_u32_e32 v10, vcc, v7, v10
	v_addc_co_u32_e32 v11, vcc, v3, v11, vcc
	s_lshl_b64 s[4:5], s[8:9], 4
	s_mul_i32 s8, s3, s15
	s_mul_i32 s9, s2, s16
	v_mov_b32_e32 v3, s15
	s_add_i32 s14, s9, s8
	v_mad_u64_u32 v[8:9], s[8:9], s2, v3, v[8:9]
	v_add_u32_e32 v9, s14, v9
	v_mad_u64_u32 v[8:9], s[8:9], s18, v6, v[8:9]
	v_mov_b32_e32 v12, v9
	v_mad_u64_u32 v[6:7], s[8:9], s17, v6, v[12:13]
	v_mul_lo_u32 v3, s3, v8
	v_mul_lo_u32 v6, s2, v6
	v_mad_u64_u32 v[8:9], s[8:9], s2, v8, 0
	v_add3_u32 v9, v9, v6, v3
	v_lshlrev_b64 v[6:7], 2, v[8:9]
	v_add_co_u32_e32 v3, vcc, v6, v13
	v_addc_co_u32_e32 v7, vcc, 0, v7, vcc
	v_mov_b32_e32 v12, s11
	v_add_co_u32_e32 v6, vcc, s10, v3
	v_addc_co_u32_e32 v7, vcc, v12, v7, vcc
	v_lshlrev_b64 v[8:9], 3, v[8:9]
	v_lshlrev_b32_e32 v2, 3, v2
	v_add_co_u32_e32 v2, vcc, v8, v2
	v_addc_co_u32_e32 v3, vcc, 0, v9, vcc
	v_mov_b32_e32 v8, s21
	v_add_co_u32_e32 v2, vcc, s20, v2
	v_addc_co_u32_e32 v3, vcc, v8, v3, vcc
	v_lshlrev_b64 v[8:9], 3, v[0:1]
	v_mov_b32_e32 v12, s7
	v_add_co_u32_e32 v8, vcc, s6, v8
	s_lshl_b64 s[8:9], s[2:3], 4
	s_lshl_b64 s[10:11], s[2:3], 5
	v_addc_co_u32_e32 v9, vcc, v12, v9, vcc
	s_mov_b64 s[6:7], 0
.LBB47_5:                               ; =>This Inner Loop Header: Depth=1
	global_load_dwordx2 v[12:13], v[8:9], off
	global_load_dword v14, v[10:11], off
	v_add_co_u32_e32 v0, vcc, 4, v0
	v_addc_co_u32_e32 v1, vcc, 0, v1, vcc
	v_add_co_u32_e32 v8, vcc, 32, v8
	v_addc_co_u32_e32 v9, vcc, 0, v9, vcc
	v_mov_b32_e32 v16, s5
	v_add_co_u32_e32 v10, vcc, s4, v10
	v_addc_co_u32_e32 v11, vcc, v11, v16, vcc
	v_cmp_le_i64_e32 vcc, s[0:1], v[0:1]
	v_mov_b32_e32 v15, s12
	s_or_b64 s[6:7], vcc, s[6:7]
	v_mov_b32_e32 v17, s9
	v_mov_b32_e32 v18, s11
	s_waitcnt vmcnt(1)
	v_subrev_co_u32_e32 v12, vcc, s13, v12
	v_subb_co_u32_e32 v13, vcc, v13, v15, vcc
	s_waitcnt vmcnt(0)
	global_store_dword v[6:7], v14, off
	v_add_co_u32_e32 v6, vcc, s8, v6
	v_mul_lo_u32 v14, v12, s3
	v_mul_lo_u32 v15, v13, s2
	v_mad_u64_u32 v[12:13], s[14:15], v12, s2, v[4:5]
	v_addc_co_u32_e32 v7, vcc, v7, v17, vcc
	v_add3_u32 v13, v15, v13, v14
	global_store_dwordx2 v[2:3], v[12:13], off
	v_add_co_u32_e32 v2, vcc, s10, v2
	v_addc_co_u32_e32 v3, vcc, v3, v18, vcc
	s_andn2_b64 exec, exec, s[6:7]
	s_cbranch_execnz .LBB47_5
.LBB47_6:
	s_endpgm
	.section	.rodata,"a",@progbits
	.p2align	6, 0x0
	.amdhsa_kernel _ZN9rocsparseL33bsr2csr_block_per_row_8_32_kernelILj1024ELj16EillEEv20rocsparse_direction_T3_S2_21rocsparse_index_base_PKT1_PKT2_PKS2_S2_S3_PS4_PS7_PS2_
		.amdhsa_group_segment_fixed_size 0
		.amdhsa_private_segment_fixed_size 0
		.amdhsa_kernarg_size 96
		.amdhsa_user_sgpr_count 6
		.amdhsa_user_sgpr_private_segment_buffer 1
		.amdhsa_user_sgpr_dispatch_ptr 0
		.amdhsa_user_sgpr_queue_ptr 0
		.amdhsa_user_sgpr_kernarg_segment_ptr 1
		.amdhsa_user_sgpr_dispatch_id 0
		.amdhsa_user_sgpr_flat_scratch_init 0
		.amdhsa_user_sgpr_kernarg_preload_length 0
		.amdhsa_user_sgpr_kernarg_preload_offset 0
		.amdhsa_user_sgpr_private_segment_size 0
		.amdhsa_uses_dynamic_stack 0
		.amdhsa_system_sgpr_private_segment_wavefront_offset 0
		.amdhsa_system_sgpr_workgroup_id_x 1
		.amdhsa_system_sgpr_workgroup_id_y 0
		.amdhsa_system_sgpr_workgroup_id_z 0
		.amdhsa_system_sgpr_workgroup_info 0
		.amdhsa_system_vgpr_workitem_id 0
		.amdhsa_next_free_vgpr 19
		.amdhsa_next_free_sgpr 25
		.amdhsa_accum_offset 20
		.amdhsa_reserve_vcc 1
		.amdhsa_reserve_flat_scratch 0
		.amdhsa_float_round_mode_32 0
		.amdhsa_float_round_mode_16_64 0
		.amdhsa_float_denorm_mode_32 3
		.amdhsa_float_denorm_mode_16_64 3
		.amdhsa_dx10_clamp 1
		.amdhsa_ieee_mode 1
		.amdhsa_fp16_overflow 0
		.amdhsa_tg_split 0
		.amdhsa_exception_fp_ieee_invalid_op 0
		.amdhsa_exception_fp_denorm_src 0
		.amdhsa_exception_fp_ieee_div_zero 0
		.amdhsa_exception_fp_ieee_overflow 0
		.amdhsa_exception_fp_ieee_underflow 0
		.amdhsa_exception_fp_ieee_inexact 0
		.amdhsa_exception_int_div_zero 0
	.end_amdhsa_kernel
	.section	.text._ZN9rocsparseL33bsr2csr_block_per_row_8_32_kernelILj1024ELj16EillEEv20rocsparse_direction_T3_S2_21rocsparse_index_base_PKT1_PKT2_PKS2_S2_S3_PS4_PS7_PS2_,"axG",@progbits,_ZN9rocsparseL33bsr2csr_block_per_row_8_32_kernelILj1024ELj16EillEEv20rocsparse_direction_T3_S2_21rocsparse_index_base_PKT1_PKT2_PKS2_S2_S3_PS4_PS7_PS2_,comdat
.Lfunc_end47:
	.size	_ZN9rocsparseL33bsr2csr_block_per_row_8_32_kernelILj1024ELj16EillEEv20rocsparse_direction_T3_S2_21rocsparse_index_base_PKT1_PKT2_PKS2_S2_S3_PS4_PS7_PS2_, .Lfunc_end47-_ZN9rocsparseL33bsr2csr_block_per_row_8_32_kernelILj1024ELj16EillEEv20rocsparse_direction_T3_S2_21rocsparse_index_base_PKT1_PKT2_PKS2_S2_S3_PS4_PS7_PS2_
                                        ; -- End function
	.section	.AMDGPU.csdata,"",@progbits
; Kernel info:
; codeLenInByte = 932
; NumSgprs: 29
; NumVgprs: 19
; NumAgprs: 0
; TotalNumVgprs: 19
; ScratchSize: 0
; MemoryBound: 0
; FloatMode: 240
; IeeeMode: 1
; LDSByteSize: 0 bytes/workgroup (compile time only)
; SGPRBlocks: 3
; VGPRBlocks: 2
; NumSGPRsForWavesPerEU: 29
; NumVGPRsForWavesPerEU: 19
; AccumOffset: 20
; Occupancy: 8
; WaveLimiterHint : 0
; COMPUTE_PGM_RSRC2:SCRATCH_EN: 0
; COMPUTE_PGM_RSRC2:USER_SGPR: 6
; COMPUTE_PGM_RSRC2:TRAP_HANDLER: 0
; COMPUTE_PGM_RSRC2:TGID_X_EN: 1
; COMPUTE_PGM_RSRC2:TGID_Y_EN: 0
; COMPUTE_PGM_RSRC2:TGID_Z_EN: 0
; COMPUTE_PGM_RSRC2:TIDIG_COMP_CNT: 0
; COMPUTE_PGM_RSRC3_GFX90A:ACCUM_OFFSET: 4
; COMPUTE_PGM_RSRC3_GFX90A:TG_SPLIT: 0
	.section	.text._ZN9rocsparseL33bsr2csr_block_per_row_8_32_kernelILj1024ELj32EillEEv20rocsparse_direction_T3_S2_21rocsparse_index_base_PKT1_PKT2_PKS2_S2_S3_PS4_PS7_PS2_,"axG",@progbits,_ZN9rocsparseL33bsr2csr_block_per_row_8_32_kernelILj1024ELj32EillEEv20rocsparse_direction_T3_S2_21rocsparse_index_base_PKT1_PKT2_PKS2_S2_S3_PS4_PS7_PS2_,comdat
	.globl	_ZN9rocsparseL33bsr2csr_block_per_row_8_32_kernelILj1024ELj32EillEEv20rocsparse_direction_T3_S2_21rocsparse_index_base_PKT1_PKT2_PKS2_S2_S3_PS4_PS7_PS2_ ; -- Begin function _ZN9rocsparseL33bsr2csr_block_per_row_8_32_kernelILj1024ELj32EillEEv20rocsparse_direction_T3_S2_21rocsparse_index_base_PKT1_PKT2_PKS2_S2_S3_PS4_PS7_PS2_
	.p2align	8
	.type	_ZN9rocsparseL33bsr2csr_block_per_row_8_32_kernelILj1024ELj32EillEEv20rocsparse_direction_T3_S2_21rocsparse_index_base_PKT1_PKT2_PKS2_S2_S3_PS4_PS7_PS2_,@function
_ZN9rocsparseL33bsr2csr_block_per_row_8_32_kernelILj1024ELj32EillEEv20rocsparse_direction_T3_S2_21rocsparse_index_base_PKT1_PKT2_PKS2_S2_S3_PS4_PS7_PS2_: ; @_ZN9rocsparseL33bsr2csr_block_per_row_8_32_kernelILj1024ELj32EillEEv20rocsparse_direction_T3_S2_21rocsparse_index_base_PKT1_PKT2_PKS2_S2_S3_PS4_PS7_PS2_
; %bb.0:
	s_load_dwordx2 s[0:1], s[4:5], 0x28
	s_load_dword s22, s[4:5], 0x40
	s_load_dwordx2 s[16:17], s[4:5], 0x50
	s_mov_b32 s9, 0
	s_mov_b32 s7, s9
	s_lshl_b64 s[2:3], s[6:7], 3
	s_waitcnt lgkmcnt(0)
	s_add_u32 s12, s0, s2
	v_or_b32_e32 v1, s6, v0
	s_addc_u32 s13, s1, s3
	v_cmp_eq_u32_e32 vcc, 0, v1
	s_and_saveexec_b64 s[0:1], vcc
	s_cbranch_execz .LBB48_2
; %bb.1:
	v_mov_b32_e32 v2, s22
	v_mov_b32_e32 v3, 0
	global_store_dwordx2 v3, v[2:3], s[16:17]
.LBB48_2:
	s_or_b64 exec, exec, s[0:1]
	s_load_dwordx2 s[10:11], s[4:5], 0x38
	v_mov_b32_e32 v3, 0
	v_and_b32_e32 v2, 31, v0
	v_lshrrev_b32_e32 v4, 5, v0
	v_mov_b32_e32 v5, v3
	s_waitcnt lgkmcnt(0)
	v_cmp_gt_i64_e32 vcc, s[10:11], v[4:5]
	v_cmp_gt_i64_e64 s[0:1], s[10:11], v[2:3]
	s_and_b64 s[0:1], vcc, s[0:1]
	s_and_saveexec_b64 s[2:3], s[0:1]
	s_cbranch_execz .LBB48_6
; %bb.3:
	s_load_dwordx4 s[0:3], s[12:13], 0x0
	s_load_dword s8, s[4:5], 0x18
	s_mul_i32 s7, s10, s11
	s_mul_hi_u32 s18, s10, s10
	v_lshlrev_b32_e32 v3, 3, v4
	s_waitcnt lgkmcnt(0)
	s_sub_u32 s12, s0, s8
	s_subb_u32 s13, s1, 0
	s_sub_u32 s14, s2, s8
	s_subb_u32 s15, s3, 0
	s_add_i32 s18, s18, s7
	s_add_i32 s19, s18, s7
	s_mul_i32 s18, s10, s10
	s_mul_i32 s7, s12, s19
	s_mul_hi_u32 s20, s12, s18
	s_add_i32 s7, s20, s7
	s_mul_i32 s20, s13, s18
	s_add_i32 s21, s7, s20
	s_sub_u32 s24, s14, s12
	s_subb_u32 s23, s15, s13
	s_mul_i32 s7, s24, s11
	s_mul_hi_u32 s25, s24, s10
	s_add_i32 s7, s25, s7
	s_mul_i32 s25, s23, s10
	s_add_i32 s7, s7, s25
	s_mul_i32 s28, s24, s10
	s_add_u32 s26, s28, s22
	s_mul_i32 s20, s12, s18
	s_addc_u32 s27, s7, 0
	s_add_u32 s26, s26, s20
	s_addc_u32 s27, s27, s21
	v_pk_mov_b32 v[0:1], s[26:27], s[26:27] op_sel:[0,1]
	v_mad_u64_u32 v[0:1], s[26:27], s28, v4, v[0:1]
	v_mov_b32_e32 v6, v1
	v_mad_u64_u32 v[6:7], s[26:27], s7, v4, v[6:7]
	s_mul_i32 s7, s6, s11
	s_mul_hi_u32 s26, s6, s10
	s_add_i32 s7, s26, s7
	s_mul_i32 s6, s6, s10
	s_lshl_b64 s[6:7], s[6:7], 3
	s_add_u32 s6, s16, s6
	v_mov_b32_e32 v1, v6
	s_addc_u32 s7, s17, s7
	global_store_dwordx2 v3, v[0:1], s[6:7] offset:8
	v_pk_mov_b32 v[0:1], s[2:3], s[2:3] op_sel:[0,1]
	v_cmp_ge_i64_e32 vcc, s[0:1], v[0:1]
	s_cbranch_vccnz .LBB48_6
; %bb.4:
	s_load_dwordx2 s[6:7], s[4:5], 0x30
	s_load_dwordx2 s[16:17], s[4:5], 0x48
	;; [unrolled: 1-line block ×4, first 2 shown]
	s_load_dword s28, s[4:5], 0x0
	v_mad_u64_u32 v[6:7], s[4:5], v2, s10, 0
	v_mov_b32_e32 v8, v7
	v_mad_u64_u32 v[8:9], s[4:5], v2, s11, v[8:9]
	v_mov_b32_e32 v1, s9
	v_add_co_u32_e32 v0, vcc, s22, v2
	v_mov_b32_e32 v7, v8
	v_addc_co_u32_e32 v1, vcc, 0, v1, vcc
	v_lshlrev_b64 v[6:7], 2, v[6:7]
	s_waitcnt lgkmcnt(0)
	v_mov_b32_e32 v3, s3
	v_add_co_u32_e32 v5, vcc, s2, v6
	v_addc_co_u32_e32 v6, vcc, v3, v7, vcc
	v_lshlrev_b32_e32 v7, 2, v4
	v_add_co_u32_e32 v5, vcc, v5, v7
	v_addc_co_u32_e32 v10, vcc, 0, v6, vcc
	v_mad_u64_u32 v[6:7], s[4:5], v4, s10, 0
	v_mov_b32_e32 v8, v7
	v_mad_u64_u32 v[8:9], s[4:5], v4, s11, v[8:9]
	v_mov_b32_e32 v7, v8
	v_lshlrev_b64 v[6:7], 2, v[6:7]
	v_add_co_u32_e32 v6, vcc, s2, v6
	v_addc_co_u32_e32 v3, vcc, v3, v7, vcc
	v_lshlrev_b32_e32 v11, 2, v2
	v_add_co_u32_e32 v6, vcc, v6, v11
	s_cmp_eq_u32 s28, 0
	v_addc_co_u32_e32 v3, vcc, 0, v3, vcc
	s_mul_i32 s4, s10, s13
	s_mul_hi_u32 s5, s10, s12
	s_cselect_b64 vcc, -1, 0
	s_add_i32 s4, s5, s4
	s_mul_i32 s5, s11, s12
	s_add_i32 s4, s4, s5
	s_mul_i32 s5, s10, s12
	v_mov_b32_e32 v8, s5
	v_mov_b32_e32 v9, s4
	v_mad_u64_u32 v[8:9], s[4:5], v4, s24, v[8:9]
	v_cndmask_b32_e32 v3, v10, v3, vcc
	v_cndmask_b32_e32 v5, v5, v6, vcc
	s_lshl_b64 s[2:3], s[20:21], 2
	v_mov_b32_e32 v10, v9
	v_mov_b32_e32 v7, s3
	v_add_co_u32_e32 v6, vcc, s2, v5
	v_mad_u64_u32 v[4:5], s[4:5], v4, s23, v[10:11]
	v_addc_co_u32_e32 v7, vcc, v3, v7, vcc
	v_mul_lo_u32 v3, s11, v8
	v_mul_lo_u32 v4, s10, v4
	v_mad_u64_u32 v[8:9], s[4:5], s10, v8, 0
	v_add3_u32 v9, v9, v4, v3
	v_lshlrev_b64 v[4:5], 2, v[8:9]
	v_add_co_u32_e32 v3, vcc, v4, v11
	v_addc_co_u32_e32 v5, vcc, 0, v5, vcc
	v_mov_b32_e32 v10, s17
	v_add_co_u32_e32 v4, vcc, s16, v3
	s_lshl_b64 s[2:3], s[18:19], 2
	v_addc_co_u32_e32 v5, vcc, v10, v5, vcc
	s_lshl_b64 s[4:5], s[10:11], 2
	v_lshlrev_b64 v[8:9], 3, v[8:9]
	v_lshlrev_b32_e32 v2, 3, v2
	s_lshl_b64 s[16:17], s[10:11], 3
	s_lshl_b64 s[0:1], s[0:1], 3
	;; [unrolled: 1-line block ×3, first 2 shown]
	v_add_co_u32_e32 v2, vcc, v8, v2
	s_sub_u32 s0, s0, s18
	v_addc_co_u32_e32 v3, vcc, 0, v9, vcc
	s_subb_u32 s1, s1, s19
	v_mov_b32_e32 v8, s27
	v_add_co_u32_e32 v2, vcc, s26, v2
	s_add_u32 s6, s6, s0
	v_addc_co_u32_e32 v3, vcc, v8, v3, vcc
	s_addc_u32 s7, s7, s1
	v_mov_b32_e32 v10, s10
	v_mov_b32_e32 v11, s3
	;; [unrolled: 1-line block ×4, first 2 shown]
	v_pk_mov_b32 v[8:9], s[14:15], s[14:15] op_sel:[0,1]
.LBB48_5:                               ; =>This Inner Loop Header: Depth=1
	global_load_dword v16, v[6:7], off
	s_load_dwordx2 s[0:1], s[6:7], 0x0
	v_add_co_u32_e32 v6, vcc, s2, v6
	v_addc_co_u32_e32 v7, vcc, v7, v11, vcc
	s_waitcnt lgkmcnt(0)
	s_sub_u32 s0, s0, s8
	s_subb_u32 s3, s1, 0
	s_mul_i32 s5, s0, s11
	s_mul_i32 s3, s3, s10
	v_mad_u64_u32 v[14:15], s[0:1], s0, v10, v[0:1]
	s_add_i32 s5, s5, s3
	v_add_u32_e32 v15, s5, v15
	s_add_u32 s12, s12, 1
	global_store_dwordx2 v[2:3], v[14:15], off
	v_add_co_u32_e32 v2, vcc, s16, v2
	s_addc_u32 s13, s13, 0
	v_addc_co_u32_e32 v3, vcc, v3, v13, vcc
	s_add_u32 s6, s6, 8
	v_cmp_lt_i64_e32 vcc, s[12:13], v[8:9]
	s_addc_u32 s7, s7, 0
	s_and_b64 vcc, exec, vcc
	s_waitcnt vmcnt(1)
	global_store_dword v[4:5], v16, off
	v_add_co_u32_e64 v4, s[0:1], s4, v4
	v_addc_co_u32_e64 v5, s[0:1], v5, v12, s[0:1]
	s_cbranch_vccnz .LBB48_5
.LBB48_6:
	s_endpgm
	.section	.rodata,"a",@progbits
	.p2align	6, 0x0
	.amdhsa_kernel _ZN9rocsparseL33bsr2csr_block_per_row_8_32_kernelILj1024ELj32EillEEv20rocsparse_direction_T3_S2_21rocsparse_index_base_PKT1_PKT2_PKS2_S2_S3_PS4_PS7_PS2_
		.amdhsa_group_segment_fixed_size 0
		.amdhsa_private_segment_fixed_size 0
		.amdhsa_kernarg_size 96
		.amdhsa_user_sgpr_count 6
		.amdhsa_user_sgpr_private_segment_buffer 1
		.amdhsa_user_sgpr_dispatch_ptr 0
		.amdhsa_user_sgpr_queue_ptr 0
		.amdhsa_user_sgpr_kernarg_segment_ptr 1
		.amdhsa_user_sgpr_dispatch_id 0
		.amdhsa_user_sgpr_flat_scratch_init 0
		.amdhsa_user_sgpr_kernarg_preload_length 0
		.amdhsa_user_sgpr_kernarg_preload_offset 0
		.amdhsa_user_sgpr_private_segment_size 0
		.amdhsa_uses_dynamic_stack 0
		.amdhsa_system_sgpr_private_segment_wavefront_offset 0
		.amdhsa_system_sgpr_workgroup_id_x 1
		.amdhsa_system_sgpr_workgroup_id_y 0
		.amdhsa_system_sgpr_workgroup_id_z 0
		.amdhsa_system_sgpr_workgroup_info 0
		.amdhsa_system_vgpr_workitem_id 0
		.amdhsa_next_free_vgpr 17
		.amdhsa_next_free_sgpr 29
		.amdhsa_accum_offset 20
		.amdhsa_reserve_vcc 1
		.amdhsa_reserve_flat_scratch 0
		.amdhsa_float_round_mode_32 0
		.amdhsa_float_round_mode_16_64 0
		.amdhsa_float_denorm_mode_32 3
		.amdhsa_float_denorm_mode_16_64 3
		.amdhsa_dx10_clamp 1
		.amdhsa_ieee_mode 1
		.amdhsa_fp16_overflow 0
		.amdhsa_tg_split 0
		.amdhsa_exception_fp_ieee_invalid_op 0
		.amdhsa_exception_fp_denorm_src 0
		.amdhsa_exception_fp_ieee_div_zero 0
		.amdhsa_exception_fp_ieee_overflow 0
		.amdhsa_exception_fp_ieee_underflow 0
		.amdhsa_exception_fp_ieee_inexact 0
		.amdhsa_exception_int_div_zero 0
	.end_amdhsa_kernel
	.section	.text._ZN9rocsparseL33bsr2csr_block_per_row_8_32_kernelILj1024ELj32EillEEv20rocsparse_direction_T3_S2_21rocsparse_index_base_PKT1_PKT2_PKS2_S2_S3_PS4_PS7_PS2_,"axG",@progbits,_ZN9rocsparseL33bsr2csr_block_per_row_8_32_kernelILj1024ELj32EillEEv20rocsparse_direction_T3_S2_21rocsparse_index_base_PKT1_PKT2_PKS2_S2_S3_PS4_PS7_PS2_,comdat
.Lfunc_end48:
	.size	_ZN9rocsparseL33bsr2csr_block_per_row_8_32_kernelILj1024ELj32EillEEv20rocsparse_direction_T3_S2_21rocsparse_index_base_PKT1_PKT2_PKS2_S2_S3_PS4_PS7_PS2_, .Lfunc_end48-_ZN9rocsparseL33bsr2csr_block_per_row_8_32_kernelILj1024ELj32EillEEv20rocsparse_direction_T3_S2_21rocsparse_index_base_PKT1_PKT2_PKS2_S2_S3_PS4_PS7_PS2_
                                        ; -- End function
	.section	.AMDGPU.csdata,"",@progbits
; Kernel info:
; codeLenInByte = 888
; NumSgprs: 33
; NumVgprs: 17
; NumAgprs: 0
; TotalNumVgprs: 17
; ScratchSize: 0
; MemoryBound: 0
; FloatMode: 240
; IeeeMode: 1
; LDSByteSize: 0 bytes/workgroup (compile time only)
; SGPRBlocks: 4
; VGPRBlocks: 2
; NumSGPRsForWavesPerEU: 33
; NumVGPRsForWavesPerEU: 17
; AccumOffset: 20
; Occupancy: 8
; WaveLimiterHint : 0
; COMPUTE_PGM_RSRC2:SCRATCH_EN: 0
; COMPUTE_PGM_RSRC2:USER_SGPR: 6
; COMPUTE_PGM_RSRC2:TRAP_HANDLER: 0
; COMPUTE_PGM_RSRC2:TGID_X_EN: 1
; COMPUTE_PGM_RSRC2:TGID_Y_EN: 0
; COMPUTE_PGM_RSRC2:TGID_Z_EN: 0
; COMPUTE_PGM_RSRC2:TIDIG_COMP_CNT: 0
; COMPUTE_PGM_RSRC3_GFX90A:ACCUM_OFFSET: 4
; COMPUTE_PGM_RSRC3_GFX90A:TG_SPLIT: 0
	.section	.text._ZN9rocsparseL35bsr2csr_block_per_row_33_256_kernelILj1024ELj64ELj32EillEEv20rocsparse_direction_T4_S2_21rocsparse_index_base_PKT2_PKT3_PKS2_S2_S3_PS4_PS7_PS2_,"axG",@progbits,_ZN9rocsparseL35bsr2csr_block_per_row_33_256_kernelILj1024ELj64ELj32EillEEv20rocsparse_direction_T4_S2_21rocsparse_index_base_PKT2_PKT3_PKS2_S2_S3_PS4_PS7_PS2_,comdat
	.globl	_ZN9rocsparseL35bsr2csr_block_per_row_33_256_kernelILj1024ELj64ELj32EillEEv20rocsparse_direction_T4_S2_21rocsparse_index_base_PKT2_PKT3_PKS2_S2_S3_PS4_PS7_PS2_ ; -- Begin function _ZN9rocsparseL35bsr2csr_block_per_row_33_256_kernelILj1024ELj64ELj32EillEEv20rocsparse_direction_T4_S2_21rocsparse_index_base_PKT2_PKT3_PKS2_S2_S3_PS4_PS7_PS2_
	.p2align	8
	.type	_ZN9rocsparseL35bsr2csr_block_per_row_33_256_kernelILj1024ELj64ELj32EillEEv20rocsparse_direction_T4_S2_21rocsparse_index_base_PKT2_PKT3_PKS2_S2_S3_PS4_PS7_PS2_,@function
_ZN9rocsparseL35bsr2csr_block_per_row_33_256_kernelILj1024ELj64ELj32EillEEv20rocsparse_direction_T4_S2_21rocsparse_index_base_PKT2_PKT3_PKS2_S2_S3_PS4_PS7_PS2_: ; @_ZN9rocsparseL35bsr2csr_block_per_row_33_256_kernelILj1024ELj64ELj32EillEEv20rocsparse_direction_T4_S2_21rocsparse_index_base_PKT2_PKT3_PKS2_S2_S3_PS4_PS7_PS2_
; %bb.0:
	s_load_dwordx2 s[2:3], s[4:5], 0x28
	s_load_dword s12, s[4:5], 0x40
	s_load_dwordx2 s[0:1], s[4:5], 0x50
	s_mov_b32 s15, 0
	s_mov_b32 s7, s15
	s_lshl_b64 s[8:9], s[6:7], 3
	s_waitcnt lgkmcnt(0)
	s_add_u32 s2, s2, s8
	s_addc_u32 s3, s3, s9
	s_load_dwordx4 s[8:11], s[2:3], 0x0
	v_or_b32_e32 v1, s6, v0
	v_cmp_eq_u32_e32 vcc, 0, v1
	s_and_saveexec_b64 s[2:3], vcc
	s_cbranch_execz .LBB49_2
; %bb.1:
	s_mov_b32 s13, s15
	v_mov_b32_e32 v1, 0
	v_pk_mov_b32 v[2:3], s[12:13], s[12:13] op_sel:[0,1]
	global_store_dwordx2 v1, v[2:3], s[0:1]
.LBB49_2:
	s_or_b64 exec, exec, s[2:3]
	s_load_dword s14, s[4:5], 0x18
	s_load_dwordx2 s[16:17], s[4:5], 0x38
	v_mov_b32_e32 v13, 0
	v_lshrrev_b32_e32 v12, 5, v0
	v_lshlrev_b32_e32 v1, 3, v12
	s_waitcnt lgkmcnt(0)
	s_sub_u32 s18, s8, s14
	s_subb_u32 s19, s9, 0
	s_mul_i32 s2, s18, s17
	s_sub_u32 s20, s10, s14
	s_mul_hi_u32 s3, s18, s16
	s_subb_u32 s21, s11, 0
	s_add_i32 s2, s3, s2
	s_mul_i32 s3, s19, s16
	s_mul_i32 s30, s18, s16
	s_add_i32 s31, s2, s3
	s_mul_i32 s2, s30, s17
	s_mul_hi_u32 s3, s30, s16
	s_add_i32 s2, s3, s2
	s_mul_i32 s3, s31, s16
	s_add_i32 s2, s2, s3
	s_sub_u32 s33, s20, s18
	s_subb_u32 s13, s21, s19
	s_mul_i32 s7, s33, s17
	s_mul_hi_u32 s22, s33, s16
	s_add_i32 s7, s22, s7
	s_mul_i32 s22, s13, s16
	s_mul_i32 s3, s30, s16
	s_add_i32 s26, s7, s22
	s_add_u32 s3, s3, s12
	s_mul_i32 s27, s33, s16
	s_addc_u32 s2, s2, 0
	s_add_u32 s22, s3, s27
	s_addc_u32 s23, s2, s26
	s_mul_i32 s2, s6, s17
	s_mul_hi_u32 s3, s6, s16
	s_add_i32 s3, s3, s2
	s_mul_i32 s2, s6, s16
	s_lshl_b64 s[2:3], s[2:3], 3
	s_add_u32 s0, s0, s2
	s_addc_u32 s1, s1, s3
	v_cmp_gt_i64_e64 s[2:3], s[16:17], v[12:13]
	s_and_saveexec_b64 s[6:7], s[2:3]
	s_cbranch_execz .LBB49_4
; %bb.3:
	v_pk_mov_b32 v[2:3], s[22:23], s[22:23] op_sel:[0,1]
	v_mad_u64_u32 v[2:3], s[24:25], v12, s27, v[2:3]
	v_mov_b32_e32 v4, v3
	v_mad_u64_u32 v[4:5], s[24:25], v12, s26, v[4:5]
	v_mov_b32_e32 v3, v4
	global_store_dwordx2 v1, v[2:3], s[0:1] offset:8
.LBB49_4:
	s_or_b64 exec, exec, s[6:7]
	v_or_b32_e32 v2, 32, v12
	v_mov_b32_e32 v3, v13
	v_cmp_gt_i64_e64 s[6:7], s[16:17], v[2:3]
	s_and_saveexec_b64 s[24:25], s[6:7]
	s_cbranch_execz .LBB49_6
; %bb.5:
	v_pk_mov_b32 v[4:5], s[22:23], s[22:23] op_sel:[0,1]
	v_mad_u64_u32 v[4:5], s[22:23], v2, s27, v[4:5]
	v_mov_b32_e32 v6, v5
	s_add_u32 s0, s0, 8
	v_mad_u64_u32 v[2:3], s[22:23], v2, s26, v[6:7]
	s_addc_u32 s1, s1, 0
	v_mov_b32_e32 v5, v2
	global_store_dwordx2 v1, v[4:5], s[0:1] offset:256
.LBB49_6:
	s_or_b64 exec, exec, s[24:25]
	v_pk_mov_b32 v[2:3], s[10:11], s[10:11] op_sel:[0,1]
	v_cmp_lt_i64_e32 vcc, s[8:9], v[2:3]
	s_cbranch_vccz .LBB49_17
; %bb.7:
	s_load_dwordx2 s[28:29], s[4:5], 0x30
	s_load_dwordx2 s[34:35], s[4:5], 0x48
	s_load_dword s0, s[4:5], 0x0
	s_load_dwordx2 s[22:23], s[4:5], 0x20
	s_load_dwordx2 s[36:37], s[4:5], 0x58
	v_and_b32_e32 v0, 31, v0
	v_mov_b32_e32 v1, 0
	s_waitcnt lgkmcnt(0)
	s_cmp_eq_u32 s0, 0
	s_cselect_b64 s[0:1], -1, 0
	v_cmp_gt_i64_e32 vcc, s[16:17], v[0:1]
	v_or_b32_e32 v2, 32, v0
	v_mov_b32_e32 v3, v1
	s_lshl_b64 s[38:39], s[30:31], 2
	v_lshlrev_b32_e32 v10, 2, v12
	s_and_b64 s[24:25], s[2:3], vcc
	v_cmp_gt_i64_e64 s[4:5], s[16:17], v[2:3]
	s_and_b64 s[26:27], s[6:7], vcc
	v_mov_b32_e32 v3, s39
	v_add_co_u32_e32 v6, vcc, s38, v10
	v_addc_co_u32_e32 v7, vcc, 0, v3, vcc
	s_movk_i32 s39, 0x80
	v_add_co_u32_e32 v4, vcc, s39, v6
	v_addc_co_u32_e32 v5, vcc, 0, v7, vcc
	v_lshlrev_b32_e32 v16, 2, v0
	v_mov_b32_e32 v17, v1
	s_and_b64 s[2:3], s[2:3], s[4:5]
	s_and_b64 s[4:5], s[6:7], s[4:5]
	v_mov_b32_e32 v11, v1
	v_mul_lo_u32 v1, s16, v5
	v_mul_lo_u32 v8, s17, v4
	v_mad_u64_u32 v[4:5], s[6:7], s16, v4, v[16:17]
	v_add3_u32 v5, v8, v5, v1
	v_mul_lo_u32 v1, s16, v7
	v_mul_lo_u32 v8, s17, v6
	v_mad_u64_u32 v[6:7], s[40:41], s16, v6, v[16:17]
	v_add3_u32 v7, v8, v7, v1
	v_add_co_u32_e32 v1, vcc, s38, v16
	v_addc_co_u32_e32 v3, vcc, 0, v3, vcc
	v_add_co_u32_e32 v8, vcc, s39, v1
	v_addc_co_u32_e32 v9, vcc, 0, v3, vcc
	v_mul_lo_u32 v13, s16, v9
	v_mul_lo_u32 v14, s17, v8
	v_mad_u64_u32 v[8:9], s[38:39], s16, v8, v[10:11]
	v_add3_u32 v9, v14, v9, v13
	v_pk_mov_b32 v[14:15], s[30:31], s[30:31] op_sel:[0,1]
	v_mad_u64_u32 v[14:15], s[30:31], v12, s33, v[14:15]
	v_mul_lo_u32 v3, s16, v3
	v_mul_lo_u32 v13, s17, v1
	v_mad_u64_u32 v[10:11], s[38:39], s16, v1, v[10:11]
	v_mov_b32_e32 v18, v15
	s_mul_i32 s6, s16, s17
	s_mul_hi_u32 s7, s16, s16
	v_add3_u32 v11, v13, v11, v3
	v_mad_u64_u32 v[12:13], s[30:31], v12, s13, v[18:19]
	s_add_i32 s7, s7, s6
	v_mov_b32_e32 v3, v12
	v_mul_lo_u32 v1, s17, v14
	v_mul_lo_u32 v12, s16, v12
	v_mad_u64_u32 v[20:21], s[30:31], s16, v14, 0
	s_add_i32 s7, s7, s6
	s_mul_i32 s6, s16, s16
	v_add3_u32 v21, v21, v12, v1
	s_lshl_b64 s[6:7], s[6:7], 2
	s_lshl_b64 s[38:39], s[8:9], 3
	;; [unrolled: 1-line block ×3, first 2 shown]
	v_lshlrev_b64 v[18:19], 3, v[20:21]
	s_movk_i32 s13, 0x100
	s_sub_u32 s15, s38, s40
	v_add_co_u32_e32 v13, vcc, s13, v18
	s_subb_u32 s38, s39, s41
	v_addc_co_u32_e32 v17, vcc, 0, v19, vcc
	v_lshlrev_b32_e32 v1, 3, v0
	s_add_u32 s28, s28, s15
	v_mov_b32_e32 v15, s37
	v_add_co_u32_e32 v12, vcc, s36, v1
	s_addc_u32 s29, s29, s38
	v_addc_co_u32_e32 v1, vcc, 0, v15, vcc
	s_lshl_b64 s[10:11], s[10:11], 5
	v_mov_b32_e32 v15, s11
	v_add_co_u32_e32 v14, vcc, s10, v14
	v_addc_co_u32_e32 v3, vcc, v3, v15, vcc
	s_lshl_b64 s[8:9], s[8:9], 5
	v_mov_b32_e32 v15, s9
	v_subrev_co_u32_e32 v14, vcc, s8, v14
	v_subb_co_u32_e32 v3, vcc, v3, v15, vcc
	v_mul_lo_u32 v15, s17, v14
	v_mul_lo_u32 v3, s16, v3
	v_mad_u64_u32 v[18:19], s[8:9], s16, v14, 0
	v_add3_u32 v19, v19, v3, v15
	v_mov_b32_e32 v3, s35
	v_add_co_u32_e32 v16, vcc, s34, v16
	v_addc_co_u32_e32 v3, vcc, 0, v3, vcc
	v_lshlrev_b64 v[20:21], 2, v[20:21]
	v_add_co_u32_e32 v20, vcc, 0x80, v20
	s_lshl_b64 s[30:31], s[16:17], 3
	v_lshlrev_b64 v[14:15], 2, v[18:19]
	s_lshl_b64 s[8:9], s[16:17], 2
	v_lshlrev_b64 v[18:19], 3, v[18:19]
	v_addc_co_u32_e32 v21, vcc, 0, v21, vcc
	s_branch .LBB49_9
.LBB49_8:                               ;   in Loop: Header=BB49_9 Depth=1
	s_or_b64 exec, exec, s[10:11]
	s_add_u32 s18, s18, 1
	v_mov_b32_e32 v22, s31
	v_add_co_u32_e32 v12, vcc, s30, v12
	s_addc_u32 s19, s19, 0
	v_addc_co_u32_e32 v1, vcc, v1, v22, vcc
	s_add_u32 s22, s22, s6
	v_mov_b32_e32 v22, s9
	v_add_co_u32_e32 v16, vcc, s8, v16
	s_addc_u32 s23, s23, s7
	v_addc_co_u32_e32 v3, vcc, v3, v22, vcc
	v_pk_mov_b32 v[22:23], s[20:21], s[20:21] op_sel:[0,1]
	s_add_u32 s28, s28, 8
	v_cmp_ge_i64_e32 vcc, s[18:19], v[22:23]
	s_addc_u32 s29, s29, 0
	s_cbranch_vccnz .LBB49_17
.LBB49_9:                               ; =>This Inner Loop Header: Depth=1
	s_load_dwordx2 s[10:11], s[28:29], 0x0
	s_waitcnt lgkmcnt(0)
	s_sub_u32 s10, s10, s14
	s_subb_u32 s11, s11, 0
	s_mul_i32 s13, s10, s17
	s_mul_hi_u32 s15, s10, s16
	s_add_i32 s13, s15, s13
	s_mul_i32 s11, s11, s16
	s_add_i32 s11, s13, s11
	s_mul_i32 s10, s10, s16
	s_add_u32 s13, s10, s12
	s_addc_u32 s15, s11, 0
	s_and_saveexec_b64 s[10:11], s[24:25]
	s_cbranch_execnz .LBB49_13
; %bb.10:                               ;   in Loop: Header=BB49_9 Depth=1
	s_or_b64 exec, exec, s[10:11]
	s_and_saveexec_b64 s[10:11], s[2:3]
	s_cbranch_execnz .LBB49_14
.LBB49_11:                              ;   in Loop: Header=BB49_9 Depth=1
	s_or_b64 exec, exec, s[10:11]
	s_and_saveexec_b64 s[10:11], s[26:27]
	s_cbranch_execnz .LBB49_15
.LBB49_12:                              ;   in Loop: Header=BB49_9 Depth=1
	s_or_b64 exec, exec, s[10:11]
	s_and_saveexec_b64 s[10:11], s[4:5]
	s_cbranch_execz .LBB49_8
	s_branch .LBB49_16
.LBB49_13:                              ;   in Loop: Header=BB49_9 Depth=1
	v_cndmask_b32_e64 v22, v10, v6, s[0:1]
	v_cndmask_b32_e64 v23, v11, v7, s[0:1]
	v_mov_b32_e32 v24, s23
	v_add_co_u32_e32 v22, vcc, s22, v22
	v_addc_co_u32_e32 v23, vcc, v24, v23, vcc
	global_load_dword v26, v[22:23], off
	v_mov_b32_e32 v23, s15
	v_add_co_u32_e32 v22, vcc, s13, v0
	v_addc_co_u32_e32 v23, vcc, 0, v23, vcc
	v_add_co_u32_e32 v24, vcc, v12, v13
	v_addc_co_u32_e32 v25, vcc, v1, v17, vcc
	global_store_dwordx2 v[24:25], v[22:23], off offset:-256
	v_add_co_u32_e32 v22, vcc, v16, v20
	v_addc_co_u32_e32 v23, vcc, v3, v21, vcc
	s_waitcnt vmcnt(1)
	global_store_dword v[22:23], v26, off offset:-128
	s_or_b64 exec, exec, s[10:11]
	s_and_saveexec_b64 s[10:11], s[2:3]
	s_cbranch_execz .LBB49_11
.LBB49_14:                              ;   in Loop: Header=BB49_9 Depth=1
	v_mov_b32_e32 v22, s23
	v_add_co_u32_e32 v23, vcc, s22, v6
	v_addc_co_u32_e32 v24, vcc, v22, v7, vcc
	v_add_co_u32_e32 v25, vcc, 0x80, v23
	v_addc_co_u32_e32 v23, vcc, 0, v24, vcc
	;; [unrolled: 2-line block ×3, first 2 shown]
	v_cndmask_b32_e64 v23, v22, v23, s[0:1]
	v_cndmask_b32_e64 v22, v24, v25, s[0:1]
	global_load_dword v26, v[22:23], off
	v_mov_b32_e32 v23, s15
	v_add_co_u32_e32 v22, vcc, s13, v2
	v_addc_co_u32_e32 v23, vcc, 0, v23, vcc
	v_add_co_u32_e32 v24, vcc, v12, v13
	v_addc_co_u32_e32 v25, vcc, v1, v17, vcc
	global_store_dwordx2 v[24:25], v[22:23], off
	v_add_co_u32_e32 v22, vcc, v16, v20
	v_addc_co_u32_e32 v23, vcc, v3, v21, vcc
	s_waitcnt vmcnt(1)
	global_store_dword v[22:23], v26, off
	s_or_b64 exec, exec, s[10:11]
	s_and_saveexec_b64 s[10:11], s[26:27]
	s_cbranch_execz .LBB49_12
.LBB49_15:                              ;   in Loop: Header=BB49_9 Depth=1
	v_mov_b32_e32 v22, s23
	v_add_co_u32_e32 v24, vcc, s22, v4
	v_addc_co_u32_e32 v23, vcc, v22, v5, vcc
	v_add_co_u32_e32 v25, vcc, s22, v10
	v_addc_co_u32_e32 v22, vcc, v22, v11, vcc
	;; [unrolled: 2-line block ×3, first 2 shown]
	v_cndmask_b32_e64 v23, v22, v23, s[0:1]
	v_cndmask_b32_e64 v22, v25, v24, s[0:1]
	global_load_dword v26, v[22:23], off
	v_mov_b32_e32 v23, s15
	v_add_co_u32_e32 v22, vcc, s13, v0
	v_addc_co_u32_e32 v23, vcc, 0, v23, vcc
	v_add_co_u32_e32 v24, vcc, v12, v18
	v_addc_co_u32_e32 v25, vcc, v1, v19, vcc
	global_store_dwordx2 v[24:25], v[22:23], off
	v_add_co_u32_e32 v22, vcc, v16, v14
	v_addc_co_u32_e32 v23, vcc, v3, v15, vcc
	s_waitcnt vmcnt(1)
	global_store_dword v[22:23], v26, off
	s_or_b64 exec, exec, s[10:11]
	s_and_saveexec_b64 s[10:11], s[4:5]
	s_cbranch_execz .LBB49_8
.LBB49_16:                              ;   in Loop: Header=BB49_9 Depth=1
	v_cndmask_b32_e64 v22, v8, v4, s[0:1]
	v_cndmask_b32_e64 v23, v9, v5, s[0:1]
	v_mov_b32_e32 v24, s23
	v_add_co_u32_e32 v22, vcc, s22, v22
	v_addc_co_u32_e32 v23, vcc, v24, v23, vcc
	global_load_dword v26, v[22:23], off offset:128
	v_mov_b32_e32 v23, s15
	v_add_co_u32_e32 v22, vcc, s13, v2
	v_addc_co_u32_e32 v23, vcc, 0, v23, vcc
	v_add_co_u32_e32 v24, vcc, v12, v18
	v_addc_co_u32_e32 v25, vcc, v1, v19, vcc
	global_store_dwordx2 v[24:25], v[22:23], off offset:256
	v_add_co_u32_e32 v22, vcc, v16, v14
	v_addc_co_u32_e32 v23, vcc, v3, v15, vcc
	s_waitcnt vmcnt(1)
	global_store_dword v[22:23], v26, off offset:128
	s_branch .LBB49_8
.LBB49_17:
	s_endpgm
	.section	.rodata,"a",@progbits
	.p2align	6, 0x0
	.amdhsa_kernel _ZN9rocsparseL35bsr2csr_block_per_row_33_256_kernelILj1024ELj64ELj32EillEEv20rocsparse_direction_T4_S2_21rocsparse_index_base_PKT2_PKT3_PKS2_S2_S3_PS4_PS7_PS2_
		.amdhsa_group_segment_fixed_size 0
		.amdhsa_private_segment_fixed_size 0
		.amdhsa_kernarg_size 96
		.amdhsa_user_sgpr_count 6
		.amdhsa_user_sgpr_private_segment_buffer 1
		.amdhsa_user_sgpr_dispatch_ptr 0
		.amdhsa_user_sgpr_queue_ptr 0
		.amdhsa_user_sgpr_kernarg_segment_ptr 1
		.amdhsa_user_sgpr_dispatch_id 0
		.amdhsa_user_sgpr_flat_scratch_init 0
		.amdhsa_user_sgpr_kernarg_preload_length 0
		.amdhsa_user_sgpr_kernarg_preload_offset 0
		.amdhsa_user_sgpr_private_segment_size 0
		.amdhsa_uses_dynamic_stack 0
		.amdhsa_system_sgpr_private_segment_wavefront_offset 0
		.amdhsa_system_sgpr_workgroup_id_x 1
		.amdhsa_system_sgpr_workgroup_id_y 0
		.amdhsa_system_sgpr_workgroup_id_z 0
		.amdhsa_system_sgpr_workgroup_info 0
		.amdhsa_system_vgpr_workitem_id 0
		.amdhsa_next_free_vgpr 27
		.amdhsa_next_free_sgpr 42
		.amdhsa_accum_offset 28
		.amdhsa_reserve_vcc 1
		.amdhsa_reserve_flat_scratch 0
		.amdhsa_float_round_mode_32 0
		.amdhsa_float_round_mode_16_64 0
		.amdhsa_float_denorm_mode_32 3
		.amdhsa_float_denorm_mode_16_64 3
		.amdhsa_dx10_clamp 1
		.amdhsa_ieee_mode 1
		.amdhsa_fp16_overflow 0
		.amdhsa_tg_split 0
		.amdhsa_exception_fp_ieee_invalid_op 0
		.amdhsa_exception_fp_denorm_src 0
		.amdhsa_exception_fp_ieee_div_zero 0
		.amdhsa_exception_fp_ieee_overflow 0
		.amdhsa_exception_fp_ieee_underflow 0
		.amdhsa_exception_fp_ieee_inexact 0
		.amdhsa_exception_int_div_zero 0
	.end_amdhsa_kernel
	.section	.text._ZN9rocsparseL35bsr2csr_block_per_row_33_256_kernelILj1024ELj64ELj32EillEEv20rocsparse_direction_T4_S2_21rocsparse_index_base_PKT2_PKT3_PKS2_S2_S3_PS4_PS7_PS2_,"axG",@progbits,_ZN9rocsparseL35bsr2csr_block_per_row_33_256_kernelILj1024ELj64ELj32EillEEv20rocsparse_direction_T4_S2_21rocsparse_index_base_PKT2_PKT3_PKS2_S2_S3_PS4_PS7_PS2_,comdat
.Lfunc_end49:
	.size	_ZN9rocsparseL35bsr2csr_block_per_row_33_256_kernelILj1024ELj64ELj32EillEEv20rocsparse_direction_T4_S2_21rocsparse_index_base_PKT2_PKT3_PKS2_S2_S3_PS4_PS7_PS2_, .Lfunc_end49-_ZN9rocsparseL35bsr2csr_block_per_row_33_256_kernelILj1024ELj64ELj32EillEEv20rocsparse_direction_T4_S2_21rocsparse_index_base_PKT2_PKT3_PKS2_S2_S3_PS4_PS7_PS2_
                                        ; -- End function
	.section	.AMDGPU.csdata,"",@progbits
; Kernel info:
; codeLenInByte = 1568
; NumSgprs: 46
; NumVgprs: 27
; NumAgprs: 0
; TotalNumVgprs: 27
; ScratchSize: 0
; MemoryBound: 0
; FloatMode: 240
; IeeeMode: 1
; LDSByteSize: 0 bytes/workgroup (compile time only)
; SGPRBlocks: 5
; VGPRBlocks: 3
; NumSGPRsForWavesPerEU: 46
; NumVGPRsForWavesPerEU: 27
; AccumOffset: 28
; Occupancy: 8
; WaveLimiterHint : 1
; COMPUTE_PGM_RSRC2:SCRATCH_EN: 0
; COMPUTE_PGM_RSRC2:USER_SGPR: 6
; COMPUTE_PGM_RSRC2:TRAP_HANDLER: 0
; COMPUTE_PGM_RSRC2:TGID_X_EN: 1
; COMPUTE_PGM_RSRC2:TGID_Y_EN: 0
; COMPUTE_PGM_RSRC2:TGID_Z_EN: 0
; COMPUTE_PGM_RSRC2:TIDIG_COMP_CNT: 0
; COMPUTE_PGM_RSRC3_GFX90A:ACCUM_OFFSET: 6
; COMPUTE_PGM_RSRC3_GFX90A:TG_SPLIT: 0
	.section	.text._ZN9rocsparseL35bsr2csr_block_per_row_33_256_kernelILj1024ELj128ELj32EillEEv20rocsparse_direction_T4_S2_21rocsparse_index_base_PKT2_PKT3_PKS2_S2_S3_PS4_PS7_PS2_,"axG",@progbits,_ZN9rocsparseL35bsr2csr_block_per_row_33_256_kernelILj1024ELj128ELj32EillEEv20rocsparse_direction_T4_S2_21rocsparse_index_base_PKT2_PKT3_PKS2_S2_S3_PS4_PS7_PS2_,comdat
	.globl	_ZN9rocsparseL35bsr2csr_block_per_row_33_256_kernelILj1024ELj128ELj32EillEEv20rocsparse_direction_T4_S2_21rocsparse_index_base_PKT2_PKT3_PKS2_S2_S3_PS4_PS7_PS2_ ; -- Begin function _ZN9rocsparseL35bsr2csr_block_per_row_33_256_kernelILj1024ELj128ELj32EillEEv20rocsparse_direction_T4_S2_21rocsparse_index_base_PKT2_PKT3_PKS2_S2_S3_PS4_PS7_PS2_
	.p2align	8
	.type	_ZN9rocsparseL35bsr2csr_block_per_row_33_256_kernelILj1024ELj128ELj32EillEEv20rocsparse_direction_T4_S2_21rocsparse_index_base_PKT2_PKT3_PKS2_S2_S3_PS4_PS7_PS2_,@function
_ZN9rocsparseL35bsr2csr_block_per_row_33_256_kernelILj1024ELj128ELj32EillEEv20rocsparse_direction_T4_S2_21rocsparse_index_base_PKT2_PKT3_PKS2_S2_S3_PS4_PS7_PS2_: ; @_ZN9rocsparseL35bsr2csr_block_per_row_33_256_kernelILj1024ELj128ELj32EillEEv20rocsparse_direction_T4_S2_21rocsparse_index_base_PKT2_PKT3_PKS2_S2_S3_PS4_PS7_PS2_
; %bb.0:
	s_load_dwordx2 s[2:3], s[4:5], 0x28
	s_load_dword s20, s[4:5], 0x40
	s_load_dwordx2 s[0:1], s[4:5], 0x50
	s_mov_b32 s23, 0
	s_mov_b32 s7, s23
	s_lshl_b64 s[8:9], s[6:7], 3
	s_waitcnt lgkmcnt(0)
	s_add_u32 s2, s2, s8
	s_addc_u32 s3, s3, s9
	s_load_dwordx4 s[16:19], s[2:3], 0x0
	v_or_b32_e32 v1, s6, v0
	v_cmp_eq_u32_e32 vcc, 0, v1
	s_and_saveexec_b64 s[2:3], vcc
	s_cbranch_execz .LBB50_2
; %bb.1:
	s_mov_b32 s21, s23
	v_mov_b32_e32 v1, 0
	v_pk_mov_b32 v[2:3], s[20:21], s[20:21] op_sel:[0,1]
	global_store_dwordx2 v1, v[2:3], s[0:1]
.LBB50_2:
	s_or_b64 exec, exec, s[2:3]
	s_load_dword s22, s[4:5], 0x18
	s_load_dwordx2 s[24:25], s[4:5], 0x38
	v_mov_b32_e32 v27, 0
	v_lshrrev_b32_e32 v26, 5, v0
	v_lshlrev_b32_e32 v1, 3, v26
	s_waitcnt lgkmcnt(0)
	s_sub_u32 s26, s16, s22
	s_subb_u32 s27, s17, 0
	s_mul_i32 s2, s26, s25
	s_sub_u32 s28, s18, s22
	s_mul_hi_u32 s3, s26, s24
	s_subb_u32 s29, s19, 0
	s_add_i32 s2, s3, s2
	s_mul_i32 s3, s27, s24
	s_mul_i32 s56, s26, s24
	s_add_i32 s57, s2, s3
	s_mul_i32 s2, s56, s25
	s_mul_hi_u32 s3, s56, s24
	s_add_i32 s2, s3, s2
	s_mul_i32 s3, s57, s24
	s_add_i32 s2, s2, s3
	s_sub_u32 s33, s28, s26
	s_subb_u32 s21, s29, s27
	s_mul_i32 s7, s33, s25
	s_mul_hi_u32 s8, s33, s24
	s_add_i32 s7, s8, s7
	s_mul_i32 s8, s21, s24
	s_mul_i32 s3, s56, s24
	s_add_i32 s30, s7, s8
	s_add_u32 s3, s3, s20
	s_mul_i32 s31, s33, s24
	s_addc_u32 s2, s2, 0
	s_add_u32 s12, s3, s31
	s_addc_u32 s13, s2, s30
	s_mul_i32 s2, s6, s25
	s_mul_hi_u32 s3, s6, s24
	s_add_i32 s3, s3, s2
	s_mul_i32 s2, s6, s24
	s_lshl_b64 s[2:3], s[2:3], 3
	s_add_u32 s0, s0, s2
	s_addc_u32 s1, s1, s3
	v_cmp_gt_i64_e64 s[2:3], s[24:25], v[26:27]
	s_and_saveexec_b64 s[6:7], s[2:3]
	s_cbranch_execz .LBB50_4
; %bb.3:
	v_pk_mov_b32 v[2:3], s[12:13], s[12:13] op_sel:[0,1]
	v_mad_u64_u32 v[2:3], s[8:9], v26, s31, v[2:3]
	v_mov_b32_e32 v4, v3
	v_mad_u64_u32 v[4:5], s[8:9], v26, s30, v[4:5]
	v_mov_b32_e32 v3, v4
	global_store_dwordx2 v1, v[2:3], s[0:1] offset:8
.LBB50_4:
	s_or_b64 exec, exec, s[6:7]
	s_add_u32 s0, s0, 8
	v_or_b32_e32 v2, 32, v26
	v_mov_b32_e32 v3, v27
	s_addc_u32 s1, s1, 0
	v_cmp_gt_i64_e64 s[6:7], s[24:25], v[2:3]
	s_and_saveexec_b64 s[8:9], s[6:7]
	s_cbranch_execz .LBB50_6
; %bb.5:
	v_pk_mov_b32 v[4:5], s[12:13], s[12:13] op_sel:[0,1]
	v_mad_u64_u32 v[4:5], s[10:11], v2, s31, v[4:5]
	v_mov_b32_e32 v6, v5
	v_mad_u64_u32 v[2:3], s[10:11], v2, s30, v[6:7]
	v_mov_b32_e32 v5, v2
	global_store_dwordx2 v1, v[4:5], s[0:1] offset:256
.LBB50_6:
	s_or_b64 exec, exec, s[8:9]
	v_or_b32_e32 v2, 64, v26
	v_mov_b32_e32 v3, v27
	v_cmp_gt_i64_e64 s[8:9], s[24:25], v[2:3]
	s_and_saveexec_b64 s[10:11], s[8:9]
	s_cbranch_execz .LBB50_8
; %bb.7:
	v_pk_mov_b32 v[4:5], s[12:13], s[12:13] op_sel:[0,1]
	v_mad_u64_u32 v[4:5], s[14:15], v2, s31, v[4:5]
	v_mov_b32_e32 v6, v5
	v_mad_u64_u32 v[2:3], s[14:15], v2, s30, v[6:7]
	v_mov_b32_e32 v5, v2
	global_store_dwordx2 v1, v[4:5], s[0:1] offset:512
.LBB50_8:
	s_or_b64 exec, exec, s[10:11]
	v_or_b32_e32 v2, 0x60, v26
	v_mov_b32_e32 v3, v27
	v_cmp_gt_i64_e64 s[10:11], s[24:25], v[2:3]
	s_and_saveexec_b64 s[14:15], s[10:11]
	s_cbranch_execz .LBB50_10
; %bb.9:
	v_pk_mov_b32 v[4:5], s[12:13], s[12:13] op_sel:[0,1]
	v_mad_u64_u32 v[4:5], s[12:13], v2, s31, v[4:5]
	v_mov_b32_e32 v6, v5
	v_mad_u64_u32 v[2:3], s[12:13], v2, s30, v[6:7]
	v_mov_b32_e32 v5, v2
	global_store_dwordx2 v1, v[4:5], s[0:1] offset:768
.LBB50_10:
	s_or_b64 exec, exec, s[14:15]
	v_pk_mov_b32 v[2:3], s[18:19], s[18:19] op_sel:[0,1]
	v_cmp_lt_i64_e32 vcc, s[16:17], v[2:3]
	s_cbranch_vccz .LBB50_45
; %bb.11:
	s_load_dwordx2 s[54:55], s[4:5], 0x30
	s_load_dwordx2 s[58:59], s[4:5], 0x48
	s_load_dword s0, s[4:5], 0x0
	s_load_dwordx2 s[30:31], s[4:5], 0x20
	s_load_dwordx2 s[60:61], s[4:5], 0x58
	v_and_b32_e32 v0, 31, v0
	v_mov_b32_e32 v1, 0
	s_waitcnt lgkmcnt(0)
	s_cmp_eq_u32 s0, 0
	s_cselect_b64 s[0:1], -1, 0
	v_cmp_gt_i64_e32 vcc, s[24:25], v[0:1]
	v_or_b32_e32 v2, 32, v0
	v_mov_b32_e32 v3, v1
	v_or_b32_e32 v4, 64, v0
	v_mov_b32_e32 v5, v1
	s_lshl_b64 s[62:63], s[56:57], 2
	v_lshlrev_b32_e32 v24, 2, v26
	s_and_b64 s[34:35], s[2:3], vcc
	v_cmp_gt_i64_e64 s[4:5], s[24:25], v[2:3]
	v_cmp_gt_i64_e64 s[12:13], s[24:25], v[4:5]
	v_or_b32_e32 v6, 0x60, v0
	v_mov_b32_e32 v7, v1
	s_and_b64 s[40:41], s[6:7], vcc
	s_and_b64 s[46:47], s[8:9], vcc
	;; [unrolled: 1-line block ×3, first 2 shown]
	v_mov_b32_e32 v3, s63
	v_add_co_u32_e32 v5, vcc, s62, v24
	v_cmp_gt_i64_e64 s[14:15], s[24:25], v[6:7]
	v_addc_co_u32_e32 v7, vcc, 0, v3, vcc
	s_movk_i32 s66, 0x180
	v_add_co_u32_e32 v10, vcc, s66, v5
	v_addc_co_u32_e32 v11, vcc, 0, v7, vcc
	v_lshlrev_b32_e32 v8, 2, v0
	v_mov_b32_e32 v9, v1
	s_and_b64 s[36:37], s[2:3], s[4:5]
	s_and_b64 s[38:39], s[2:3], s[12:13]
	s_and_b64 s[2:3], s[2:3], s[14:15]
	s_and_b64 s[42:43], s[6:7], s[4:5]
	s_and_b64 s[44:45], s[6:7], s[12:13]
	s_and_b64 s[6:7], s[6:7], s[14:15]
	s_and_b64 s[48:49], s[8:9], s[4:5]
	s_and_b64 s[50:51], s[8:9], s[12:13]
	s_and_b64 s[8:9], s[8:9], s[14:15]
	s_and_b64 s[4:5], s[10:11], s[4:5]
	s_and_b64 s[12:13], s[10:11], s[12:13]
	s_and_b64 s[10:11], s[10:11], s[14:15]
	v_mov_b32_e32 v25, v1
	v_mul_lo_u32 v1, s24, v11
	v_mul_lo_u32 v12, s25, v10
	v_mad_u64_u32 v[10:11], s[14:15], s24, v10, v[8:9]
	s_movk_i32 s67, 0x100
	v_add3_u32 v11, v12, v11, v1
	v_add_co_u32_e32 v1, vcc, s67, v5
	v_addc_co_u32_e32 v12, vcc, 0, v7, vcc
	s_movk_i32 s68, 0x80
	v_mul_lo_u32 v14, s24, v12
	v_mul_lo_u32 v15, s25, v1
	v_mad_u64_u32 v[12:13], s[64:65], s24, v1, v[8:9]
	v_add_co_u32_e32 v1, vcc, s68, v5
	v_add3_u32 v13, v15, v13, v14
	v_addc_co_u32_e32 v14, vcc, 0, v7, vcc
	v_mul_lo_u32 v16, s24, v14
	v_mul_lo_u32 v17, s25, v1
	v_mad_u64_u32 v[14:15], s[64:65], s24, v1, v[8:9]
	v_add3_u32 v15, v17, v15, v16
	v_mul_lo_u32 v1, s24, v7
	v_mul_lo_u32 v7, s25, v5
	v_mad_u64_u32 v[16:17], s[64:65], s24, v5, v[8:9]
	v_add3_u32 v17, v7, v17, v1
	v_add_co_u32_e32 v1, vcc, s62, v8
	v_addc_co_u32_e32 v3, vcc, 0, v3, vcc
	v_mul_lo_u32 v5, s24, v3
	v_mul_lo_u32 v7, s25, v1
	v_mad_u64_u32 v[18:19], s[62:63], s24, v1, v[24:25]
	v_add3_u32 v19, v7, v19, v5
	v_add_co_u32_e32 v5, vcc, s68, v1
	v_addc_co_u32_e32 v7, vcc, 0, v3, vcc
	v_mul_lo_u32 v7, s24, v7
	v_mul_lo_u32 v9, s25, v5
	v_mad_u64_u32 v[20:21], s[62:63], s24, v5, v[24:25]
	v_add_co_u32_e32 v5, vcc, s67, v1
	v_add3_u32 v21, v9, v21, v7
	v_addc_co_u32_e32 v7, vcc, 0, v3, vcc
	v_pk_mov_b32 v[28:29], s[56:57], s[56:57] op_sel:[0,1]
	v_add_co_u32_e32 v1, vcc, s66, v1
	v_mad_u64_u32 v[38:39], s[56:57], v26, s33, v[28:29]
	v_addc_co_u32_e32 v3, vcc, 0, v3, vcc
	v_mov_b32_e32 v28, v39
	s_mul_i32 s14, s24, s25
	s_mul_hi_u32 s15, s24, s24
	v_mul_lo_u32 v9, s25, v5
	v_mad_u64_u32 v[22:23], s[62:63], s24, v5, v[24:25]
	v_mul_lo_u32 v3, s24, v3
	v_mul_lo_u32 v5, s25, v1
	v_mad_u64_u32 v[24:25], s[62:63], s24, v1, v[24:25]
	v_mad_u64_u32 v[26:27], s[56:57], v26, s21, v[28:29]
	s_add_i32 s15, s15, s14
	v_add3_u32 v25, v5, v25, v3
	v_mul_lo_u32 v1, s25, v38
	v_mul_lo_u32 v3, s24, v26
	v_mad_u64_u32 v[28:29], s[56:57], s24, v38, 0
	s_add_i32 s15, s15, s14
	s_mul_i32 s14, s24, s24
	v_add3_u32 v29, v29, v3, v1
	s_lshl_b64 s[14:15], s[14:15], 2
	s_lshl_b64 s[62:63], s[16:17], 3
	;; [unrolled: 1-line block ×3, first 2 shown]
	v_mov_b32_e32 v39, v26
	v_lshlrev_b64 v[26:27], 3, v[28:29]
	s_sub_u32 s23, s62, s64
	v_mov_b32_e32 v42, s61
	v_add_co_u32_e32 v26, vcc, s60, v26
	s_subb_u32 s62, s63, s65
	v_addc_co_u32_e32 v1, vcc, v42, v27, vcc
	v_lshlrev_b64 v[28:29], 2, v[28:29]
	s_add_u32 s54, s54, s23
	v_mov_b32_e32 v43, s59
	v_add_co_u32_e32 v28, vcc, s58, v28
	v_mul_lo_u32 v7, s24, v7
	s_addc_u32 s55, s55, s62
	v_addc_co_u32_e32 v3, vcc, v43, v29, vcc
	s_lshl_b64 s[56:57], s[18:19], 5
	v_add3_u32 v23, v9, v23, v7
	v_mov_b32_e32 v5, s57
	v_add_co_u32_e32 v7, vcc, s56, v38
	v_addc_co_u32_e32 v5, vcc, v39, v5, vcc
	s_lshl_b64 s[56:57], s[16:17], 5
	v_mov_b32_e32 v9, s57
	v_subrev_co_u32_e32 v7, vcc, s56, v7
	v_subb_co_u32_e32 v5, vcc, v5, v9, vcc
	v_mul_lo_u32 v9, s25, v7
	v_mul_lo_u32 v5, s24, v5
	v_mad_u64_u32 v[32:33], s[56:57], s24, v7, 0
	v_add3_u32 v33, v33, v5, v9
	v_lshlrev_b64 v[30:31], 2, v[32:33]
	v_add_co_u32_e32 v30, vcc, s58, v30
	v_mov_b32_e32 v9, 0x60
	v_addc_co_u32_e32 v5, vcc, v43, v31, vcc
	v_lshlrev_b64 v[32:33], 3, v[32:33]
	v_mad_u64_u32 v[34:35], s[56:57], s18, v9, v[38:39]
	s_mul_i32 s21, s19, 0x60
	v_add_co_u32_e32 v32, vcc, s60, v32
	v_add_u32_e32 v9, s21, v35
	s_mul_i32 s21, s17, 0x60
	s_mul_hi_u32 s23, s16, 0x60
	v_addc_co_u32_e32 v7, vcc, v42, v33, vcc
	s_add_i32 s21, s23, s21
	s_mul_i32 s23, s16, 0x60
	v_mov_b32_e32 v27, s21
	v_subrev_co_u32_e32 v29, vcc, s23, v34
	v_subb_co_u32_e32 v9, vcc, v9, v27, vcc
	v_mul_lo_u32 v27, s25, v29
	v_mul_lo_u32 v9, s24, v9
	v_mad_u64_u32 v[36:37], s[56:57], s24, v29, 0
	v_add3_u32 v37, v37, v9, v27
	v_lshlrev_b64 v[34:35], 3, v[36:37]
	v_add_co_u32_e32 v34, vcc, s60, v34
	v_addc_co_u32_e32 v9, vcc, v42, v35, vcc
	v_lshlrev_b64 v[36:37], 2, v[36:37]
	v_add_co_u32_e32 v36, vcc, s58, v36
	v_addc_co_u32_e32 v27, vcc, v43, v37, vcc
	s_lshl_b64 s[18:19], s[18:19], 6
	v_mov_b32_e32 v29, s19
	v_add_co_u32_e32 v31, vcc, s18, v38
	v_addc_co_u32_e32 v29, vcc, v39, v29, vcc
	s_lshl_b64 s[16:17], s[16:17], 6
	v_mov_b32_e32 v33, s17
	v_subrev_co_u32_e32 v31, vcc, s16, v31
	v_subb_co_u32_e32 v29, vcc, v29, v33, vcc
	v_mul_lo_u32 v33, s25, v31
	v_mul_lo_u32 v29, s24, v29
	v_mad_u64_u32 v[40:41], s[16:17], s24, v31, 0
	v_add3_u32 v41, v41, v29, v33
	v_lshlrev_b64 v[38:39], 2, v[40:41]
	v_add_co_u32_e32 v38, vcc, s58, v38
	v_addc_co_u32_e32 v29, vcc, v43, v39, vcc
	v_lshlrev_b64 v[40:41], 3, v[40:41]
	v_add_co_u32_e32 v40, vcc, s60, v40
	v_addc_co_u32_e32 v31, vcc, v42, v41, vcc
	v_lshlrev_b32_e32 v42, 3, v0
	s_lshl_b64 s[16:17], s[24:25], 3
	s_lshl_b64 s[18:19], s[24:25], 2
	s_branch .LBB50_13
.LBB50_12:                              ;   in Loop: Header=BB50_13 Depth=1
	s_or_b64 exec, exec, s[56:57]
	v_mov_b32_e32 v33, s17
	v_add_co_u32_e32 v26, vcc, s16, v26
	v_addc_co_u32_e32 v1, vcc, v1, v33, vcc
	v_mov_b32_e32 v35, s19
	v_add_co_u32_e32 v28, vcc, s18, v28
	v_addc_co_u32_e32 v3, vcc, v3, v35, vcc
	v_add_co_u32_e32 v30, vcc, s18, v30
	v_addc_co_u32_e32 v5, vcc, v5, v35, vcc
	;; [unrolled: 2-line block ×5, first 2 shown]
	s_add_u32 s26, s26, 1
	v_add_co_u32_e32 v38, vcc, s18, v38
	s_addc_u32 s27, s27, 0
	v_addc_co_u32_e32 v29, vcc, v29, v35, vcc
	s_add_u32 s30, s30, s14
	v_add_co_u32_e32 v40, vcc, s16, v40
	s_addc_u32 s31, s31, s15
	v_addc_co_u32_e32 v31, vcc, v31, v33, vcc
	v_pk_mov_b32 v[44:45], s[28:29], s[28:29] op_sel:[0,1]
	s_add_u32 s54, s54, 8
	v_cmp_ge_i64_e32 vcc, s[26:27], v[44:45]
	s_addc_u32 s55, s55, 0
	s_cbranch_vccnz .LBB50_45
.LBB50_13:                              ; =>This Inner Loop Header: Depth=1
	s_load_dwordx2 s[56:57], s[54:55], 0x0
	s_waitcnt lgkmcnt(0)
	s_sub_u32 s21, s56, s22
	s_subb_u32 s23, s57, 0
	s_mul_i32 s33, s21, s25
	s_mul_hi_u32 s56, s21, s24
	s_add_i32 s33, s56, s33
	s_mul_i32 s23, s23, s24
	s_add_i32 s33, s33, s23
	s_mul_i32 s21, s21, s24
	s_add_u32 s21, s21, s20
	s_addc_u32 s23, s33, 0
	s_and_saveexec_b64 s[56:57], s[34:35]
	s_cbranch_execnz .LBB50_29
; %bb.14:                               ;   in Loop: Header=BB50_13 Depth=1
	s_or_b64 exec, exec, s[56:57]
	s_and_saveexec_b64 s[56:57], s[36:37]
	s_cbranch_execnz .LBB50_30
.LBB50_15:                              ;   in Loop: Header=BB50_13 Depth=1
	s_or_b64 exec, exec, s[56:57]
	s_and_saveexec_b64 s[56:57], s[38:39]
	s_cbranch_execnz .LBB50_31
.LBB50_16:                              ;   in Loop: Header=BB50_13 Depth=1
	s_or_b64 exec, exec, s[56:57]
	s_and_saveexec_b64 s[56:57], s[2:3]
	s_cbranch_execnz .LBB50_32
.LBB50_17:                              ;   in Loop: Header=BB50_13 Depth=1
	s_or_b64 exec, exec, s[56:57]
	s_and_saveexec_b64 s[56:57], s[40:41]
	s_cbranch_execnz .LBB50_33
.LBB50_18:                              ;   in Loop: Header=BB50_13 Depth=1
	s_or_b64 exec, exec, s[56:57]
	s_and_saveexec_b64 s[56:57], s[42:43]
	s_cbranch_execnz .LBB50_34
.LBB50_19:                              ;   in Loop: Header=BB50_13 Depth=1
	s_or_b64 exec, exec, s[56:57]
	s_and_saveexec_b64 s[56:57], s[44:45]
	s_cbranch_execnz .LBB50_35
.LBB50_20:                              ;   in Loop: Header=BB50_13 Depth=1
	s_or_b64 exec, exec, s[56:57]
	s_and_saveexec_b64 s[56:57], s[6:7]
	s_cbranch_execnz .LBB50_36
.LBB50_21:                              ;   in Loop: Header=BB50_13 Depth=1
	s_or_b64 exec, exec, s[56:57]
	s_and_saveexec_b64 s[56:57], s[46:47]
	s_cbranch_execnz .LBB50_37
.LBB50_22:                              ;   in Loop: Header=BB50_13 Depth=1
	s_or_b64 exec, exec, s[56:57]
	s_and_saveexec_b64 s[56:57], s[48:49]
	s_cbranch_execnz .LBB50_38
.LBB50_23:                              ;   in Loop: Header=BB50_13 Depth=1
	s_or_b64 exec, exec, s[56:57]
	s_and_saveexec_b64 s[56:57], s[50:51]
	s_cbranch_execnz .LBB50_39
.LBB50_24:                              ;   in Loop: Header=BB50_13 Depth=1
	s_or_b64 exec, exec, s[56:57]
	s_and_saveexec_b64 s[56:57], s[8:9]
	s_cbranch_execnz .LBB50_40
.LBB50_25:                              ;   in Loop: Header=BB50_13 Depth=1
	s_or_b64 exec, exec, s[56:57]
	s_and_saveexec_b64 s[56:57], s[52:53]
	s_cbranch_execnz .LBB50_41
.LBB50_26:                              ;   in Loop: Header=BB50_13 Depth=1
	s_or_b64 exec, exec, s[56:57]
	s_and_saveexec_b64 s[56:57], s[4:5]
	s_cbranch_execnz .LBB50_42
.LBB50_27:                              ;   in Loop: Header=BB50_13 Depth=1
	s_or_b64 exec, exec, s[56:57]
	s_and_saveexec_b64 s[56:57], s[12:13]
	s_cbranch_execnz .LBB50_43
.LBB50_28:                              ;   in Loop: Header=BB50_13 Depth=1
	s_or_b64 exec, exec, s[56:57]
	s_and_saveexec_b64 s[56:57], s[10:11]
	s_cbranch_execz .LBB50_12
	s_branch .LBB50_44
.LBB50_29:                              ;   in Loop: Header=BB50_13 Depth=1
	v_cndmask_b32_e64 v35, v18, v16, s[0:1]
	v_cndmask_b32_e64 v33, v19, v17, s[0:1]
	v_mov_b32_e32 v37, s31
	v_add_co_u32_e32 v44, vcc, s30, v35
	v_addc_co_u32_e32 v45, vcc, v37, v33, vcc
	global_load_dword v33, v[44:45], off
	v_mov_b32_e32 v35, s23
	v_add_co_u32_e32 v44, vcc, s21, v0
	v_addc_co_u32_e32 v45, vcc, 0, v35, vcc
	v_add_co_u32_e32 v46, vcc, v26, v42
	v_addc_co_u32_e32 v47, vcc, 0, v1, vcc
	global_store_dwordx2 v[46:47], v[44:45], off
	v_add_co_u32_e32 v44, vcc, v28, v8
	v_addc_co_u32_e32 v45, vcc, 0, v3, vcc
	s_waitcnt vmcnt(1)
	global_store_dword v[44:45], v33, off
	s_or_b64 exec, exec, s[56:57]
	s_and_saveexec_b64 s[56:57], s[36:37]
	s_cbranch_execz .LBB50_15
.LBB50_30:                              ;   in Loop: Header=BB50_13 Depth=1
	v_mov_b32_e32 v33, s31
	v_add_co_u32_e32 v35, vcc, s30, v16
	v_addc_co_u32_e32 v37, vcc, v33, v17, vcc
	v_add_co_u32_e32 v35, vcc, 0x80, v35
	v_addc_co_u32_e32 v37, vcc, 0, v37, vcc
	;; [unrolled: 2-line block ×3, first 2 shown]
	v_cndmask_b32_e64 v45, v33, v37, s[0:1]
	v_cndmask_b32_e64 v44, v39, v35, s[0:1]
	global_load_dword v33, v[44:45], off
	v_mov_b32_e32 v35, s23
	v_add_co_u32_e32 v44, vcc, s21, v2
	v_addc_co_u32_e32 v45, vcc, 0, v35, vcc
	v_add_co_u32_e32 v46, vcc, v26, v42
	v_addc_co_u32_e32 v47, vcc, 0, v1, vcc
	global_store_dwordx2 v[46:47], v[44:45], off offset:256
	v_add_co_u32_e32 v44, vcc, v28, v8
	v_addc_co_u32_e32 v45, vcc, 0, v3, vcc
	s_waitcnt vmcnt(1)
	global_store_dword v[44:45], v33, off offset:128
	s_or_b64 exec, exec, s[56:57]
	s_and_saveexec_b64 s[56:57], s[38:39]
	s_cbranch_execz .LBB50_16
.LBB50_31:                              ;   in Loop: Header=BB50_13 Depth=1
	v_mov_b32_e32 v33, s31
	v_add_co_u32_e32 v35, vcc, s30, v16
	v_addc_co_u32_e32 v37, vcc, v33, v17, vcc
	v_add_co_u32_e32 v35, vcc, 0x100, v35
	v_addc_co_u32_e32 v37, vcc, 0, v37, vcc
	;; [unrolled: 2-line block ×3, first 2 shown]
	v_cndmask_b32_e64 v45, v33, v37, s[0:1]
	v_cndmask_b32_e64 v44, v39, v35, s[0:1]
	global_load_dword v33, v[44:45], off
	v_mov_b32_e32 v35, s23
	v_add_co_u32_e32 v44, vcc, s21, v4
	v_addc_co_u32_e32 v45, vcc, 0, v35, vcc
	v_add_co_u32_e32 v46, vcc, v26, v42
	v_addc_co_u32_e32 v47, vcc, 0, v1, vcc
	global_store_dwordx2 v[46:47], v[44:45], off offset:512
	v_add_co_u32_e32 v44, vcc, v28, v8
	v_addc_co_u32_e32 v45, vcc, 0, v3, vcc
	s_waitcnt vmcnt(1)
	global_store_dword v[44:45], v33, off offset:256
	s_or_b64 exec, exec, s[56:57]
	s_and_saveexec_b64 s[56:57], s[2:3]
	s_cbranch_execz .LBB50_17
.LBB50_32:                              ;   in Loop: Header=BB50_13 Depth=1
	v_mov_b32_e32 v33, s31
	v_add_co_u32_e32 v35, vcc, s30, v16
	v_addc_co_u32_e32 v37, vcc, v33, v17, vcc
	v_add_co_u32_e32 v35, vcc, 0x180, v35
	v_addc_co_u32_e32 v37, vcc, 0, v37, vcc
	;; [unrolled: 2-line block ×3, first 2 shown]
	v_cndmask_b32_e64 v45, v33, v37, s[0:1]
	v_cndmask_b32_e64 v44, v39, v35, s[0:1]
	global_load_dword v33, v[44:45], off
	v_mov_b32_e32 v35, s23
	v_add_co_u32_e32 v44, vcc, s21, v6
	v_addc_co_u32_e32 v45, vcc, 0, v35, vcc
	v_add_co_u32_e32 v46, vcc, v26, v42
	v_addc_co_u32_e32 v47, vcc, 0, v1, vcc
	global_store_dwordx2 v[46:47], v[44:45], off offset:768
	v_add_co_u32_e32 v44, vcc, v28, v8
	v_addc_co_u32_e32 v45, vcc, 0, v3, vcc
	s_waitcnt vmcnt(1)
	global_store_dword v[44:45], v33, off offset:384
	s_or_b64 exec, exec, s[56:57]
	s_and_saveexec_b64 s[56:57], s[40:41]
	s_cbranch_execz .LBB50_18
.LBB50_33:                              ;   in Loop: Header=BB50_13 Depth=1
	v_mov_b32_e32 v33, s31
	v_add_co_u32_e32 v35, vcc, s30, v14
	v_addc_co_u32_e32 v37, vcc, v33, v15, vcc
	v_add_co_u32_e32 v39, vcc, s30, v18
	v_addc_co_u32_e32 v33, vcc, v33, v19, vcc
	;; [unrolled: 2-line block ×3, first 2 shown]
	v_cndmask_b32_e64 v45, v33, v37, s[0:1]
	v_cndmask_b32_e64 v44, v39, v35, s[0:1]
	global_load_dword v33, v[44:45], off
	v_mov_b32_e32 v35, s23
	v_add_co_u32_e32 v44, vcc, s21, v0
	v_addc_co_u32_e32 v45, vcc, 0, v35, vcc
	v_add_co_u32_e32 v46, vcc, v32, v42
	v_addc_co_u32_e32 v47, vcc, 0, v7, vcc
	global_store_dwordx2 v[46:47], v[44:45], off
	v_add_co_u32_e32 v44, vcc, v30, v8
	v_addc_co_u32_e32 v45, vcc, 0, v5, vcc
	s_waitcnt vmcnt(1)
	global_store_dword v[44:45], v33, off
	s_or_b64 exec, exec, s[56:57]
	s_and_saveexec_b64 s[56:57], s[42:43]
	s_cbranch_execz .LBB50_19
.LBB50_34:                              ;   in Loop: Header=BB50_13 Depth=1
	v_cndmask_b32_e64 v35, v20, v14, s[0:1]
	v_cndmask_b32_e64 v33, v21, v15, s[0:1]
	v_mov_b32_e32 v37, s31
	v_add_co_u32_e32 v44, vcc, s30, v35
	v_addc_co_u32_e32 v45, vcc, v37, v33, vcc
	global_load_dword v33, v[44:45], off offset:128
	v_mov_b32_e32 v35, s23
	v_add_co_u32_e32 v44, vcc, s21, v2
	v_addc_co_u32_e32 v45, vcc, 0, v35, vcc
	v_add_co_u32_e32 v46, vcc, v32, v42
	v_addc_co_u32_e32 v47, vcc, 0, v7, vcc
	global_store_dwordx2 v[46:47], v[44:45], off offset:256
	v_add_co_u32_e32 v44, vcc, v30, v8
	v_addc_co_u32_e32 v45, vcc, 0, v5, vcc
	s_waitcnt vmcnt(1)
	global_store_dword v[44:45], v33, off offset:128
	s_or_b64 exec, exec, s[56:57]
	s_and_saveexec_b64 s[56:57], s[44:45]
	s_cbranch_execz .LBB50_20
.LBB50_35:                              ;   in Loop: Header=BB50_13 Depth=1
	v_mov_b32_e32 v33, s31
	v_add_co_u32_e32 v35, vcc, s30, v14
	v_addc_co_u32_e32 v37, vcc, v33, v15, vcc
	v_add_co_u32_e32 v35, vcc, 0x100, v35
	v_addc_co_u32_e32 v37, vcc, 0, v37, vcc
	v_add_co_u32_e32 v39, vcc, s30, v22
	v_addc_co_u32_e32 v33, vcc, v33, v23, vcc
	v_add_co_u32_e32 v39, vcc, 0x80, v39
	v_addc_co_u32_e32 v33, vcc, 0, v33, vcc
	v_cndmask_b32_e64 v45, v33, v37, s[0:1]
	v_cndmask_b32_e64 v44, v39, v35, s[0:1]
	global_load_dword v33, v[44:45], off
	v_mov_b32_e32 v35, s23
	v_add_co_u32_e32 v44, vcc, s21, v4
	v_addc_co_u32_e32 v45, vcc, 0, v35, vcc
	v_add_co_u32_e32 v46, vcc, v32, v42
	v_addc_co_u32_e32 v47, vcc, 0, v7, vcc
	global_store_dwordx2 v[46:47], v[44:45], off offset:512
	v_add_co_u32_e32 v44, vcc, v30, v8
	v_addc_co_u32_e32 v45, vcc, 0, v5, vcc
	s_waitcnt vmcnt(1)
	global_store_dword v[44:45], v33, off offset:256
	s_or_b64 exec, exec, s[56:57]
	s_and_saveexec_b64 s[56:57], s[6:7]
	s_cbranch_execz .LBB50_21
.LBB50_36:                              ;   in Loop: Header=BB50_13 Depth=1
	v_mov_b32_e32 v33, s31
	v_add_co_u32_e32 v35, vcc, s30, v14
	v_addc_co_u32_e32 v37, vcc, v33, v15, vcc
	v_add_co_u32_e32 v35, vcc, 0x180, v35
	v_addc_co_u32_e32 v37, vcc, 0, v37, vcc
	;; [unrolled: 2-line block ×4, first 2 shown]
	v_cndmask_b32_e64 v45, v33, v37, s[0:1]
	v_cndmask_b32_e64 v44, v39, v35, s[0:1]
	global_load_dword v33, v[44:45], off
	v_mov_b32_e32 v35, s23
	v_add_co_u32_e32 v44, vcc, s21, v6
	v_addc_co_u32_e32 v45, vcc, 0, v35, vcc
	v_add_co_u32_e32 v46, vcc, v32, v42
	v_addc_co_u32_e32 v47, vcc, 0, v7, vcc
	global_store_dwordx2 v[46:47], v[44:45], off offset:768
	v_add_co_u32_e32 v44, vcc, v30, v8
	v_addc_co_u32_e32 v45, vcc, 0, v5, vcc
	s_waitcnt vmcnt(1)
	global_store_dword v[44:45], v33, off offset:384
	s_or_b64 exec, exec, s[56:57]
	s_and_saveexec_b64 s[56:57], s[46:47]
	s_cbranch_execz .LBB50_22
.LBB50_37:                              ;   in Loop: Header=BB50_13 Depth=1
	v_mov_b32_e32 v33, s31
	v_add_co_u32_e32 v35, vcc, s30, v12
	v_addc_co_u32_e32 v37, vcc, v33, v13, vcc
	v_add_co_u32_e32 v39, vcc, s30, v18
	v_addc_co_u32_e32 v33, vcc, v33, v19, vcc
	;; [unrolled: 2-line block ×3, first 2 shown]
	v_cndmask_b32_e64 v45, v33, v37, s[0:1]
	v_cndmask_b32_e64 v44, v39, v35, s[0:1]
	global_load_dword v33, v[44:45], off
	v_mov_b32_e32 v35, s23
	v_add_co_u32_e32 v44, vcc, s21, v0
	v_addc_co_u32_e32 v45, vcc, 0, v35, vcc
	v_add_co_u32_e32 v46, vcc, v40, v42
	v_addc_co_u32_e32 v47, vcc, 0, v31, vcc
	global_store_dwordx2 v[46:47], v[44:45], off
	v_add_co_u32_e32 v44, vcc, v38, v8
	v_addc_co_u32_e32 v45, vcc, 0, v29, vcc
	s_waitcnt vmcnt(1)
	global_store_dword v[44:45], v33, off
	s_or_b64 exec, exec, s[56:57]
	s_and_saveexec_b64 s[56:57], s[48:49]
	s_cbranch_execz .LBB50_23
.LBB50_38:                              ;   in Loop: Header=BB50_13 Depth=1
	v_mov_b32_e32 v33, s31
	v_add_co_u32_e32 v35, vcc, s30, v12
	v_addc_co_u32_e32 v37, vcc, v33, v13, vcc
	v_add_co_u32_e32 v35, vcc, 0x80, v35
	v_addc_co_u32_e32 v37, vcc, 0, v37, vcc
	v_add_co_u32_e32 v39, vcc, s30, v20
	v_addc_co_u32_e32 v33, vcc, v33, v21, vcc
	v_add_co_u32_e32 v39, vcc, 0x100, v39
	v_addc_co_u32_e32 v33, vcc, 0, v33, vcc
	v_cndmask_b32_e64 v45, v33, v37, s[0:1]
	v_cndmask_b32_e64 v44, v39, v35, s[0:1]
	global_load_dword v33, v[44:45], off
	v_mov_b32_e32 v35, s23
	v_add_co_u32_e32 v44, vcc, s21, v2
	v_addc_co_u32_e32 v45, vcc, 0, v35, vcc
	v_add_co_u32_e32 v46, vcc, v40, v42
	v_addc_co_u32_e32 v47, vcc, 0, v31, vcc
	global_store_dwordx2 v[46:47], v[44:45], off offset:256
	v_add_co_u32_e32 v44, vcc, v38, v8
	v_addc_co_u32_e32 v45, vcc, 0, v29, vcc
	s_waitcnt vmcnt(1)
	global_store_dword v[44:45], v33, off offset:128
	s_or_b64 exec, exec, s[56:57]
	s_and_saveexec_b64 s[56:57], s[50:51]
	s_cbranch_execz .LBB50_24
.LBB50_39:                              ;   in Loop: Header=BB50_13 Depth=1
	v_cndmask_b32_e64 v35, v22, v12, s[0:1]
	v_cndmask_b32_e64 v33, v23, v13, s[0:1]
	v_mov_b32_e32 v37, s31
	v_add_co_u32_e32 v44, vcc, s30, v35
	v_addc_co_u32_e32 v45, vcc, v37, v33, vcc
	global_load_dword v33, v[44:45], off offset:256
	v_mov_b32_e32 v35, s23
	v_add_co_u32_e32 v44, vcc, s21, v4
	v_addc_co_u32_e32 v45, vcc, 0, v35, vcc
	v_add_co_u32_e32 v46, vcc, v40, v42
	v_addc_co_u32_e32 v47, vcc, 0, v31, vcc
	global_store_dwordx2 v[46:47], v[44:45], off offset:512
	v_add_co_u32_e32 v44, vcc, v38, v8
	v_addc_co_u32_e32 v45, vcc, 0, v29, vcc
	s_waitcnt vmcnt(1)
	global_store_dword v[44:45], v33, off offset:256
	s_or_b64 exec, exec, s[56:57]
	s_and_saveexec_b64 s[56:57], s[8:9]
	s_cbranch_execz .LBB50_25
.LBB50_40:                              ;   in Loop: Header=BB50_13 Depth=1
	v_mov_b32_e32 v33, s31
	v_add_co_u32_e32 v35, vcc, s30, v12
	v_addc_co_u32_e32 v37, vcc, v33, v13, vcc
	v_add_co_u32_e32 v35, vcc, 0x180, v35
	v_addc_co_u32_e32 v37, vcc, 0, v37, vcc
	;; [unrolled: 2-line block ×4, first 2 shown]
	v_cndmask_b32_e64 v45, v33, v37, s[0:1]
	v_cndmask_b32_e64 v44, v39, v35, s[0:1]
	global_load_dword v33, v[44:45], off
	v_mov_b32_e32 v35, s23
	v_add_co_u32_e32 v44, vcc, s21, v6
	v_addc_co_u32_e32 v45, vcc, 0, v35, vcc
	v_add_co_u32_e32 v46, vcc, v40, v42
	v_addc_co_u32_e32 v47, vcc, 0, v31, vcc
	global_store_dwordx2 v[46:47], v[44:45], off offset:768
	v_add_co_u32_e32 v44, vcc, v38, v8
	v_addc_co_u32_e32 v45, vcc, 0, v29, vcc
	s_waitcnt vmcnt(1)
	global_store_dword v[44:45], v33, off offset:384
	s_or_b64 exec, exec, s[56:57]
	s_and_saveexec_b64 s[56:57], s[52:53]
	s_cbranch_execz .LBB50_26
.LBB50_41:                              ;   in Loop: Header=BB50_13 Depth=1
	v_mov_b32_e32 v33, s31
	v_add_co_u32_e32 v35, vcc, s30, v10
	v_addc_co_u32_e32 v37, vcc, v33, v11, vcc
	v_add_co_u32_e32 v39, vcc, s30, v18
	v_addc_co_u32_e32 v33, vcc, v33, v19, vcc
	;; [unrolled: 2-line block ×3, first 2 shown]
	v_cndmask_b32_e64 v45, v33, v37, s[0:1]
	v_cndmask_b32_e64 v44, v39, v35, s[0:1]
	global_load_dword v33, v[44:45], off
	v_mov_b32_e32 v35, s23
	v_add_co_u32_e32 v44, vcc, s21, v0
	v_addc_co_u32_e32 v45, vcc, 0, v35, vcc
	v_add_co_u32_e32 v46, vcc, v34, v42
	v_addc_co_u32_e32 v47, vcc, 0, v9, vcc
	global_store_dwordx2 v[46:47], v[44:45], off
	v_add_co_u32_e32 v44, vcc, v36, v8
	v_addc_co_u32_e32 v45, vcc, 0, v27, vcc
	s_waitcnt vmcnt(1)
	global_store_dword v[44:45], v33, off
	s_or_b64 exec, exec, s[56:57]
	s_and_saveexec_b64 s[56:57], s[4:5]
	s_cbranch_execz .LBB50_27
.LBB50_42:                              ;   in Loop: Header=BB50_13 Depth=1
	v_mov_b32_e32 v33, s31
	v_add_co_u32_e32 v35, vcc, s30, v10
	v_addc_co_u32_e32 v37, vcc, v33, v11, vcc
	v_add_co_u32_e32 v35, vcc, 0x80, v35
	v_addc_co_u32_e32 v37, vcc, 0, v37, vcc
	;; [unrolled: 2-line block ×4, first 2 shown]
	v_cndmask_b32_e64 v45, v33, v37, s[0:1]
	v_cndmask_b32_e64 v44, v39, v35, s[0:1]
	global_load_dword v33, v[44:45], off
	v_mov_b32_e32 v35, s23
	v_add_co_u32_e32 v44, vcc, s21, v2
	v_addc_co_u32_e32 v45, vcc, 0, v35, vcc
	v_add_co_u32_e32 v46, vcc, v34, v42
	v_addc_co_u32_e32 v47, vcc, 0, v9, vcc
	global_store_dwordx2 v[46:47], v[44:45], off offset:256
	v_add_co_u32_e32 v44, vcc, v36, v8
	v_addc_co_u32_e32 v45, vcc, 0, v27, vcc
	s_waitcnt vmcnt(1)
	global_store_dword v[44:45], v33, off offset:128
	s_or_b64 exec, exec, s[56:57]
	s_and_saveexec_b64 s[56:57], s[12:13]
	s_cbranch_execz .LBB50_28
.LBB50_43:                              ;   in Loop: Header=BB50_13 Depth=1
	v_mov_b32_e32 v33, s31
	v_add_co_u32_e32 v35, vcc, s30, v10
	v_addc_co_u32_e32 v37, vcc, v33, v11, vcc
	v_add_co_u32_e32 v35, vcc, 0x100, v35
	v_addc_co_u32_e32 v37, vcc, 0, v37, vcc
	;; [unrolled: 2-line block ×4, first 2 shown]
	v_cndmask_b32_e64 v45, v33, v37, s[0:1]
	v_cndmask_b32_e64 v44, v39, v35, s[0:1]
	global_load_dword v33, v[44:45], off
	v_mov_b32_e32 v35, s23
	v_add_co_u32_e32 v44, vcc, s21, v4
	v_addc_co_u32_e32 v45, vcc, 0, v35, vcc
	v_add_co_u32_e32 v46, vcc, v34, v42
	v_addc_co_u32_e32 v47, vcc, 0, v9, vcc
	global_store_dwordx2 v[46:47], v[44:45], off offset:512
	v_add_co_u32_e32 v44, vcc, v36, v8
	v_addc_co_u32_e32 v45, vcc, 0, v27, vcc
	s_waitcnt vmcnt(1)
	global_store_dword v[44:45], v33, off offset:256
	s_or_b64 exec, exec, s[56:57]
	s_and_saveexec_b64 s[56:57], s[10:11]
	s_cbranch_execz .LBB50_12
.LBB50_44:                              ;   in Loop: Header=BB50_13 Depth=1
	v_cndmask_b32_e64 v35, v24, v10, s[0:1]
	v_cndmask_b32_e64 v33, v25, v11, s[0:1]
	v_mov_b32_e32 v37, s31
	v_add_co_u32_e32 v44, vcc, s30, v35
	v_addc_co_u32_e32 v45, vcc, v37, v33, vcc
	global_load_dword v33, v[44:45], off offset:384
	v_mov_b32_e32 v35, s23
	v_add_co_u32_e32 v44, vcc, s21, v6
	v_addc_co_u32_e32 v45, vcc, 0, v35, vcc
	v_add_co_u32_e32 v46, vcc, v34, v42
	v_addc_co_u32_e32 v47, vcc, 0, v9, vcc
	global_store_dwordx2 v[46:47], v[44:45], off offset:768
	v_add_co_u32_e32 v44, vcc, v36, v8
	v_addc_co_u32_e32 v45, vcc, 0, v27, vcc
	s_waitcnt vmcnt(1)
	global_store_dword v[44:45], v33, off offset:384
	s_branch .LBB50_12
.LBB50_45:
	s_endpgm
	.section	.rodata,"a",@progbits
	.p2align	6, 0x0
	.amdhsa_kernel _ZN9rocsparseL35bsr2csr_block_per_row_33_256_kernelILj1024ELj128ELj32EillEEv20rocsparse_direction_T4_S2_21rocsparse_index_base_PKT2_PKT3_PKS2_S2_S3_PS4_PS7_PS2_
		.amdhsa_group_segment_fixed_size 0
		.amdhsa_private_segment_fixed_size 0
		.amdhsa_kernarg_size 96
		.amdhsa_user_sgpr_count 6
		.amdhsa_user_sgpr_private_segment_buffer 1
		.amdhsa_user_sgpr_dispatch_ptr 0
		.amdhsa_user_sgpr_queue_ptr 0
		.amdhsa_user_sgpr_kernarg_segment_ptr 1
		.amdhsa_user_sgpr_dispatch_id 0
		.amdhsa_user_sgpr_flat_scratch_init 0
		.amdhsa_user_sgpr_kernarg_preload_length 0
		.amdhsa_user_sgpr_kernarg_preload_offset 0
		.amdhsa_user_sgpr_private_segment_size 0
		.amdhsa_uses_dynamic_stack 0
		.amdhsa_system_sgpr_private_segment_wavefront_offset 0
		.amdhsa_system_sgpr_workgroup_id_x 1
		.amdhsa_system_sgpr_workgroup_id_y 0
		.amdhsa_system_sgpr_workgroup_id_z 0
		.amdhsa_system_sgpr_workgroup_info 0
		.amdhsa_system_vgpr_workitem_id 0
		.amdhsa_next_free_vgpr 48
		.amdhsa_next_free_sgpr 69
		.amdhsa_accum_offset 48
		.amdhsa_reserve_vcc 1
		.amdhsa_reserve_flat_scratch 0
		.amdhsa_float_round_mode_32 0
		.amdhsa_float_round_mode_16_64 0
		.amdhsa_float_denorm_mode_32 3
		.amdhsa_float_denorm_mode_16_64 3
		.amdhsa_dx10_clamp 1
		.amdhsa_ieee_mode 1
		.amdhsa_fp16_overflow 0
		.amdhsa_tg_split 0
		.amdhsa_exception_fp_ieee_invalid_op 0
		.amdhsa_exception_fp_denorm_src 0
		.amdhsa_exception_fp_ieee_div_zero 0
		.amdhsa_exception_fp_ieee_overflow 0
		.amdhsa_exception_fp_ieee_underflow 0
		.amdhsa_exception_fp_ieee_inexact 0
		.amdhsa_exception_int_div_zero 0
	.end_amdhsa_kernel
	.section	.text._ZN9rocsparseL35bsr2csr_block_per_row_33_256_kernelILj1024ELj128ELj32EillEEv20rocsparse_direction_T4_S2_21rocsparse_index_base_PKT2_PKT3_PKS2_S2_S3_PS4_PS7_PS2_,"axG",@progbits,_ZN9rocsparseL35bsr2csr_block_per_row_33_256_kernelILj1024ELj128ELj32EillEEv20rocsparse_direction_T4_S2_21rocsparse_index_base_PKT2_PKT3_PKS2_S2_S3_PS4_PS7_PS2_,comdat
.Lfunc_end50:
	.size	_ZN9rocsparseL35bsr2csr_block_per_row_33_256_kernelILj1024ELj128ELj32EillEEv20rocsparse_direction_T4_S2_21rocsparse_index_base_PKT2_PKT3_PKS2_S2_S3_PS4_PS7_PS2_, .Lfunc_end50-_ZN9rocsparseL35bsr2csr_block_per_row_33_256_kernelILj1024ELj128ELj32EillEEv20rocsparse_direction_T4_S2_21rocsparse_index_base_PKT2_PKT3_PKS2_S2_S3_PS4_PS7_PS2_
                                        ; -- End function
	.section	.AMDGPU.csdata,"",@progbits
; Kernel info:
; codeLenInByte = 3796
; NumSgprs: 73
; NumVgprs: 48
; NumAgprs: 0
; TotalNumVgprs: 48
; ScratchSize: 0
; MemoryBound: 0
; FloatMode: 240
; IeeeMode: 1
; LDSByteSize: 0 bytes/workgroup (compile time only)
; SGPRBlocks: 9
; VGPRBlocks: 5
; NumSGPRsForWavesPerEU: 73
; NumVGPRsForWavesPerEU: 48
; AccumOffset: 48
; Occupancy: 8
; WaveLimiterHint : 1
; COMPUTE_PGM_RSRC2:SCRATCH_EN: 0
; COMPUTE_PGM_RSRC2:USER_SGPR: 6
; COMPUTE_PGM_RSRC2:TRAP_HANDLER: 0
; COMPUTE_PGM_RSRC2:TGID_X_EN: 1
; COMPUTE_PGM_RSRC2:TGID_Y_EN: 0
; COMPUTE_PGM_RSRC2:TGID_Z_EN: 0
; COMPUTE_PGM_RSRC2:TIDIG_COMP_CNT: 0
; COMPUTE_PGM_RSRC3_GFX90A:ACCUM_OFFSET: 11
; COMPUTE_PGM_RSRC3_GFX90A:TG_SPLIT: 0
	.section	.text._ZN9rocsparseL35bsr2csr_block_per_row_33_256_kernelILj1024ELj256ELj32EillEEv20rocsparse_direction_T4_S2_21rocsparse_index_base_PKT2_PKT3_PKS2_S2_S3_PS4_PS7_PS2_,"axG",@progbits,_ZN9rocsparseL35bsr2csr_block_per_row_33_256_kernelILj1024ELj256ELj32EillEEv20rocsparse_direction_T4_S2_21rocsparse_index_base_PKT2_PKT3_PKS2_S2_S3_PS4_PS7_PS2_,comdat
	.globl	_ZN9rocsparseL35bsr2csr_block_per_row_33_256_kernelILj1024ELj256ELj32EillEEv20rocsparse_direction_T4_S2_21rocsparse_index_base_PKT2_PKT3_PKS2_S2_S3_PS4_PS7_PS2_ ; -- Begin function _ZN9rocsparseL35bsr2csr_block_per_row_33_256_kernelILj1024ELj256ELj32EillEEv20rocsparse_direction_T4_S2_21rocsparse_index_base_PKT2_PKT3_PKS2_S2_S3_PS4_PS7_PS2_
	.p2align	8
	.type	_ZN9rocsparseL35bsr2csr_block_per_row_33_256_kernelILj1024ELj256ELj32EillEEv20rocsparse_direction_T4_S2_21rocsparse_index_base_PKT2_PKT3_PKS2_S2_S3_PS4_PS7_PS2_,@function
_ZN9rocsparseL35bsr2csr_block_per_row_33_256_kernelILj1024ELj256ELj32EillEEv20rocsparse_direction_T4_S2_21rocsparse_index_base_PKT2_PKT3_PKS2_S2_S3_PS4_PS7_PS2_: ; @_ZN9rocsparseL35bsr2csr_block_per_row_33_256_kernelILj1024ELj256ELj32EillEEv20rocsparse_direction_T4_S2_21rocsparse_index_base_PKT2_PKT3_PKS2_S2_S3_PS4_PS7_PS2_
; %bb.0:
	s_load_dwordx2 s[0:1], s[4:5], 0x28
	s_load_dword s10, s[4:5], 0x40
	s_load_dwordx2 s[2:3], s[4:5], 0x50
	s_mov_b32 s11, 0
	s_mov_b32 s7, s11
	s_lshl_b64 s[8:9], s[6:7], 3
	s_waitcnt lgkmcnt(0)
	s_add_u32 s0, s0, s8
	s_addc_u32 s1, s1, s9
	s_load_dwordx4 s[20:23], s[0:1], 0x0
	v_or_b32_e32 v1, s6, v0
	v_cmp_eq_u32_e32 vcc, 0, v1
	s_and_saveexec_b64 s[0:1], vcc
	s_cbranch_execz .LBB51_2
; %bb.1:
	v_mov_b32_e32 v1, 0
	v_pk_mov_b32 v[2:3], s[10:11], s[10:11] op_sel:[0,1]
	global_store_dwordx2 v1, v[2:3], s[2:3]
.LBB51_2:
	s_or_b64 exec, exec, s[0:1]
	s_load_dword s1, s[4:5], 0x18
	s_load_dwordx2 s[40:41], s[4:5], 0x38
                                        ; implicit-def: $vgpr75 : SGPR spill to VGPR lane
	v_mov_b32_e32 v3, 0
	v_lshrrev_b32_e32 v2, 5, v0
	v_lshlrev_b32_e32 v1, 3, v2
	s_waitcnt lgkmcnt(0)
	s_sub_u32 s50, s20, s1
	s_subb_u32 s51, s21, 0
	s_mul_i32 s0, s50, s41
	v_writelane_b32 v75, s1, 0
	s_sub_u32 s44, s22, s1
	s_mul_hi_u32 s1, s50, s40
	s_subb_u32 s45, s23, 0
	s_add_i32 s0, s1, s0
	s_mul_i32 s1, s51, s40
	s_add_i32 s0, s0, s1
	s_mul_i32 s1, s50, s40
	s_mul_i32 s7, s1, s41
	s_mul_hi_u32 s8, s1, s40
	s_add_i32 s7, s8, s7
	s_mul_i32 s0, s0, s40
	s_add_i32 s7, s7, s0
	s_sub_u32 s38, s44, s50
	s_subb_u32 s39, s45, s51
	s_mul_i32 s0, s38, s41
	s_mul_hi_u32 s8, s38, s40
	s_add_i32 s0, s8, s0
	s_mul_i32 s8, s39, s40
	s_mul_i32 s1, s1, s40
	s_add_i32 s28, s0, s8
	s_mov_b32 s0, s10
	v_writelane_b32 v75, s0, 1
	v_writelane_b32 v75, s1, 2
	s_add_u32 s0, s1, s10
	s_mul_i32 s29, s38, s40
	s_addc_u32 s1, s7, 0
	s_add_u32 s0, s0, s29
	s_mul_i32 s7, s6, s41
	s_mul_hi_u32 s8, s6, s40
	s_addc_u32 s1, s1, s28
	s_add_i32 s7, s8, s7
	s_mul_i32 s6, s6, s40
	s_lshl_b64 s[6:7], s[6:7], 3
	s_add_u32 s2, s2, s6
	s_addc_u32 s3, s3, s7
	v_cmp_gt_i64_e64 s[6:7], s[40:41], v[2:3]
	s_and_saveexec_b64 s[8:9], s[6:7]
	s_cbranch_execz .LBB51_4
; %bb.3:
	v_pk_mov_b32 v[4:5], s[0:1], s[0:1] op_sel:[0,1]
	v_mad_u64_u32 v[4:5], s[10:11], v2, s29, v[4:5]
	v_mov_b32_e32 v6, v5
	v_mad_u64_u32 v[6:7], s[10:11], v2, s28, v[6:7]
	v_mov_b32_e32 v5, v6
	global_store_dwordx2 v1, v[4:5], s[2:3] offset:8
.LBB51_4:
	s_or_b64 exec, exec, s[8:9]
	s_add_u32 s24, s2, 8
	v_or_b32_e32 v4, 32, v2
	v_mov_b32_e32 v5, v3
	s_addc_u32 s25, s3, 0
	v_cmp_gt_i64_e64 s[2:3], s[40:41], v[4:5]
	s_and_saveexec_b64 s[8:9], s[2:3]
	s_cbranch_execz .LBB51_6
; %bb.5:
	v_pk_mov_b32 v[6:7], s[0:1], s[0:1] op_sel:[0,1]
	v_mad_u64_u32 v[6:7], s[10:11], v4, s29, v[6:7]
	v_mov_b32_e32 v8, v7
	v_mad_u64_u32 v[4:5], s[10:11], v4, s28, v[8:9]
	v_mov_b32_e32 v7, v4
	global_store_dwordx2 v1, v[6:7], s[24:25] offset:256
.LBB51_6:
	s_or_b64 exec, exec, s[8:9]
	v_or_b32_e32 v4, 64, v2
	v_mov_b32_e32 v5, v3
	v_cmp_gt_i64_e64 s[8:9], s[40:41], v[4:5]
	s_and_saveexec_b64 s[10:11], s[8:9]
	s_cbranch_execz .LBB51_8
; %bb.7:
	v_pk_mov_b32 v[6:7], s[0:1], s[0:1] op_sel:[0,1]
	v_mad_u64_u32 v[6:7], s[12:13], v4, s29, v[6:7]
	v_mov_b32_e32 v8, v7
	v_mad_u64_u32 v[4:5], s[12:13], v4, s28, v[8:9]
	v_mov_b32_e32 v7, v4
	global_store_dwordx2 v1, v[6:7], s[24:25] offset:512
.LBB51_8:
	s_or_b64 exec, exec, s[10:11]
	v_or_b32_e32 v4, 0x60, v2
	v_mov_b32_e32 v5, v3
	;; [unrolled: 14-line block ×6, first 2 shown]
	v_cmp_gt_i64_e64 s[18:19], s[40:41], v[4:5]
	s_and_saveexec_b64 s[26:27], s[18:19]
	s_cbranch_execz .LBB51_18
; %bb.17:
	v_pk_mov_b32 v[6:7], s[0:1], s[0:1] op_sel:[0,1]
	v_mad_u64_u32 v[6:7], s[0:1], v4, s29, v[6:7]
	v_mov_b32_e32 v8, v7
	v_mad_u64_u32 v[4:5], s[0:1], v4, s28, v[8:9]
	v_mov_b32_e32 v7, v4
	global_store_dwordx2 v1, v[6:7], s[24:25] offset:1792
.LBB51_18:
	s_or_b64 exec, exec, s[26:27]
	v_pk_mov_b32 v[4:5], s[22:23], s[22:23] op_sel:[0,1]
	v_cmp_lt_i64_e32 vcc, s[20:21], v[4:5]
	s_cbranch_vccz .LBB51_149
; %bb.19:
	s_mul_i32 s1, s40, s41
	s_mul_hi_u32 s20, s40, s40
	s_load_dword s0, s[4:5], 0x0
	s_add_i32 s20, s20, s1
	s_add_i32 s1, s20, s1
	s_mul_i32 s33, s40, s40
	v_writelane_b32 v75, s1, 3
	s_mul_i32 s1, s50, s1
	s_mul_hi_u32 s20, s50, s33
	s_add_i32 s1, s20, s1
	s_mul_i32 s20, s51, s33
	s_add_i32 s47, s1, s20
	s_waitcnt lgkmcnt(0)
	s_cmp_eq_u32 s0, 0
	s_cselect_b64 s[0:1], -1, 0
	s_lshl_b64 s[52:53], s[40:41], 5
	v_and_b32_e32 v0, 31, v0
	v_pk_mov_b32 v[6:7], s[52:53], s[52:53] op_sel:[0,1]
	v_mul_lo_u32 v24, v0, s41
	v_mad_u64_u32 v[6:7], s[22:23], v0, s40, v[6:7]
	v_add_u32_e32 v7, v24, v7
	v_mov_b32_e32 v3, s53
	v_add_co_u32_e64 v28, s[24:25], s52, v6
	s_load_dwordx2 s[48:49], s[4:5], 0x48
	s_load_dwordx2 s[20:21], s[4:5], 0x20
	v_addc_co_u32_e64 v29, s[24:25], v7, v3, s[24:25]
	v_add_co_u32_e64 v30, s[26:27], s52, v28
	v_addc_co_u32_e64 v31, s[26:27], v29, v3, s[26:27]
	v_add_co_u32_e64 v32, s[28:29], s52, v30
	;; [unrolled: 2-line block ×4, first 2 shown]
	v_mov_b32_e32 v1, 0
	v_addc_co_u32_e64 v37, s[34:35], v35, v3, s[34:35]
	v_add_co_u32_e64 v38, s[36:37], s52, v36
	s_waitcnt lgkmcnt(0)
	v_writelane_b32 v75, s20, 4
	v_cmp_gt_i64_e32 vcc, s[40:41], v[0:1]
	v_addc_co_u32_e64 v39, s[36:37], v37, v3, s[36:37]
	v_mad_u64_u32 v[20:21], s[36:37], v2, s38, 0
	v_writelane_b32 v75, s21, 5
	v_or_b32_e32 v4, 32, v0
	v_mov_b32_e32 v5, v1
	s_and_b64 s[36:37], s[6:7], vcc
	v_cmp_gt_i64_e64 s[20:21], s[40:41], v[4:5]
	v_writelane_b32 v75, s36, 6
	v_or_b32_e32 v8, 64, v0
	v_mov_b32_e32 v9, v1
	v_writelane_b32 v75, s37, 7
	s_and_b64 s[36:37], s[6:7], s[20:21]
	v_cmp_gt_i64_e64 s[22:23], s[40:41], v[8:9]
	v_writelane_b32 v75, s36, 8
	v_or_b32_e32 v10, 0x60, v0
	v_mov_b32_e32 v11, v1
	v_writelane_b32 v75, s37, 9
	s_and_b64 s[36:37], s[6:7], s[22:23]
	;; [unrolled: 6-line block ×6, first 2 shown]
	v_cmp_gt_i64_e64 s[34:35], s[40:41], v[18:19]
	v_writelane_b32 v75, s36, 18
	v_writelane_b32 v75, s37, 19
	s_and_b64 s[6:7], s[6:7], s[34:35]
	s_lshl_b64 s[36:37], s[38:39], 5
	v_writelane_b32 v75, s6, 20
	v_pk_mov_b32 v[22:23], s[36:37], s[36:37] op_sel:[0,1]
	v_writelane_b32 v75, s7, 21
	v_mad_u64_u32 v[22:23], s[6:7], v2, s38, v[22:23]
	s_and_b64 s[6:7], s[2:3], vcc
	v_writelane_b32 v75, s6, 22
	v_writelane_b32 v75, s7, 23
	s_and_b64 s[6:7], s[2:3], s[20:21]
	v_writelane_b32 v75, s6, 24
	v_writelane_b32 v75, s7, 25
	s_and_b64 s[6:7], s[2:3], s[22:23]
	;; [unrolled: 3-line block ×3, first 2 shown]
	v_mul_lo_u32 v25, v2, s39
	v_writelane_b32 v75, s6, 28
	v_add_u32_e32 v23, v25, v23
	v_writelane_b32 v75, s7, 29
	v_mov_b32_e32 v26, s37
	v_add_co_u32_e64 v1, s[6:7], s36, v22
	v_addc_co_u32_e64 v3, s[6:7], v23, v26, s[6:7]
	v_add_co_u32_e64 v5, s[6:7], s36, v1
	v_addc_co_u32_e64 v9, s[6:7], v3, v26, s[6:7]
	;; [unrolled: 2-line block ×5, first 2 shown]
	s_and_b64 s[6:7], s[2:3], s[26:27]
	v_writelane_b32 v75, s6, 30
	v_writelane_b32 v75, s7, 31
	v_add_co_u32_e64 v61, s[6:7], s36, v19
	v_addc_co_u32_e64 v62, s[6:7], v60, v26, s[6:7]
	s_and_b64 s[6:7], s[2:3], s[28:29]
	v_writelane_b32 v75, s6, 32
	v_writelane_b32 v75, s7, 33
	s_and_b64 s[6:7], s[2:3], s[30:31]
	v_writelane_b32 v75, s6, 34
	v_writelane_b32 v75, s7, 35
	;; [unrolled: 3-line block ×3, first 2 shown]
	s_and_b64 s[2:3], s[8:9], vcc
	v_writelane_b32 v75, s2, 38
	v_writelane_b32 v75, s3, 39
	s_and_b64 s[2:3], s[8:9], s[20:21]
	v_writelane_b32 v75, s2, 40
	v_writelane_b32 v75, s3, 41
	s_and_b64 s[2:3], s[8:9], s[22:23]
	;; [unrolled: 3-line block ×7, first 2 shown]
	v_writelane_b32 v75, s2, 52
	v_writelane_b32 v75, s3, 53
	s_and_b64 s[2:3], s[10:11], vcc
	v_writelane_b32 v75, s2, 54
	v_writelane_b32 v75, s3, 55
	s_and_b64 s[2:3], s[10:11], s[20:21]
	v_writelane_b32 v75, s2, 56
	v_writelane_b32 v75, s3, 57
	s_and_b64 s[2:3], s[10:11], s[22:23]
	v_writelane_b32 v75, s2, 58
	v_writelane_b32 v75, s3, 59
	s_and_b64 s[2:3], s[10:11], s[24:25]
	v_writelane_b32 v75, s2, 60
	v_writelane_b32 v75, s3, 61
	s_and_b64 s[2:3], s[10:11], s[26:27]
	v_writelane_b32 v75, s2, 62
	v_writelane_b32 v75, s3, 63
	s_and_b64 s[2:3], s[10:11], s[28:29]
                                        ; implicit-def: $vgpr74 : SGPR spill to VGPR lane
	s_and_b64 s[84:85], s[16:17], vcc
	v_writelane_b32 v74, s2, 0
	v_writelane_b32 v74, s3, 1
	s_and_b64 s[2:3], s[10:11], s[30:31]
	v_writelane_b32 v74, s2, 2
	v_writelane_b32 v74, s3, 3
	s_and_b64 s[2:3], s[10:11], s[34:35]
	v_writelane_b32 v74, s2, 4
	v_writelane_b32 v74, s3, 5
	s_and_b64 s[2:3], s[12:13], vcc
	v_writelane_b32 v74, s2, 6
	v_writelane_b32 v74, s3, 7
	s_and_b64 s[2:3], s[12:13], s[20:21]
	v_writelane_b32 v74, s2, 8
	v_writelane_b32 v74, s3, 9
	s_and_b64 s[2:3], s[12:13], s[22:23]
	;; [unrolled: 3-line block ×7, first 2 shown]
	v_writelane_b32 v74, s2, 20
	v_writelane_b32 v74, s3, 21
	s_and_b64 s[2:3], s[14:15], vcc
	v_writelane_b32 v74, s2, 22
	v_writelane_b32 v74, s3, 23
	s_and_b64 s[2:3], s[14:15], s[20:21]
	v_writelane_b32 v74, s2, 24
	v_writelane_b32 v74, s3, 25
	s_and_b64 s[2:3], s[14:15], s[22:23]
	;; [unrolled: 3-line block ×7, first 2 shown]
	v_writelane_b32 v74, s2, 36
	v_writelane_b32 v74, s3, 37
	s_load_dwordx2 s[2:3], s[4:5], 0x30
	s_and_b64 s[86:87], s[16:17], s[20:21]
	s_load_dwordx2 s[4:5], s[4:5], 0x58
	s_and_b64 s[88:89], s[16:17], s[22:23]
	s_and_b64 s[90:91], s[16:17], s[24:25]
	;; [unrolled: 1-line block ×6, first 2 shown]
	s_and_b64 s[38:39], s[18:19], vcc
	s_and_b64 s[20:21], s[18:19], s[20:21]
	s_and_b64 s[22:23], s[18:19], s[22:23]
	;; [unrolled: 1-line block ×7, first 2 shown]
	s_waitcnt lgkmcnt(0)
	s_add_u32 s55, s4, 0x100
	s_addc_u32 s56, s5, 0
	s_add_u32 s57, s48, 0x80
	s_addc_u32 s58, s49, 0
	;; [unrolled: 2-line block ×10, first 2 shown]
	s_add_u32 s73, s4, 0x600
	v_writelane_b32 v74, s2, 38
	s_addc_u32 s12, s5, 0
	v_writelane_b32 v74, s3, 39
	v_mad_u64_u32 v[26:27], s[2:3], v0, s40, 0
	s_add_u32 s13, s48, 0x300
	v_add_u32_e32 v27, v27, v24
	v_add_u32_e32 v21, v21, v25
	v_mad_u64_u32 v[24:25], s[2:3], v2, s40, 0
	s_addc_u32 s74, s49, 0
	v_mov_b32_e32 v40, v25
	s_add_u32 s75, s4, 0x700
	v_mad_u64_u32 v[40:41], s[2:3], v2, s41, v[40:41]
	s_addc_u32 s76, s5, 0
	v_mov_b32_e32 v25, v40
	s_add_u32 s77, s48, 0x380
	s_mul_i32 s46, s50, s33
	v_lshlrev_b64 v[24:25], 2, v[24:25]
	v_lshlrev_b64 v[26:27], 2, v[26:27]
	;; [unrolled: 1-line block ×8, first 2 shown]
	s_movk_i32 s54, 0x80
	s_addc_u32 s6, s49, 0
	s_movk_i32 s7, 0x100
	s_movk_i32 s78, 0x180
	;; [unrolled: 1-line block ×6, first 2 shown]
	s_mov_b64 s[42:43], s[50:51]
	s_branch .LBB51_21
.LBB51_20:                              ;   in Loop: Header=BB51_21 Depth=1
	s_or_b64 exec, exec, s[34:35]
	s_add_u32 s42, s42, 1
	s_addc_u32 s43, s43, 0
	v_pk_mov_b32 v[40:41], s[44:45], s[44:45] op_sel:[0,1]
	v_cmp_ge_i64_e32 vcc, s[42:43], v[40:41]
	s_cbranch_vccnz .LBB51_149
.LBB51_21:                              ; =>This Inner Loop Header: Depth=1
	s_lshl_b64 s[34:35], s[42:43], 3
	v_readlane_b32 s14, v74, 38
	v_readlane_b32 s15, v74, 39
	s_add_u32 s34, s14, s34
	s_addc_u32 s35, s15, s35
	s_load_dwordx2 s[34:35], s[34:35], 0x0
	v_readlane_b32 s14, v75, 0
	v_lshlrev_b32_e32 v65, 2, v0
	s_waitcnt lgkmcnt(0)
	s_sub_u32 s34, s34, s14
	s_subb_u32 s35, s35, 0
	s_mul_i32 s36, s34, s41
	s_mul_hi_u32 s37, s34, s40
	s_sub_u32 s81, s42, s50
	s_mul_i32 s35, s35, s40
	s_subb_u32 s82, s43, s51
	s_add_i32 s36, s37, s36
	s_add_i32 s35, s36, s35
	s_mul_i32 s34, s34, s40
	v_readlane_b32 s14, v75, 1
	s_add_u32 s36, s34, s14
	s_addc_u32 s37, s35, 0
	v_readlane_b32 s14, v75, 3
	s_mul_i32 s34, s42, s14
	s_mul_hi_u32 s35, s42, s33
	v_mov_b32_e32 v41, s37
	v_add_co_u32_e32 v40, vcc, s36, v0
	s_add_i32 s34, s35, s34
	s_mul_i32 s35, s43, s33
	v_addc_co_u32_e32 v41, vcc, 0, v41, vcc
	v_readlane_b32 s15, v75, 2
	s_add_i32 s35, s34, s35
	s_mul_i32 s34, s42, s33
	v_mov_b32_e32 v42, s82
	v_add_co_u32_e32 v44, vcc, s81, v20
	s_lshl_b64 s[34:35], s[34:35], 2
	v_readlane_b32 s14, v75, 4
	v_addc_co_u32_e32 v42, vcc, v21, v42, vcc
	v_readlane_b32 s15, v75, 5
	s_add_u32 s83, s14, s34
	v_mul_lo_u32 v46, v42, s40
	v_pk_mov_b32 v[42:43], s[46:47], s[46:47] op_sel:[0,1]
	s_addc_u32 s14, s15, s35
	v_mad_u64_u32 v[58:59], s[34:35], v44, s40, v[42:43]
	v_lshlrev_b32_e32 v42, 2, v2
	v_mov_b32_e32 v43, s14
	v_add_co_u32_e32 v63, vcc, s83, v42
	v_addc_co_u32_e32 v64, vcc, 0, v43, vcc
	v_mul_lo_u32 v45, v44, s41
	v_mov_b32_e32 v42, s14
	v_add_co_u32_e32 v66, vcc, s83, v24
	v_readlane_b32 s14, v75, 6
	v_add3_u32 v59, v46, v59, v45
	v_addc_co_u32_e32 v67, vcc, v42, v25, vcc
	v_readlane_b32 s15, v75, 7
	s_and_saveexec_b64 s[34:35], s[14:15]
	s_cbranch_execz .LBB51_23
; %bb.22:                               ;   in Loop: Header=BB51_21 Depth=1
	v_add_co_u32_e32 v42, vcc, v66, v65
	v_addc_co_u32_e32 v43, vcc, 0, v67, vcc
	v_add_co_u32_e32 v44, vcc, v63, v26
	v_addc_co_u32_e32 v45, vcc, v64, v27, vcc
	v_cndmask_b32_e64 v43, v45, v43, s[0:1]
	v_cndmask_b32_e64 v42, v44, v42, s[0:1]
	global_load_dword v46, v[42:43], off
	v_add_co_u32_e32 v42, vcc, v58, v0
	v_addc_co_u32_e32 v43, vcc, 0, v59, vcc
	v_lshlrev_b64 v[44:45], 3, v[42:43]
	v_mov_b32_e32 v47, s5
	v_add_co_u32_e32 v44, vcc, s4, v44
	v_addc_co_u32_e32 v45, vcc, v47, v45, vcc
	v_lshlrev_b64 v[42:43], 2, v[42:43]
	global_store_dwordx2 v[44:45], v[40:41], off
	v_mov_b32_e32 v44, s49
	v_add_co_u32_e32 v42, vcc, s48, v42
	v_addc_co_u32_e32 v43, vcc, v44, v43, vcc
	s_waitcnt vmcnt(1)
	global_store_dword v[42:43], v46, off
.LBB51_23:                              ;   in Loop: Header=BB51_21 Depth=1
	s_or_b64 exec, exec, s[34:35]
	v_mov_b32_e32 v43, s37
	v_add_co_u32_e32 v42, vcc, s36, v4
	v_readlane_b32 s14, v75, 8
	v_addc_co_u32_e32 v43, vcc, 0, v43, vcc
	v_lshlrev_b64 v[52:53], 2, v[6:7]
	v_readlane_b32 s15, v75, 9
	s_and_saveexec_b64 s[34:35], s[14:15]
	s_cbranch_execz .LBB51_25
; %bb.24:                               ;   in Loop: Header=BB51_21 Depth=1
	v_add_co_u32_e32 v44, vcc, v66, v65
	v_addc_co_u32_e32 v45, vcc, 0, v67, vcc
	v_add_co_u32_e32 v44, vcc, s54, v44
	v_addc_co_u32_e32 v45, vcc, 0, v45, vcc
	v_add_co_u32_e32 v46, vcc, v63, v52
	v_addc_co_u32_e32 v47, vcc, v64, v53, vcc
	v_cndmask_b32_e64 v45, v47, v45, s[0:1]
	v_cndmask_b32_e64 v44, v46, v44, s[0:1]
	global_load_dword v48, v[44:45], off
	v_add_co_u32_e32 v44, vcc, v58, v0
	v_addc_co_u32_e32 v45, vcc, 0, v59, vcc
	v_lshlrev_b64 v[46:47], 3, v[44:45]
	v_mov_b32_e32 v49, s56
	v_add_co_u32_e32 v46, vcc, s55, v46
	v_addc_co_u32_e32 v47, vcc, v49, v47, vcc
	v_lshlrev_b64 v[44:45], 2, v[44:45]
	global_store_dwordx2 v[46:47], v[42:43], off
	v_mov_b32_e32 v46, s58
	v_add_co_u32_e32 v44, vcc, s57, v44
	v_addc_co_u32_e32 v45, vcc, v46, v45, vcc
	s_waitcnt vmcnt(1)
	global_store_dword v[44:45], v48, off
.LBB51_25:                              ;   in Loop: Header=BB51_21 Depth=1
	s_or_b64 exec, exec, s[34:35]
	v_mov_b32_e32 v45, s37
	v_add_co_u32_e32 v44, vcc, s36, v8
	v_readlane_b32 s14, v75, 10
	v_addc_co_u32_e32 v45, vcc, 0, v45, vcc
	v_readlane_b32 s15, v75, 11
	s_and_saveexec_b64 s[34:35], s[14:15]
	s_cbranch_execz .LBB51_27
; %bb.26:                               ;   in Loop: Header=BB51_21 Depth=1
	v_add_co_u32_e32 v46, vcc, v66, v65
	v_addc_co_u32_e32 v47, vcc, 0, v67, vcc
	v_add_co_u32_e32 v46, vcc, s7, v46
	v_addc_co_u32_e32 v47, vcc, 0, v47, vcc
	v_add_co_u32_e32 v48, vcc, v63, v28
	v_addc_co_u32_e32 v49, vcc, v64, v29, vcc
	v_cndmask_b32_e64 v47, v49, v47, s[0:1]
	v_cndmask_b32_e64 v46, v48, v46, s[0:1]
	global_load_dword v50, v[46:47], off
	v_add_co_u32_e32 v46, vcc, v58, v0
	v_addc_co_u32_e32 v47, vcc, 0, v59, vcc
	v_lshlrev_b64 v[48:49], 3, v[46:47]
	v_mov_b32_e32 v51, s10
	v_add_co_u32_e32 v48, vcc, s59, v48
	v_addc_co_u32_e32 v49, vcc, v51, v49, vcc
	v_lshlrev_b64 v[46:47], 2, v[46:47]
	global_store_dwordx2 v[48:49], v[44:45], off
	v_mov_b32_e32 v48, s60
	v_add_co_u32_e32 v46, vcc, s11, v46
	v_addc_co_u32_e32 v47, vcc, v48, v47, vcc
	s_waitcnt vmcnt(1)
	global_store_dword v[46:47], v50, off
.LBB51_27:                              ;   in Loop: Header=BB51_21 Depth=1
	s_or_b64 exec, exec, s[34:35]
	v_mov_b32_e32 v47, s37
	v_add_co_u32_e32 v46, vcc, s36, v10
	v_readlane_b32 s14, v75, 12
	v_addc_co_u32_e32 v47, vcc, 0, v47, vcc
	;; [unrolled: 32-line block ×6, first 2 shown]
	v_readlane_b32 s15, v75, 21
	s_and_saveexec_b64 s[34:35], s[14:15]
	s_cbranch_execz .LBB51_37
; %bb.36:                               ;   in Loop: Header=BB51_21 Depth=1
	v_add_co_u32_e32 v68, vcc, v66, v65
	v_addc_co_u32_e32 v69, vcc, 0, v67, vcc
	v_add_co_u32_e32 v68, vcc, s80, v68
	v_addc_co_u32_e32 v69, vcc, 0, v69, vcc
	v_add_co_u32_e32 v70, vcc, v63, v38
	v_addc_co_u32_e32 v71, vcc, v64, v39, vcc
	v_cndmask_b32_e64 v69, v71, v69, s[0:1]
	v_cndmask_b32_e64 v68, v70, v68, s[0:1]
	global_load_dword v70, v[68:69], off
	v_add_co_u32_e32 v58, vcc, v58, v0
	v_addc_co_u32_e32 v59, vcc, 0, v59, vcc
	v_lshlrev_b64 v[68:69], 3, v[58:59]
	v_mov_b32_e32 v71, s76
	v_add_co_u32_e32 v68, vcc, s75, v68
	v_addc_co_u32_e32 v69, vcc, v71, v69, vcc
	v_lshlrev_b64 v[58:59], 2, v[58:59]
	global_store_dwordx2 v[68:69], v[56:57], off
	v_mov_b32_e32 v68, s6
	v_add_co_u32_e32 v58, vcc, s77, v58
	v_addc_co_u32_e32 v59, vcc, v68, v59, vcc
	s_waitcnt vmcnt(1)
	global_store_dword v[58:59], v70, off
.LBB51_37:                              ;   in Loop: Header=BB51_21 Depth=1
	s_or_b64 exec, exec, s[34:35]
	v_mov_b32_e32 v58, s82
	v_add_co_u32_e32 v68, vcc, s81, v22
	v_addc_co_u32_e32 v58, vcc, v23, v58, vcc
	v_mul_lo_u32 v70, v58, s40
	v_pk_mov_b32 v[58:59], s[46:47], s[46:47] op_sel:[0,1]
	v_mad_u64_u32 v[58:59], s[34:35], v68, s40, v[58:59]
	s_lshl_b64 s[34:35], s[52:53], 2
	v_mul_lo_u32 v69, v68, s41
	v_mov_b32_e32 v68, s35
	v_add_co_u32_e32 v66, vcc, s34, v66
	v_readlane_b32 s14, v75, 22
	v_add3_u32 v59, v70, v59, v69
	v_addc_co_u32_e32 v67, vcc, v67, v68, vcc
	v_readlane_b32 s15, v75, 23
	s_and_saveexec_b64 s[36:37], s[14:15]
	s_cbranch_execz .LBB51_39
; %bb.38:                               ;   in Loop: Header=BB51_21 Depth=1
	v_add_co_u32_e32 v68, vcc, v66, v65
	v_addc_co_u32_e32 v69, vcc, 0, v67, vcc
	v_add_co_u32_e32 v70, vcc, v63, v26
	v_addc_co_u32_e32 v71, vcc, v64, v27, vcc
	;; [unrolled: 2-line block ×3, first 2 shown]
	v_cndmask_b32_e64 v69, v71, v69, s[0:1]
	v_cndmask_b32_e64 v68, v70, v68, s[0:1]
	global_load_dword v72, v[68:69], off
	v_add_co_u32_e32 v68, vcc, v58, v0
	v_addc_co_u32_e32 v69, vcc, 0, v59, vcc
	v_lshlrev_b64 v[70:71], 3, v[68:69]
	v_mov_b32_e32 v73, s5
	v_add_co_u32_e32 v70, vcc, s4, v70
	v_addc_co_u32_e32 v71, vcc, v73, v71, vcc
	v_lshlrev_b64 v[68:69], 2, v[68:69]
	global_store_dwordx2 v[70:71], v[40:41], off
	v_mov_b32_e32 v70, s49
	v_add_co_u32_e32 v68, vcc, s48, v68
	v_addc_co_u32_e32 v69, vcc, v70, v69, vcc
	s_waitcnt vmcnt(1)
	global_store_dword v[68:69], v72, off
.LBB51_39:                              ;   in Loop: Header=BB51_21 Depth=1
	s_or_b64 exec, exec, s[36:37]
	v_readlane_b32 s14, v75, 24
	v_readlane_b32 s15, v75, 25
	s_and_saveexec_b64 s[36:37], s[14:15]
	s_cbranch_execz .LBB51_41
; %bb.40:                               ;   in Loop: Header=BB51_21 Depth=1
	v_add_co_u32_e32 v68, vcc, v66, v65
	v_addc_co_u32_e32 v69, vcc, 0, v67, vcc
	v_add_co_u32_e32 v70, vcc, v63, v52
	v_addc_co_u32_e32 v71, vcc, v64, v53, vcc
	v_cndmask_b32_e64 v69, v71, v69, s[0:1]
	v_cndmask_b32_e64 v68, v70, v68, s[0:1]
	global_load_dword v72, v[68:69], off offset:128
	v_add_co_u32_e32 v68, vcc, v58, v0
	v_addc_co_u32_e32 v69, vcc, 0, v59, vcc
	v_lshlrev_b64 v[70:71], 3, v[68:69]
	v_mov_b32_e32 v73, s56
	v_add_co_u32_e32 v70, vcc, s55, v70
	v_addc_co_u32_e32 v71, vcc, v73, v71, vcc
	v_lshlrev_b64 v[68:69], 2, v[68:69]
	global_store_dwordx2 v[70:71], v[42:43], off
	v_mov_b32_e32 v70, s58
	v_add_co_u32_e32 v68, vcc, s57, v68
	v_addc_co_u32_e32 v69, vcc, v70, v69, vcc
	s_waitcnt vmcnt(1)
	global_store_dword v[68:69], v72, off
.LBB51_41:                              ;   in Loop: Header=BB51_21 Depth=1
	s_or_b64 exec, exec, s[36:37]
	v_readlane_b32 s14, v75, 26
	v_readlane_b32 s15, v75, 27
	s_and_saveexec_b64 s[36:37], s[14:15]
	s_cbranch_execz .LBB51_43
; %bb.42:                               ;   in Loop: Header=BB51_21 Depth=1
	v_add_co_u32_e32 v68, vcc, v66, v65
	v_addc_co_u32_e32 v69, vcc, 0, v67, vcc
	v_add_co_u32_e32 v68, vcc, s7, v68
	v_addc_co_u32_e32 v69, vcc, 0, v69, vcc
	v_add_co_u32_e32 v70, vcc, v63, v28
	v_addc_co_u32_e32 v71, vcc, v64, v29, vcc
	v_add_co_u32_e32 v70, vcc, 0x80, v70
	v_addc_co_u32_e32 v71, vcc, 0, v71, vcc
	v_cndmask_b32_e64 v69, v71, v69, s[0:1]
	v_cndmask_b32_e64 v68, v70, v68, s[0:1]
	global_load_dword v72, v[68:69], off
	v_add_co_u32_e32 v68, vcc, v58, v0
	v_addc_co_u32_e32 v69, vcc, 0, v59, vcc
	v_lshlrev_b64 v[70:71], 3, v[68:69]
	v_mov_b32_e32 v73, s10
	v_add_co_u32_e32 v70, vcc, s59, v70
	v_addc_co_u32_e32 v71, vcc, v73, v71, vcc
	v_lshlrev_b64 v[68:69], 2, v[68:69]
	global_store_dwordx2 v[70:71], v[44:45], off
	v_mov_b32_e32 v70, s60
	v_add_co_u32_e32 v68, vcc, s11, v68
	v_addc_co_u32_e32 v69, vcc, v70, v69, vcc
	s_waitcnt vmcnt(1)
	global_store_dword v[68:69], v72, off
.LBB51_43:                              ;   in Loop: Header=BB51_21 Depth=1
	s_or_b64 exec, exec, s[36:37]
	v_readlane_b32 s14, v75, 28
	v_readlane_b32 s15, v75, 29
	s_and_saveexec_b64 s[36:37], s[14:15]
	s_cbranch_execz .LBB51_45
; %bb.44:                               ;   in Loop: Header=BB51_21 Depth=1
	v_add_co_u32_e32 v68, vcc, v66, v65
	v_addc_co_u32_e32 v69, vcc, 0, v67, vcc
	v_add_co_u32_e32 v68, vcc, s78, v68
	v_addc_co_u32_e32 v69, vcc, 0, v69, vcc
	v_add_co_u32_e32 v70, vcc, v63, v30
	v_addc_co_u32_e32 v71, vcc, v64, v31, vcc
	v_add_co_u32_e32 v70, vcc, 0x80, v70
	v_addc_co_u32_e32 v71, vcc, 0, v71, vcc
	v_cndmask_b32_e64 v69, v71, v69, s[0:1]
	v_cndmask_b32_e64 v68, v70, v68, s[0:1]
	global_load_dword v72, v[68:69], off
	v_add_co_u32_e32 v68, vcc, v58, v0
	v_addc_co_u32_e32 v69, vcc, 0, v59, vcc
	v_lshlrev_b64 v[70:71], 3, v[68:69]
	v_mov_b32_e32 v73, s62
	v_add_co_u32_e32 v70, vcc, s61, v70
	v_addc_co_u32_e32 v71, vcc, v73, v71, vcc
	v_lshlrev_b64 v[68:69], 2, v[68:69]
	global_store_dwordx2 v[70:71], v[46:47], off
	v_mov_b32_e32 v70, s64
	v_add_co_u32_e32 v68, vcc, s63, v68
	v_addc_co_u32_e32 v69, vcc, v70, v69, vcc
	s_waitcnt vmcnt(1)
	global_store_dword v[68:69], v72, off
.LBB51_45:                              ;   in Loop: Header=BB51_21 Depth=1
	;; [unrolled: 31-line block ×6, first 2 shown]
	s_or_b64 exec, exec, s[36:37]
	v_mov_b32_e32 v58, s82
	v_add_co_u32_e32 v68, vcc, s81, v1
	v_addc_co_u32_e32 v58, vcc, v3, v58, vcc
	v_mul_lo_u32 v70, v58, s40
	v_pk_mov_b32 v[58:59], s[46:47], s[46:47] op_sel:[0,1]
	v_mul_lo_u32 v69, v68, s41
	v_mad_u64_u32 v[58:59], s[36:37], v68, s40, v[58:59]
	v_mov_b32_e32 v68, s35
	v_add_co_u32_e32 v66, vcc, s34, v66
	v_readlane_b32 s14, v75, 38
	v_add3_u32 v59, v70, v59, v69
	v_addc_co_u32_e32 v67, vcc, v67, v68, vcc
	v_readlane_b32 s15, v75, 39
	s_and_saveexec_b64 s[36:37], s[14:15]
	s_cbranch_execz .LBB51_55
; %bb.54:                               ;   in Loop: Header=BB51_21 Depth=1
	v_add_co_u32_e32 v68, vcc, v66, v65
	v_addc_co_u32_e32 v69, vcc, 0, v67, vcc
	v_add_co_u32_e32 v70, vcc, v63, v26
	v_addc_co_u32_e32 v71, vcc, v64, v27, vcc
	;; [unrolled: 2-line block ×3, first 2 shown]
	v_cndmask_b32_e64 v69, v71, v69, s[0:1]
	v_cndmask_b32_e64 v68, v70, v68, s[0:1]
	global_load_dword v72, v[68:69], off
	v_add_co_u32_e32 v68, vcc, v58, v0
	v_addc_co_u32_e32 v69, vcc, 0, v59, vcc
	v_lshlrev_b64 v[70:71], 3, v[68:69]
	v_mov_b32_e32 v73, s5
	v_add_co_u32_e32 v70, vcc, s4, v70
	v_addc_co_u32_e32 v71, vcc, v73, v71, vcc
	v_lshlrev_b64 v[68:69], 2, v[68:69]
	global_store_dwordx2 v[70:71], v[40:41], off
	v_mov_b32_e32 v70, s49
	v_add_co_u32_e32 v68, vcc, s48, v68
	v_addc_co_u32_e32 v69, vcc, v70, v69, vcc
	s_waitcnt vmcnt(1)
	global_store_dword v[68:69], v72, off
.LBB51_55:                              ;   in Loop: Header=BB51_21 Depth=1
	s_or_b64 exec, exec, s[36:37]
	v_readlane_b32 s14, v75, 40
	v_readlane_b32 s15, v75, 41
	s_and_saveexec_b64 s[36:37], s[14:15]
	s_cbranch_execz .LBB51_57
; %bb.56:                               ;   in Loop: Header=BB51_21 Depth=1
	v_add_co_u32_e32 v68, vcc, v66, v65
	v_addc_co_u32_e32 v69, vcc, 0, v67, vcc
	v_add_co_u32_e32 v68, vcc, s54, v68
	v_addc_co_u32_e32 v69, vcc, 0, v69, vcc
	;; [unrolled: 2-line block ×4, first 2 shown]
	v_cndmask_b32_e64 v69, v71, v69, s[0:1]
	v_cndmask_b32_e64 v68, v70, v68, s[0:1]
	global_load_dword v72, v[68:69], off
	v_add_co_u32_e32 v68, vcc, v58, v0
	v_addc_co_u32_e32 v69, vcc, 0, v59, vcc
	v_lshlrev_b64 v[70:71], 3, v[68:69]
	v_mov_b32_e32 v73, s56
	v_add_co_u32_e32 v70, vcc, s55, v70
	v_addc_co_u32_e32 v71, vcc, v73, v71, vcc
	v_lshlrev_b64 v[68:69], 2, v[68:69]
	global_store_dwordx2 v[70:71], v[42:43], off
	v_mov_b32_e32 v70, s58
	v_add_co_u32_e32 v68, vcc, s57, v68
	v_addc_co_u32_e32 v69, vcc, v70, v69, vcc
	s_waitcnt vmcnt(1)
	global_store_dword v[68:69], v72, off
.LBB51_57:                              ;   in Loop: Header=BB51_21 Depth=1
	s_or_b64 exec, exec, s[36:37]
	v_readlane_b32 s14, v75, 42
	v_readlane_b32 s15, v75, 43
	s_and_saveexec_b64 s[36:37], s[14:15]
	s_cbranch_execz .LBB51_59
; %bb.58:                               ;   in Loop: Header=BB51_21 Depth=1
	v_add_co_u32_e32 v68, vcc, v66, v65
	v_addc_co_u32_e32 v69, vcc, 0, v67, vcc
	v_add_co_u32_e32 v70, vcc, v63, v28
	v_addc_co_u32_e32 v71, vcc, v64, v29, vcc
	v_cndmask_b32_e64 v69, v71, v69, s[0:1]
	v_cndmask_b32_e64 v68, v70, v68, s[0:1]
	global_load_dword v72, v[68:69], off offset:256
	v_add_co_u32_e32 v68, vcc, v58, v0
	v_addc_co_u32_e32 v69, vcc, 0, v59, vcc
	v_lshlrev_b64 v[70:71], 3, v[68:69]
	v_mov_b32_e32 v73, s10
	v_add_co_u32_e32 v70, vcc, s59, v70
	v_addc_co_u32_e32 v71, vcc, v73, v71, vcc
	v_lshlrev_b64 v[68:69], 2, v[68:69]
	global_store_dwordx2 v[70:71], v[44:45], off
	v_mov_b32_e32 v70, s60
	v_add_co_u32_e32 v68, vcc, s11, v68
	v_addc_co_u32_e32 v69, vcc, v70, v69, vcc
	s_waitcnt vmcnt(1)
	global_store_dword v[68:69], v72, off
.LBB51_59:                              ;   in Loop: Header=BB51_21 Depth=1
	s_or_b64 exec, exec, s[36:37]
	v_readlane_b32 s14, v75, 44
	v_readlane_b32 s15, v75, 45
	s_and_saveexec_b64 s[36:37], s[14:15]
	s_cbranch_execz .LBB51_61
; %bb.60:                               ;   in Loop: Header=BB51_21 Depth=1
	v_add_co_u32_e32 v68, vcc, v66, v65
	v_addc_co_u32_e32 v69, vcc, 0, v67, vcc
	v_add_co_u32_e32 v68, vcc, s78, v68
	v_addc_co_u32_e32 v69, vcc, 0, v69, vcc
	v_add_co_u32_e32 v70, vcc, v63, v30
	v_addc_co_u32_e32 v71, vcc, v64, v31, vcc
	v_add_co_u32_e32 v70, vcc, 0x100, v70
	v_addc_co_u32_e32 v71, vcc, 0, v71, vcc
	v_cndmask_b32_e64 v69, v71, v69, s[0:1]
	v_cndmask_b32_e64 v68, v70, v68, s[0:1]
	global_load_dword v72, v[68:69], off
	v_add_co_u32_e32 v68, vcc, v58, v0
	v_addc_co_u32_e32 v69, vcc, 0, v59, vcc
	v_lshlrev_b64 v[70:71], 3, v[68:69]
	v_mov_b32_e32 v73, s62
	v_add_co_u32_e32 v70, vcc, s61, v70
	v_addc_co_u32_e32 v71, vcc, v73, v71, vcc
	v_lshlrev_b64 v[68:69], 2, v[68:69]
	global_store_dwordx2 v[70:71], v[46:47], off
	v_mov_b32_e32 v70, s64
	v_add_co_u32_e32 v68, vcc, s63, v68
	v_addc_co_u32_e32 v69, vcc, v70, v69, vcc
	s_waitcnt vmcnt(1)
	global_store_dword v[68:69], v72, off
.LBB51_61:                              ;   in Loop: Header=BB51_21 Depth=1
	s_or_b64 exec, exec, s[36:37]
	v_readlane_b32 s14, v75, 46
	v_readlane_b32 s15, v75, 47
	s_and_saveexec_b64 s[36:37], s[14:15]
	s_cbranch_execz .LBB51_63
; %bb.62:                               ;   in Loop: Header=BB51_21 Depth=1
	v_add_co_u32_e32 v68, vcc, v66, v65
	v_addc_co_u32_e32 v69, vcc, 0, v67, vcc
	v_add_co_u32_e32 v68, vcc, s79, v68
	v_addc_co_u32_e32 v69, vcc, 0, v69, vcc
	v_add_co_u32_e32 v70, vcc, v63, v32
	v_addc_co_u32_e32 v71, vcc, v64, v33, vcc
	v_add_co_u32_e32 v70, vcc, 0x100, v70
	v_addc_co_u32_e32 v71, vcc, 0, v71, vcc
	v_cndmask_b32_e64 v69, v71, v69, s[0:1]
	v_cndmask_b32_e64 v68, v70, v68, s[0:1]
	global_load_dword v72, v[68:69], off
	v_add_co_u32_e32 v68, vcc, v58, v0
	v_addc_co_u32_e32 v69, vcc, 0, v59, vcc
	v_lshlrev_b64 v[70:71], 3, v[68:69]
	v_mov_b32_e32 v73, s66
	v_add_co_u32_e32 v70, vcc, s65, v70
	v_addc_co_u32_e32 v71, vcc, v73, v71, vcc
	v_lshlrev_b64 v[68:69], 2, v[68:69]
	global_store_dwordx2 v[70:71], v[48:49], off
	v_mov_b32_e32 v70, s68
	v_add_co_u32_e32 v68, vcc, s67, v68
	v_addc_co_u32_e32 v69, vcc, v70, v69, vcc
	s_waitcnt vmcnt(1)
	global_store_dword v[68:69], v72, off
.LBB51_63:                              ;   in Loop: Header=BB51_21 Depth=1
	;; [unrolled: 31-line block ×5, first 2 shown]
	s_or_b64 exec, exec, s[36:37]
	v_mov_b32_e32 v58, s82
	v_add_co_u32_e32 v68, vcc, s81, v5
	v_addc_co_u32_e32 v58, vcc, v9, v58, vcc
	v_mul_lo_u32 v70, v58, s40
	v_pk_mov_b32 v[58:59], s[46:47], s[46:47] op_sel:[0,1]
	v_mul_lo_u32 v69, v68, s41
	v_mad_u64_u32 v[58:59], s[36:37], v68, s40, v[58:59]
	v_mov_b32_e32 v68, s35
	v_add_co_u32_e32 v66, vcc, s34, v66
	v_readlane_b32 s14, v75, 54
	v_add3_u32 v59, v70, v59, v69
	v_addc_co_u32_e32 v67, vcc, v67, v68, vcc
	v_readlane_b32 s15, v75, 55
	s_and_saveexec_b64 s[36:37], s[14:15]
	s_cbranch_execz .LBB51_71
; %bb.70:                               ;   in Loop: Header=BB51_21 Depth=1
	v_add_co_u32_e32 v68, vcc, v66, v65
	v_addc_co_u32_e32 v69, vcc, 0, v67, vcc
	v_add_co_u32_e32 v70, vcc, v63, v26
	v_addc_co_u32_e32 v71, vcc, v64, v27, vcc
	;; [unrolled: 2-line block ×3, first 2 shown]
	v_cndmask_b32_e64 v69, v71, v69, s[0:1]
	v_cndmask_b32_e64 v68, v70, v68, s[0:1]
	global_load_dword v72, v[68:69], off
	v_add_co_u32_e32 v68, vcc, v58, v0
	v_addc_co_u32_e32 v69, vcc, 0, v59, vcc
	v_lshlrev_b64 v[70:71], 3, v[68:69]
	v_mov_b32_e32 v73, s5
	v_add_co_u32_e32 v70, vcc, s4, v70
	v_addc_co_u32_e32 v71, vcc, v73, v71, vcc
	v_lshlrev_b64 v[68:69], 2, v[68:69]
	global_store_dwordx2 v[70:71], v[40:41], off
	v_mov_b32_e32 v70, s49
	v_add_co_u32_e32 v68, vcc, s48, v68
	v_addc_co_u32_e32 v69, vcc, v70, v69, vcc
	s_waitcnt vmcnt(1)
	global_store_dword v[68:69], v72, off
.LBB51_71:                              ;   in Loop: Header=BB51_21 Depth=1
	s_or_b64 exec, exec, s[36:37]
	v_readlane_b32 s14, v75, 56
	v_readlane_b32 s15, v75, 57
	s_and_saveexec_b64 s[36:37], s[14:15]
	s_cbranch_execz .LBB51_73
; %bb.72:                               ;   in Loop: Header=BB51_21 Depth=1
	v_add_co_u32_e32 v68, vcc, v66, v65
	v_addc_co_u32_e32 v69, vcc, 0, v67, vcc
	v_add_co_u32_e32 v68, vcc, s54, v68
	v_addc_co_u32_e32 v69, vcc, 0, v69, vcc
	;; [unrolled: 2-line block ×4, first 2 shown]
	v_cndmask_b32_e64 v69, v71, v69, s[0:1]
	v_cndmask_b32_e64 v68, v70, v68, s[0:1]
	global_load_dword v72, v[68:69], off
	v_add_co_u32_e32 v68, vcc, v58, v0
	v_addc_co_u32_e32 v69, vcc, 0, v59, vcc
	v_lshlrev_b64 v[70:71], 3, v[68:69]
	v_mov_b32_e32 v73, s56
	v_add_co_u32_e32 v70, vcc, s55, v70
	v_addc_co_u32_e32 v71, vcc, v73, v71, vcc
	v_lshlrev_b64 v[68:69], 2, v[68:69]
	global_store_dwordx2 v[70:71], v[42:43], off
	v_mov_b32_e32 v70, s58
	v_add_co_u32_e32 v68, vcc, s57, v68
	v_addc_co_u32_e32 v69, vcc, v70, v69, vcc
	s_waitcnt vmcnt(1)
	global_store_dword v[68:69], v72, off
.LBB51_73:                              ;   in Loop: Header=BB51_21 Depth=1
	s_or_b64 exec, exec, s[36:37]
	v_readlane_b32 s14, v75, 58
	v_readlane_b32 s15, v75, 59
	s_and_saveexec_b64 s[36:37], s[14:15]
	s_cbranch_execz .LBB51_75
; %bb.74:                               ;   in Loop: Header=BB51_21 Depth=1
	v_add_co_u32_e32 v68, vcc, v66, v65
	v_addc_co_u32_e32 v69, vcc, 0, v67, vcc
	v_add_co_u32_e32 v68, vcc, s7, v68
	v_addc_co_u32_e32 v69, vcc, 0, v69, vcc
	;; [unrolled: 2-line block ×4, first 2 shown]
	v_cndmask_b32_e64 v69, v71, v69, s[0:1]
	v_cndmask_b32_e64 v68, v70, v68, s[0:1]
	global_load_dword v72, v[68:69], off
	v_add_co_u32_e32 v68, vcc, v58, v0
	v_addc_co_u32_e32 v69, vcc, 0, v59, vcc
	v_lshlrev_b64 v[70:71], 3, v[68:69]
	v_mov_b32_e32 v73, s10
	v_add_co_u32_e32 v70, vcc, s59, v70
	v_addc_co_u32_e32 v71, vcc, v73, v71, vcc
	v_lshlrev_b64 v[68:69], 2, v[68:69]
	global_store_dwordx2 v[70:71], v[44:45], off
	v_mov_b32_e32 v70, s60
	v_add_co_u32_e32 v68, vcc, s11, v68
	v_addc_co_u32_e32 v69, vcc, v70, v69, vcc
	s_waitcnt vmcnt(1)
	global_store_dword v[68:69], v72, off
.LBB51_75:                              ;   in Loop: Header=BB51_21 Depth=1
	s_or_b64 exec, exec, s[36:37]
	v_readlane_b32 s14, v75, 60
	v_readlane_b32 s15, v75, 61
	s_and_saveexec_b64 s[36:37], s[14:15]
	s_cbranch_execz .LBB51_77
; %bb.76:                               ;   in Loop: Header=BB51_21 Depth=1
	v_add_co_u32_e32 v68, vcc, v66, v65
	v_addc_co_u32_e32 v69, vcc, 0, v67, vcc
	v_add_co_u32_e32 v70, vcc, v63, v30
	v_addc_co_u32_e32 v71, vcc, v64, v31, vcc
	v_cndmask_b32_e64 v69, v71, v69, s[0:1]
	v_cndmask_b32_e64 v68, v70, v68, s[0:1]
	global_load_dword v72, v[68:69], off offset:384
	v_add_co_u32_e32 v68, vcc, v58, v0
	v_addc_co_u32_e32 v69, vcc, 0, v59, vcc
	v_lshlrev_b64 v[70:71], 3, v[68:69]
	v_mov_b32_e32 v73, s62
	v_add_co_u32_e32 v70, vcc, s61, v70
	v_addc_co_u32_e32 v71, vcc, v73, v71, vcc
	v_lshlrev_b64 v[68:69], 2, v[68:69]
	global_store_dwordx2 v[70:71], v[46:47], off
	v_mov_b32_e32 v70, s64
	v_add_co_u32_e32 v68, vcc, s63, v68
	v_addc_co_u32_e32 v69, vcc, v70, v69, vcc
	s_waitcnt vmcnt(1)
	global_store_dword v[68:69], v72, off
.LBB51_77:                              ;   in Loop: Header=BB51_21 Depth=1
	s_or_b64 exec, exec, s[36:37]
	v_readlane_b32 s14, v75, 62
	v_readlane_b32 s15, v75, 63
	s_and_saveexec_b64 s[36:37], s[14:15]
	s_cbranch_execz .LBB51_79
; %bb.78:                               ;   in Loop: Header=BB51_21 Depth=1
	v_add_co_u32_e32 v68, vcc, v66, v65
	v_addc_co_u32_e32 v69, vcc, 0, v67, vcc
	v_add_co_u32_e32 v68, vcc, s79, v68
	v_addc_co_u32_e32 v69, vcc, 0, v69, vcc
	v_add_co_u32_e32 v70, vcc, v63, v32
	v_addc_co_u32_e32 v71, vcc, v64, v33, vcc
	v_add_co_u32_e32 v70, vcc, 0x180, v70
	v_addc_co_u32_e32 v71, vcc, 0, v71, vcc
	v_cndmask_b32_e64 v69, v71, v69, s[0:1]
	v_cndmask_b32_e64 v68, v70, v68, s[0:1]
	global_load_dword v72, v[68:69], off
	v_add_co_u32_e32 v68, vcc, v58, v0
	v_addc_co_u32_e32 v69, vcc, 0, v59, vcc
	v_lshlrev_b64 v[70:71], 3, v[68:69]
	v_mov_b32_e32 v73, s66
	v_add_co_u32_e32 v70, vcc, s65, v70
	v_addc_co_u32_e32 v71, vcc, v73, v71, vcc
	v_lshlrev_b64 v[68:69], 2, v[68:69]
	global_store_dwordx2 v[70:71], v[48:49], off
	v_mov_b32_e32 v70, s68
	v_add_co_u32_e32 v68, vcc, s67, v68
	v_addc_co_u32_e32 v69, vcc, v70, v69, vcc
	s_waitcnt vmcnt(1)
	global_store_dword v[68:69], v72, off
.LBB51_79:                              ;   in Loop: Header=BB51_21 Depth=1
	s_or_b64 exec, exec, s[36:37]
	v_readlane_b32 s14, v74, 0
	v_readlane_b32 s15, v74, 1
	s_and_saveexec_b64 s[36:37], s[14:15]
	s_cbranch_execz .LBB51_81
; %bb.80:                               ;   in Loop: Header=BB51_21 Depth=1
	v_add_co_u32_e32 v68, vcc, v66, v65
	v_addc_co_u32_e32 v69, vcc, 0, v67, vcc
	v_add_co_u32_e32 v68, vcc, s2, v68
	v_addc_co_u32_e32 v69, vcc, 0, v69, vcc
	v_add_co_u32_e32 v70, vcc, v63, v34
	v_addc_co_u32_e32 v71, vcc, v64, v35, vcc
	v_add_co_u32_e32 v70, vcc, 0x180, v70
	v_addc_co_u32_e32 v71, vcc, 0, v71, vcc
	v_cndmask_b32_e64 v69, v71, v69, s[0:1]
	v_cndmask_b32_e64 v68, v70, v68, s[0:1]
	global_load_dword v72, v[68:69], off
	v_add_co_u32_e32 v68, vcc, v58, v0
	v_addc_co_u32_e32 v69, vcc, 0, v59, vcc
	v_lshlrev_b64 v[70:71], 3, v[68:69]
	v_mov_b32_e32 v73, s70
	v_add_co_u32_e32 v70, vcc, s69, v70
	v_addc_co_u32_e32 v71, vcc, v73, v71, vcc
	v_lshlrev_b64 v[68:69], 2, v[68:69]
	global_store_dwordx2 v[70:71], v[50:51], off
	v_mov_b32_e32 v70, s72
	v_add_co_u32_e32 v68, vcc, s71, v68
	v_addc_co_u32_e32 v69, vcc, v70, v69, vcc
	s_waitcnt vmcnt(1)
	global_store_dword v[68:69], v72, off
.LBB51_81:                              ;   in Loop: Header=BB51_21 Depth=1
	s_or_b64 exec, exec, s[36:37]
	v_readlane_b32 s14, v74, 2
	v_readlane_b32 s15, v74, 3
	s_and_saveexec_b64 s[36:37], s[14:15]
	s_cbranch_execz .LBB51_83
; %bb.82:                               ;   in Loop: Header=BB51_21 Depth=1
	v_add_co_u32_e32 v68, vcc, v66, v65
	v_addc_co_u32_e32 v69, vcc, 0, v67, vcc
	v_add_co_u32_e32 v68, vcc, s3, v68
	v_addc_co_u32_e32 v69, vcc, 0, v69, vcc
	v_add_co_u32_e32 v70, vcc, v63, v36
	v_addc_co_u32_e32 v71, vcc, v64, v37, vcc
	v_add_co_u32_e32 v70, vcc, 0x180, v70
	v_addc_co_u32_e32 v71, vcc, 0, v71, vcc
	v_cndmask_b32_e64 v69, v71, v69, s[0:1]
	v_cndmask_b32_e64 v68, v70, v68, s[0:1]
	global_load_dword v72, v[68:69], off
	v_add_co_u32_e32 v68, vcc, v58, v0
	v_addc_co_u32_e32 v69, vcc, 0, v59, vcc
	v_lshlrev_b64 v[70:71], 3, v[68:69]
	v_mov_b32_e32 v73, s12
	v_add_co_u32_e32 v70, vcc, s73, v70
	v_addc_co_u32_e32 v71, vcc, v73, v71, vcc
	v_lshlrev_b64 v[68:69], 2, v[68:69]
	global_store_dwordx2 v[70:71], v[54:55], off
	v_mov_b32_e32 v70, s74
	v_add_co_u32_e32 v68, vcc, s13, v68
	v_addc_co_u32_e32 v69, vcc, v70, v69, vcc
	s_waitcnt vmcnt(1)
	global_store_dword v[68:69], v72, off
.LBB51_83:                              ;   in Loop: Header=BB51_21 Depth=1
	s_or_b64 exec, exec, s[36:37]
	v_readlane_b32 s14, v74, 4
	v_readlane_b32 s15, v74, 5
	s_and_saveexec_b64 s[36:37], s[14:15]
	s_cbranch_execz .LBB51_85
; %bb.84:                               ;   in Loop: Header=BB51_21 Depth=1
	v_add_co_u32_e32 v68, vcc, v66, v65
	v_addc_co_u32_e32 v69, vcc, 0, v67, vcc
	v_add_co_u32_e32 v68, vcc, s80, v68
	v_addc_co_u32_e32 v69, vcc, 0, v69, vcc
	v_add_co_u32_e32 v70, vcc, v63, v38
	v_addc_co_u32_e32 v71, vcc, v64, v39, vcc
	v_add_co_u32_e32 v70, vcc, 0x180, v70
	v_addc_co_u32_e32 v71, vcc, 0, v71, vcc
	v_cndmask_b32_e64 v69, v71, v69, s[0:1]
	v_cndmask_b32_e64 v68, v70, v68, s[0:1]
	global_load_dword v70, v[68:69], off
	v_add_co_u32_e32 v58, vcc, v58, v0
	v_addc_co_u32_e32 v59, vcc, 0, v59, vcc
	v_lshlrev_b64 v[68:69], 3, v[58:59]
	v_mov_b32_e32 v71, s76
	v_add_co_u32_e32 v68, vcc, s75, v68
	v_addc_co_u32_e32 v69, vcc, v71, v69, vcc
	v_lshlrev_b64 v[58:59], 2, v[58:59]
	global_store_dwordx2 v[68:69], v[56:57], off
	v_mov_b32_e32 v68, s6
	v_add_co_u32_e32 v58, vcc, s77, v58
	v_addc_co_u32_e32 v59, vcc, v68, v59, vcc
	s_waitcnt vmcnt(1)
	global_store_dword v[58:59], v70, off
.LBB51_85:                              ;   in Loop: Header=BB51_21 Depth=1
	s_or_b64 exec, exec, s[36:37]
	v_mov_b32_e32 v58, s82
	v_add_co_u32_e32 v68, vcc, s81, v11
	v_addc_co_u32_e32 v58, vcc, v13, v58, vcc
	v_mul_lo_u32 v70, v58, s40
	v_pk_mov_b32 v[58:59], s[46:47], s[46:47] op_sel:[0,1]
	v_mul_lo_u32 v69, v68, s41
	v_mad_u64_u32 v[58:59], s[36:37], v68, s40, v[58:59]
	v_mov_b32_e32 v68, s35
	v_add_co_u32_e32 v66, vcc, s34, v66
	v_readlane_b32 s14, v74, 6
	v_add3_u32 v59, v70, v59, v69
	v_addc_co_u32_e32 v67, vcc, v67, v68, vcc
	v_readlane_b32 s15, v74, 7
	s_and_saveexec_b64 s[36:37], s[14:15]
	s_cbranch_execz .LBB51_87
; %bb.86:                               ;   in Loop: Header=BB51_21 Depth=1
	v_add_co_u32_e32 v68, vcc, v66, v65
	v_addc_co_u32_e32 v69, vcc, 0, v67, vcc
	v_add_co_u32_e32 v70, vcc, v63, v26
	v_addc_co_u32_e32 v71, vcc, v64, v27, vcc
	v_add_co_u32_e32 v70, vcc, 0x200, v70
	v_addc_co_u32_e32 v71, vcc, 0, v71, vcc
	v_cndmask_b32_e64 v69, v71, v69, s[0:1]
	v_cndmask_b32_e64 v68, v70, v68, s[0:1]
	global_load_dword v72, v[68:69], off
	v_add_co_u32_e32 v68, vcc, v58, v0
	v_addc_co_u32_e32 v69, vcc, 0, v59, vcc
	v_lshlrev_b64 v[70:71], 3, v[68:69]
	v_mov_b32_e32 v73, s5
	v_add_co_u32_e32 v70, vcc, s4, v70
	v_addc_co_u32_e32 v71, vcc, v73, v71, vcc
	v_lshlrev_b64 v[68:69], 2, v[68:69]
	global_store_dwordx2 v[70:71], v[40:41], off
	v_mov_b32_e32 v70, s49
	v_add_co_u32_e32 v68, vcc, s48, v68
	v_addc_co_u32_e32 v69, vcc, v70, v69, vcc
	s_waitcnt vmcnt(1)
	global_store_dword v[68:69], v72, off
.LBB51_87:                              ;   in Loop: Header=BB51_21 Depth=1
	s_or_b64 exec, exec, s[36:37]
	v_readlane_b32 s14, v74, 8
	v_readlane_b32 s15, v74, 9
	s_and_saveexec_b64 s[36:37], s[14:15]
	s_cbranch_execz .LBB51_89
; %bb.88:                               ;   in Loop: Header=BB51_21 Depth=1
	v_add_co_u32_e32 v68, vcc, v66, v65
	v_addc_co_u32_e32 v69, vcc, 0, v67, vcc
	v_add_co_u32_e32 v68, vcc, s54, v68
	v_addc_co_u32_e32 v69, vcc, 0, v69, vcc
	v_add_co_u32_e32 v70, vcc, v63, v52
	v_addc_co_u32_e32 v71, vcc, v64, v53, vcc
	v_add_co_u32_e32 v70, vcc, 0x200, v70
	v_addc_co_u32_e32 v71, vcc, 0, v71, vcc
	v_cndmask_b32_e64 v69, v71, v69, s[0:1]
	v_cndmask_b32_e64 v68, v70, v68, s[0:1]
	global_load_dword v72, v[68:69], off
	v_add_co_u32_e32 v68, vcc, v58, v0
	v_addc_co_u32_e32 v69, vcc, 0, v59, vcc
	v_lshlrev_b64 v[70:71], 3, v[68:69]
	v_mov_b32_e32 v73, s56
	v_add_co_u32_e32 v70, vcc, s55, v70
	v_addc_co_u32_e32 v71, vcc, v73, v71, vcc
	v_lshlrev_b64 v[68:69], 2, v[68:69]
	global_store_dwordx2 v[70:71], v[42:43], off
	v_mov_b32_e32 v70, s58
	v_add_co_u32_e32 v68, vcc, s57, v68
	v_addc_co_u32_e32 v69, vcc, v70, v69, vcc
	s_waitcnt vmcnt(1)
	global_store_dword v[68:69], v72, off
.LBB51_89:                              ;   in Loop: Header=BB51_21 Depth=1
	s_or_b64 exec, exec, s[36:37]
	v_readlane_b32 s14, v74, 10
	v_readlane_b32 s15, v74, 11
	s_and_saveexec_b64 s[36:37], s[14:15]
	s_cbranch_execz .LBB51_91
; %bb.90:                               ;   in Loop: Header=BB51_21 Depth=1
	v_add_co_u32_e32 v68, vcc, v66, v65
	v_addc_co_u32_e32 v69, vcc, 0, v67, vcc
	v_add_co_u32_e32 v68, vcc, s7, v68
	v_addc_co_u32_e32 v69, vcc, 0, v69, vcc
	v_add_co_u32_e32 v70, vcc, v63, v28
	v_addc_co_u32_e32 v71, vcc, v64, v29, vcc
	v_add_co_u32_e32 v70, vcc, 0x200, v70
	v_addc_co_u32_e32 v71, vcc, 0, v71, vcc
	v_cndmask_b32_e64 v69, v71, v69, s[0:1]
	v_cndmask_b32_e64 v68, v70, v68, s[0:1]
	global_load_dword v72, v[68:69], off
	v_add_co_u32_e32 v68, vcc, v58, v0
	v_addc_co_u32_e32 v69, vcc, 0, v59, vcc
	v_lshlrev_b64 v[70:71], 3, v[68:69]
	v_mov_b32_e32 v73, s10
	v_add_co_u32_e32 v70, vcc, s59, v70
	v_addc_co_u32_e32 v71, vcc, v73, v71, vcc
	v_lshlrev_b64 v[68:69], 2, v[68:69]
	global_store_dwordx2 v[70:71], v[44:45], off
	v_mov_b32_e32 v70, s60
	v_add_co_u32_e32 v68, vcc, s11, v68
	v_addc_co_u32_e32 v69, vcc, v70, v69, vcc
	s_waitcnt vmcnt(1)
	global_store_dword v[68:69], v72, off
.LBB51_91:                              ;   in Loop: Header=BB51_21 Depth=1
	;; [unrolled: 31-line block ×3, first 2 shown]
	s_or_b64 exec, exec, s[36:37]
	v_readlane_b32 s14, v74, 14
	v_readlane_b32 s15, v74, 15
	s_and_saveexec_b64 s[36:37], s[14:15]
	s_cbranch_execz .LBB51_95
; %bb.94:                               ;   in Loop: Header=BB51_21 Depth=1
	v_add_co_u32_e32 v68, vcc, v66, v65
	v_addc_co_u32_e32 v69, vcc, 0, v67, vcc
	v_add_co_u32_e32 v70, vcc, v63, v32
	v_addc_co_u32_e32 v71, vcc, v64, v33, vcc
	v_cndmask_b32_e64 v69, v71, v69, s[0:1]
	v_cndmask_b32_e64 v68, v70, v68, s[0:1]
	global_load_dword v72, v[68:69], off offset:512
	v_add_co_u32_e32 v68, vcc, v58, v0
	v_addc_co_u32_e32 v69, vcc, 0, v59, vcc
	v_lshlrev_b64 v[70:71], 3, v[68:69]
	v_mov_b32_e32 v73, s66
	v_add_co_u32_e32 v70, vcc, s65, v70
	v_addc_co_u32_e32 v71, vcc, v73, v71, vcc
	v_lshlrev_b64 v[68:69], 2, v[68:69]
	global_store_dwordx2 v[70:71], v[48:49], off
	v_mov_b32_e32 v70, s68
	v_add_co_u32_e32 v68, vcc, s67, v68
	v_addc_co_u32_e32 v69, vcc, v70, v69, vcc
	s_waitcnt vmcnt(1)
	global_store_dword v[68:69], v72, off
.LBB51_95:                              ;   in Loop: Header=BB51_21 Depth=1
	s_or_b64 exec, exec, s[36:37]
	v_readlane_b32 s14, v74, 16
	v_readlane_b32 s15, v74, 17
	s_and_saveexec_b64 s[36:37], s[14:15]
	s_cbranch_execz .LBB51_97
; %bb.96:                               ;   in Loop: Header=BB51_21 Depth=1
	v_add_co_u32_e32 v68, vcc, v66, v65
	v_addc_co_u32_e32 v69, vcc, 0, v67, vcc
	v_add_co_u32_e32 v68, vcc, s2, v68
	v_addc_co_u32_e32 v69, vcc, 0, v69, vcc
	;; [unrolled: 2-line block ×4, first 2 shown]
	v_cndmask_b32_e64 v69, v71, v69, s[0:1]
	v_cndmask_b32_e64 v68, v70, v68, s[0:1]
	global_load_dword v72, v[68:69], off
	v_add_co_u32_e32 v68, vcc, v58, v0
	v_addc_co_u32_e32 v69, vcc, 0, v59, vcc
	v_lshlrev_b64 v[70:71], 3, v[68:69]
	v_mov_b32_e32 v73, s70
	v_add_co_u32_e32 v70, vcc, s69, v70
	v_addc_co_u32_e32 v71, vcc, v73, v71, vcc
	v_lshlrev_b64 v[68:69], 2, v[68:69]
	global_store_dwordx2 v[70:71], v[50:51], off
	v_mov_b32_e32 v70, s72
	v_add_co_u32_e32 v68, vcc, s71, v68
	v_addc_co_u32_e32 v69, vcc, v70, v69, vcc
	s_waitcnt vmcnt(1)
	global_store_dword v[68:69], v72, off
.LBB51_97:                              ;   in Loop: Header=BB51_21 Depth=1
	s_or_b64 exec, exec, s[36:37]
	v_readlane_b32 s14, v74, 18
	v_readlane_b32 s15, v74, 19
	s_and_saveexec_b64 s[36:37], s[14:15]
	s_cbranch_execz .LBB51_99
; %bb.98:                               ;   in Loop: Header=BB51_21 Depth=1
	v_add_co_u32_e32 v68, vcc, v66, v65
	v_addc_co_u32_e32 v69, vcc, 0, v67, vcc
	v_add_co_u32_e32 v68, vcc, s3, v68
	v_addc_co_u32_e32 v69, vcc, 0, v69, vcc
	;; [unrolled: 2-line block ×4, first 2 shown]
	v_cndmask_b32_e64 v69, v71, v69, s[0:1]
	v_cndmask_b32_e64 v68, v70, v68, s[0:1]
	global_load_dword v72, v[68:69], off
	v_add_co_u32_e32 v68, vcc, v58, v0
	v_addc_co_u32_e32 v69, vcc, 0, v59, vcc
	v_lshlrev_b64 v[70:71], 3, v[68:69]
	v_mov_b32_e32 v73, s12
	v_add_co_u32_e32 v70, vcc, s73, v70
	v_addc_co_u32_e32 v71, vcc, v73, v71, vcc
	v_lshlrev_b64 v[68:69], 2, v[68:69]
	global_store_dwordx2 v[70:71], v[54:55], off
	v_mov_b32_e32 v70, s74
	v_add_co_u32_e32 v68, vcc, s13, v68
	v_addc_co_u32_e32 v69, vcc, v70, v69, vcc
	s_waitcnt vmcnt(1)
	global_store_dword v[68:69], v72, off
.LBB51_99:                              ;   in Loop: Header=BB51_21 Depth=1
	s_or_b64 exec, exec, s[36:37]
	v_readlane_b32 s14, v74, 20
	v_readlane_b32 s15, v74, 21
	s_and_saveexec_b64 s[36:37], s[14:15]
	s_cbranch_execz .LBB51_101
; %bb.100:                              ;   in Loop: Header=BB51_21 Depth=1
	v_add_co_u32_e32 v68, vcc, v66, v65
	v_addc_co_u32_e32 v69, vcc, 0, v67, vcc
	v_add_co_u32_e32 v68, vcc, s80, v68
	v_addc_co_u32_e32 v69, vcc, 0, v69, vcc
	;; [unrolled: 2-line block ×4, first 2 shown]
	v_cndmask_b32_e64 v69, v71, v69, s[0:1]
	v_cndmask_b32_e64 v68, v70, v68, s[0:1]
	global_load_dword v70, v[68:69], off
	v_add_co_u32_e32 v58, vcc, v58, v0
	v_addc_co_u32_e32 v59, vcc, 0, v59, vcc
	v_lshlrev_b64 v[68:69], 3, v[58:59]
	v_mov_b32_e32 v71, s76
	v_add_co_u32_e32 v68, vcc, s75, v68
	v_addc_co_u32_e32 v69, vcc, v71, v69, vcc
	v_lshlrev_b64 v[58:59], 2, v[58:59]
	global_store_dwordx2 v[68:69], v[56:57], off
	v_mov_b32_e32 v68, s6
	v_add_co_u32_e32 v58, vcc, s77, v58
	v_addc_co_u32_e32 v59, vcc, v68, v59, vcc
	s_waitcnt vmcnt(1)
	global_store_dword v[58:59], v70, off
.LBB51_101:                             ;   in Loop: Header=BB51_21 Depth=1
	s_or_b64 exec, exec, s[36:37]
	v_mov_b32_e32 v58, s82
	v_add_co_u32_e32 v68, vcc, s81, v15
	v_addc_co_u32_e32 v58, vcc, v17, v58, vcc
	v_mul_lo_u32 v70, v58, s40
	v_pk_mov_b32 v[58:59], s[46:47], s[46:47] op_sel:[0,1]
	v_mul_lo_u32 v69, v68, s41
	v_mad_u64_u32 v[58:59], s[36:37], v68, s40, v[58:59]
	v_mov_b32_e32 v68, s35
	v_add_co_u32_e32 v66, vcc, s34, v66
	v_readlane_b32 s14, v74, 22
	v_add3_u32 v59, v70, v59, v69
	v_addc_co_u32_e32 v67, vcc, v67, v68, vcc
	v_readlane_b32 s15, v74, 23
	s_and_saveexec_b64 s[36:37], s[14:15]
	s_cbranch_execz .LBB51_103
; %bb.102:                              ;   in Loop: Header=BB51_21 Depth=1
	v_add_co_u32_e32 v68, vcc, v66, v65
	v_addc_co_u32_e32 v69, vcc, 0, v67, vcc
	v_add_co_u32_e32 v70, vcc, v63, v26
	v_addc_co_u32_e32 v71, vcc, v64, v27, vcc
	v_add_co_u32_e32 v70, vcc, 0x280, v70
	v_addc_co_u32_e32 v71, vcc, 0, v71, vcc
	v_cndmask_b32_e64 v69, v71, v69, s[0:1]
	v_cndmask_b32_e64 v68, v70, v68, s[0:1]
	global_load_dword v72, v[68:69], off
	v_add_co_u32_e32 v68, vcc, v58, v0
	v_addc_co_u32_e32 v69, vcc, 0, v59, vcc
	v_lshlrev_b64 v[70:71], 3, v[68:69]
	v_mov_b32_e32 v73, s5
	v_add_co_u32_e32 v70, vcc, s4, v70
	v_addc_co_u32_e32 v71, vcc, v73, v71, vcc
	v_lshlrev_b64 v[68:69], 2, v[68:69]
	global_store_dwordx2 v[70:71], v[40:41], off
	v_mov_b32_e32 v70, s49
	v_add_co_u32_e32 v68, vcc, s48, v68
	v_addc_co_u32_e32 v69, vcc, v70, v69, vcc
	s_waitcnt vmcnt(1)
	global_store_dword v[68:69], v72, off
.LBB51_103:                             ;   in Loop: Header=BB51_21 Depth=1
	s_or_b64 exec, exec, s[36:37]
	v_readlane_b32 s14, v74, 24
	v_readlane_b32 s15, v74, 25
	s_and_saveexec_b64 s[36:37], s[14:15]
	s_cbranch_execz .LBB51_105
; %bb.104:                              ;   in Loop: Header=BB51_21 Depth=1
	v_add_co_u32_e32 v68, vcc, v66, v65
	v_addc_co_u32_e32 v69, vcc, 0, v67, vcc
	v_add_co_u32_e32 v68, vcc, s54, v68
	v_addc_co_u32_e32 v69, vcc, 0, v69, vcc
	v_add_co_u32_e32 v70, vcc, v63, v52
	v_addc_co_u32_e32 v71, vcc, v64, v53, vcc
	v_add_co_u32_e32 v70, vcc, 0x280, v70
	v_addc_co_u32_e32 v71, vcc, 0, v71, vcc
	v_cndmask_b32_e64 v69, v71, v69, s[0:1]
	v_cndmask_b32_e64 v68, v70, v68, s[0:1]
	global_load_dword v72, v[68:69], off
	v_add_co_u32_e32 v68, vcc, v58, v0
	v_addc_co_u32_e32 v69, vcc, 0, v59, vcc
	v_lshlrev_b64 v[70:71], 3, v[68:69]
	v_mov_b32_e32 v73, s56
	v_add_co_u32_e32 v70, vcc, s55, v70
	v_addc_co_u32_e32 v71, vcc, v73, v71, vcc
	v_lshlrev_b64 v[68:69], 2, v[68:69]
	global_store_dwordx2 v[70:71], v[42:43], off
	v_mov_b32_e32 v70, s58
	v_add_co_u32_e32 v68, vcc, s57, v68
	v_addc_co_u32_e32 v69, vcc, v70, v69, vcc
	s_waitcnt vmcnt(1)
	global_store_dword v[68:69], v72, off
.LBB51_105:                             ;   in Loop: Header=BB51_21 Depth=1
	s_or_b64 exec, exec, s[36:37]
	v_readlane_b32 s14, v74, 26
	v_readlane_b32 s15, v74, 27
	s_and_saveexec_b64 s[36:37], s[14:15]
	s_cbranch_execz .LBB51_107
; %bb.106:                              ;   in Loop: Header=BB51_21 Depth=1
	v_add_co_u32_e32 v68, vcc, v66, v65
	v_addc_co_u32_e32 v69, vcc, 0, v67, vcc
	v_add_co_u32_e32 v68, vcc, s7, v68
	v_addc_co_u32_e32 v69, vcc, 0, v69, vcc
	v_add_co_u32_e32 v70, vcc, v63, v28
	v_addc_co_u32_e32 v71, vcc, v64, v29, vcc
	v_add_co_u32_e32 v70, vcc, 0x280, v70
	v_addc_co_u32_e32 v71, vcc, 0, v71, vcc
	v_cndmask_b32_e64 v69, v71, v69, s[0:1]
	v_cndmask_b32_e64 v68, v70, v68, s[0:1]
	global_load_dword v72, v[68:69], off
	v_add_co_u32_e32 v68, vcc, v58, v0
	v_addc_co_u32_e32 v69, vcc, 0, v59, vcc
	v_lshlrev_b64 v[70:71], 3, v[68:69]
	v_mov_b32_e32 v73, s10
	v_add_co_u32_e32 v70, vcc, s59, v70
	v_addc_co_u32_e32 v71, vcc, v73, v71, vcc
	v_lshlrev_b64 v[68:69], 2, v[68:69]
	global_store_dwordx2 v[70:71], v[44:45], off
	v_mov_b32_e32 v70, s60
	v_add_co_u32_e32 v68, vcc, s11, v68
	v_addc_co_u32_e32 v69, vcc, v70, v69, vcc
	s_waitcnt vmcnt(1)
	global_store_dword v[68:69], v72, off
.LBB51_107:                             ;   in Loop: Header=BB51_21 Depth=1
	;; [unrolled: 31-line block ×4, first 2 shown]
	s_or_b64 exec, exec, s[36:37]
	v_readlane_b32 s14, v74, 32
	v_readlane_b32 s15, v74, 33
	s_and_saveexec_b64 s[36:37], s[14:15]
	s_cbranch_execz .LBB51_113
; %bb.112:                              ;   in Loop: Header=BB51_21 Depth=1
	v_add_co_u32_e32 v68, vcc, v66, v65
	v_addc_co_u32_e32 v69, vcc, 0, v67, vcc
	v_add_co_u32_e32 v70, vcc, v63, v34
	v_addc_co_u32_e32 v71, vcc, v64, v35, vcc
	v_cndmask_b32_e64 v69, v71, v69, s[0:1]
	v_cndmask_b32_e64 v68, v70, v68, s[0:1]
	global_load_dword v72, v[68:69], off offset:640
	v_add_co_u32_e32 v68, vcc, v58, v0
	v_addc_co_u32_e32 v69, vcc, 0, v59, vcc
	v_lshlrev_b64 v[70:71], 3, v[68:69]
	v_mov_b32_e32 v73, s70
	v_add_co_u32_e32 v70, vcc, s69, v70
	v_addc_co_u32_e32 v71, vcc, v73, v71, vcc
	v_lshlrev_b64 v[68:69], 2, v[68:69]
	global_store_dwordx2 v[70:71], v[50:51], off
	v_mov_b32_e32 v70, s72
	v_add_co_u32_e32 v68, vcc, s71, v68
	v_addc_co_u32_e32 v69, vcc, v70, v69, vcc
	s_waitcnt vmcnt(1)
	global_store_dword v[68:69], v72, off
.LBB51_113:                             ;   in Loop: Header=BB51_21 Depth=1
	s_or_b64 exec, exec, s[36:37]
	v_readlane_b32 s14, v74, 34
	v_readlane_b32 s15, v74, 35
	s_and_saveexec_b64 s[36:37], s[14:15]
	s_cbranch_execz .LBB51_115
; %bb.114:                              ;   in Loop: Header=BB51_21 Depth=1
	v_add_co_u32_e32 v68, vcc, v66, v65
	v_addc_co_u32_e32 v69, vcc, 0, v67, vcc
	v_add_co_u32_e32 v68, vcc, s3, v68
	v_addc_co_u32_e32 v69, vcc, 0, v69, vcc
	;; [unrolled: 2-line block ×4, first 2 shown]
	v_cndmask_b32_e64 v69, v71, v69, s[0:1]
	v_cndmask_b32_e64 v68, v70, v68, s[0:1]
	global_load_dword v72, v[68:69], off
	v_add_co_u32_e32 v68, vcc, v58, v0
	v_addc_co_u32_e32 v69, vcc, 0, v59, vcc
	v_lshlrev_b64 v[70:71], 3, v[68:69]
	v_mov_b32_e32 v73, s12
	v_add_co_u32_e32 v70, vcc, s73, v70
	v_addc_co_u32_e32 v71, vcc, v73, v71, vcc
	v_lshlrev_b64 v[68:69], 2, v[68:69]
	global_store_dwordx2 v[70:71], v[54:55], off
	v_mov_b32_e32 v70, s74
	v_add_co_u32_e32 v68, vcc, s13, v68
	v_addc_co_u32_e32 v69, vcc, v70, v69, vcc
	s_waitcnt vmcnt(1)
	global_store_dword v[68:69], v72, off
.LBB51_115:                             ;   in Loop: Header=BB51_21 Depth=1
	s_or_b64 exec, exec, s[36:37]
	v_readlane_b32 s14, v74, 36
	v_readlane_b32 s15, v74, 37
	s_and_saveexec_b64 s[36:37], s[14:15]
	s_cbranch_execz .LBB51_117
; %bb.116:                              ;   in Loop: Header=BB51_21 Depth=1
	v_add_co_u32_e32 v68, vcc, v66, v65
	v_addc_co_u32_e32 v69, vcc, 0, v67, vcc
	v_add_co_u32_e32 v68, vcc, s80, v68
	v_addc_co_u32_e32 v69, vcc, 0, v69, vcc
	;; [unrolled: 2-line block ×4, first 2 shown]
	v_cndmask_b32_e64 v69, v71, v69, s[0:1]
	v_cndmask_b32_e64 v68, v70, v68, s[0:1]
	global_load_dword v70, v[68:69], off
	v_add_co_u32_e32 v58, vcc, v58, v0
	v_addc_co_u32_e32 v59, vcc, 0, v59, vcc
	v_lshlrev_b64 v[68:69], 3, v[58:59]
	v_mov_b32_e32 v71, s76
	v_add_co_u32_e32 v68, vcc, s75, v68
	v_addc_co_u32_e32 v69, vcc, v71, v69, vcc
	v_lshlrev_b64 v[58:59], 2, v[58:59]
	global_store_dwordx2 v[68:69], v[56:57], off
	v_mov_b32_e32 v68, s6
	v_add_co_u32_e32 v58, vcc, s77, v58
	v_addc_co_u32_e32 v59, vcc, v68, v59, vcc
	s_waitcnt vmcnt(1)
	global_store_dword v[58:59], v70, off
.LBB51_117:                             ;   in Loop: Header=BB51_21 Depth=1
	s_or_b64 exec, exec, s[36:37]
	v_mov_b32_e32 v58, s82
	v_add_co_u32_e32 v68, vcc, s81, v19
	v_addc_co_u32_e32 v58, vcc, v60, v58, vcc
	v_mul_lo_u32 v70, v58, s40
	v_pk_mov_b32 v[58:59], s[46:47], s[46:47] op_sel:[0,1]
	v_mul_lo_u32 v69, v68, s41
	v_mad_u64_u32 v[58:59], s[36:37], v68, s40, v[58:59]
	v_mov_b32_e32 v68, s35
	v_add_co_u32_e32 v66, vcc, s34, v66
	v_add3_u32 v59, v70, v59, v69
	v_addc_co_u32_e32 v67, vcc, v67, v68, vcc
	s_and_saveexec_b64 s[36:37], s[84:85]
	s_cbranch_execnz .LBB51_134
; %bb.118:                              ;   in Loop: Header=BB51_21 Depth=1
	s_or_b64 exec, exec, s[36:37]
	s_and_saveexec_b64 s[36:37], s[86:87]
	s_cbranch_execnz .LBB51_135
.LBB51_119:                             ;   in Loop: Header=BB51_21 Depth=1
	s_or_b64 exec, exec, s[36:37]
	s_and_saveexec_b64 s[36:37], s[88:89]
	s_cbranch_execnz .LBB51_136
.LBB51_120:                             ;   in Loop: Header=BB51_21 Depth=1
	s_or_b64 exec, exec, s[36:37]
	s_and_saveexec_b64 s[36:37], s[90:91]
	s_cbranch_execnz .LBB51_137
.LBB51_121:                             ;   in Loop: Header=BB51_21 Depth=1
	s_or_b64 exec, exec, s[36:37]
	s_and_saveexec_b64 s[36:37], s[92:93]
	s_cbranch_execnz .LBB51_138
.LBB51_122:                             ;   in Loop: Header=BB51_21 Depth=1
	s_or_b64 exec, exec, s[36:37]
	s_and_saveexec_b64 s[36:37], s[8:9]
	s_cbranch_execnz .LBB51_139
.LBB51_123:                             ;   in Loop: Header=BB51_21 Depth=1
	s_or_b64 exec, exec, s[36:37]
	s_and_saveexec_b64 s[36:37], s[94:95]
	s_cbranch_execnz .LBB51_140
.LBB51_124:                             ;   in Loop: Header=BB51_21 Depth=1
	s_or_b64 exec, exec, s[36:37]
	s_and_saveexec_b64 s[36:37], s[16:17]
	s_cbranch_execz .LBB51_126
.LBB51_125:                             ;   in Loop: Header=BB51_21 Depth=1
	v_add_co_u32_e32 v68, vcc, v66, v65
	v_addc_co_u32_e32 v69, vcc, 0, v67, vcc
	v_add_co_u32_e32 v68, vcc, s80, v68
	v_addc_co_u32_e32 v69, vcc, 0, v69, vcc
	;; [unrolled: 2-line block ×4, first 2 shown]
	v_cndmask_b32_e64 v69, v71, v69, s[0:1]
	v_cndmask_b32_e64 v68, v70, v68, s[0:1]
	global_load_dword v70, v[68:69], off
	v_add_co_u32_e32 v58, vcc, v58, v0
	v_addc_co_u32_e32 v59, vcc, 0, v59, vcc
	v_lshlrev_b64 v[68:69], 3, v[58:59]
	v_mov_b32_e32 v71, s76
	v_add_co_u32_e32 v68, vcc, s75, v68
	v_addc_co_u32_e32 v69, vcc, v71, v69, vcc
	v_lshlrev_b64 v[58:59], 2, v[58:59]
	global_store_dwordx2 v[68:69], v[56:57], off
	v_mov_b32_e32 v68, s6
	v_add_co_u32_e32 v58, vcc, s77, v58
	v_addc_co_u32_e32 v59, vcc, v68, v59, vcc
	s_waitcnt vmcnt(1)
	global_store_dword v[58:59], v70, off
.LBB51_126:                             ;   in Loop: Header=BB51_21 Depth=1
	s_or_b64 exec, exec, s[36:37]
	v_mov_b32_e32 v58, s82
	v_add_co_u32_e32 v68, vcc, s81, v61
	v_addc_co_u32_e32 v58, vcc, v62, v58, vcc
	v_mul_lo_u32 v70, v58, s40
	v_pk_mov_b32 v[58:59], s[46:47], s[46:47] op_sel:[0,1]
	v_mul_lo_u32 v69, v68, s41
	v_mad_u64_u32 v[58:59], s[36:37], v68, s40, v[58:59]
	v_mov_b32_e32 v68, s35
	v_add_co_u32_e32 v66, vcc, s34, v66
	v_add3_u32 v59, v70, v59, v69
	v_addc_co_u32_e32 v67, vcc, v67, v68, vcc
	s_and_saveexec_b64 s[34:35], s[38:39]
	s_cbranch_execnz .LBB51_141
; %bb.127:                              ;   in Loop: Header=BB51_21 Depth=1
	s_or_b64 exec, exec, s[34:35]
	s_and_saveexec_b64 s[34:35], s[20:21]
	s_cbranch_execnz .LBB51_142
.LBB51_128:                             ;   in Loop: Header=BB51_21 Depth=1
	s_or_b64 exec, exec, s[34:35]
	s_and_saveexec_b64 s[34:35], s[22:23]
	s_cbranch_execnz .LBB51_143
.LBB51_129:                             ;   in Loop: Header=BB51_21 Depth=1
	s_or_b64 exec, exec, s[34:35]
	s_and_saveexec_b64 s[34:35], s[24:25]
	s_cbranch_execnz .LBB51_144
.LBB51_130:                             ;   in Loop: Header=BB51_21 Depth=1
	s_or_b64 exec, exec, s[34:35]
	s_and_saveexec_b64 s[34:35], s[26:27]
	s_cbranch_execnz .LBB51_145
.LBB51_131:                             ;   in Loop: Header=BB51_21 Depth=1
	s_or_b64 exec, exec, s[34:35]
	s_and_saveexec_b64 s[34:35], s[28:29]
	s_cbranch_execnz .LBB51_146
.LBB51_132:                             ;   in Loop: Header=BB51_21 Depth=1
	s_or_b64 exec, exec, s[34:35]
	s_and_saveexec_b64 s[34:35], s[30:31]
	s_cbranch_execnz .LBB51_147
.LBB51_133:                             ;   in Loop: Header=BB51_21 Depth=1
	s_or_b64 exec, exec, s[34:35]
	s_and_saveexec_b64 s[34:35], s[18:19]
	s_cbranch_execz .LBB51_20
	s_branch .LBB51_148
.LBB51_134:                             ;   in Loop: Header=BB51_21 Depth=1
	v_add_co_u32_e32 v68, vcc, v66, v65
	v_addc_co_u32_e32 v69, vcc, 0, v67, vcc
	v_add_co_u32_e32 v70, vcc, v63, v26
	v_addc_co_u32_e32 v71, vcc, v64, v27, vcc
	;; [unrolled: 2-line block ×3, first 2 shown]
	v_cndmask_b32_e64 v69, v71, v69, s[0:1]
	v_cndmask_b32_e64 v68, v70, v68, s[0:1]
	global_load_dword v72, v[68:69], off
	v_add_co_u32_e32 v68, vcc, v58, v0
	v_addc_co_u32_e32 v69, vcc, 0, v59, vcc
	v_lshlrev_b64 v[70:71], 3, v[68:69]
	v_mov_b32_e32 v73, s5
	v_add_co_u32_e32 v70, vcc, s4, v70
	v_addc_co_u32_e32 v71, vcc, v73, v71, vcc
	v_lshlrev_b64 v[68:69], 2, v[68:69]
	global_store_dwordx2 v[70:71], v[40:41], off
	v_mov_b32_e32 v70, s49
	v_add_co_u32_e32 v68, vcc, s48, v68
	v_addc_co_u32_e32 v69, vcc, v70, v69, vcc
	s_waitcnt vmcnt(1)
	global_store_dword v[68:69], v72, off
	s_or_b64 exec, exec, s[36:37]
	s_and_saveexec_b64 s[36:37], s[86:87]
	s_cbranch_execz .LBB51_119
.LBB51_135:                             ;   in Loop: Header=BB51_21 Depth=1
	v_add_co_u32_e32 v68, vcc, v66, v65
	v_addc_co_u32_e32 v69, vcc, 0, v67, vcc
	v_add_co_u32_e32 v68, vcc, s54, v68
	v_addc_co_u32_e32 v69, vcc, 0, v69, vcc
	;; [unrolled: 2-line block ×4, first 2 shown]
	v_cndmask_b32_e64 v69, v71, v69, s[0:1]
	v_cndmask_b32_e64 v68, v70, v68, s[0:1]
	global_load_dword v72, v[68:69], off
	v_add_co_u32_e32 v68, vcc, v58, v0
	v_addc_co_u32_e32 v69, vcc, 0, v59, vcc
	v_lshlrev_b64 v[70:71], 3, v[68:69]
	v_mov_b32_e32 v73, s56
	v_add_co_u32_e32 v70, vcc, s55, v70
	v_addc_co_u32_e32 v71, vcc, v73, v71, vcc
	v_lshlrev_b64 v[68:69], 2, v[68:69]
	global_store_dwordx2 v[70:71], v[42:43], off
	v_mov_b32_e32 v70, s58
	v_add_co_u32_e32 v68, vcc, s57, v68
	v_addc_co_u32_e32 v69, vcc, v70, v69, vcc
	s_waitcnt vmcnt(1)
	global_store_dword v[68:69], v72, off
	s_or_b64 exec, exec, s[36:37]
	s_and_saveexec_b64 s[36:37], s[88:89]
	s_cbranch_execz .LBB51_120
.LBB51_136:                             ;   in Loop: Header=BB51_21 Depth=1
	v_add_co_u32_e32 v68, vcc, v66, v65
	v_addc_co_u32_e32 v69, vcc, 0, v67, vcc
	v_add_co_u32_e32 v68, vcc, s7, v68
	v_addc_co_u32_e32 v69, vcc, 0, v69, vcc
	;; [unrolled: 2-line block ×4, first 2 shown]
	v_cndmask_b32_e64 v69, v71, v69, s[0:1]
	v_cndmask_b32_e64 v68, v70, v68, s[0:1]
	global_load_dword v72, v[68:69], off
	v_add_co_u32_e32 v68, vcc, v58, v0
	v_addc_co_u32_e32 v69, vcc, 0, v59, vcc
	v_lshlrev_b64 v[70:71], 3, v[68:69]
	v_mov_b32_e32 v73, s10
	v_add_co_u32_e32 v70, vcc, s59, v70
	v_addc_co_u32_e32 v71, vcc, v73, v71, vcc
	v_lshlrev_b64 v[68:69], 2, v[68:69]
	global_store_dwordx2 v[70:71], v[44:45], off
	v_mov_b32_e32 v70, s60
	v_add_co_u32_e32 v68, vcc, s11, v68
	v_addc_co_u32_e32 v69, vcc, v70, v69, vcc
	s_waitcnt vmcnt(1)
	global_store_dword v[68:69], v72, off
	s_or_b64 exec, exec, s[36:37]
	s_and_saveexec_b64 s[36:37], s[90:91]
	s_cbranch_execz .LBB51_121
.LBB51_137:                             ;   in Loop: Header=BB51_21 Depth=1
	v_add_co_u32_e32 v68, vcc, v66, v65
	v_addc_co_u32_e32 v69, vcc, 0, v67, vcc
	v_add_co_u32_e32 v68, vcc, s78, v68
	v_addc_co_u32_e32 v69, vcc, 0, v69, vcc
	;; [unrolled: 2-line block ×4, first 2 shown]
	v_cndmask_b32_e64 v69, v71, v69, s[0:1]
	v_cndmask_b32_e64 v68, v70, v68, s[0:1]
	global_load_dword v72, v[68:69], off
	v_add_co_u32_e32 v68, vcc, v58, v0
	v_addc_co_u32_e32 v69, vcc, 0, v59, vcc
	v_lshlrev_b64 v[70:71], 3, v[68:69]
	v_mov_b32_e32 v73, s62
	v_add_co_u32_e32 v70, vcc, s61, v70
	v_addc_co_u32_e32 v71, vcc, v73, v71, vcc
	v_lshlrev_b64 v[68:69], 2, v[68:69]
	global_store_dwordx2 v[70:71], v[46:47], off
	v_mov_b32_e32 v70, s64
	v_add_co_u32_e32 v68, vcc, s63, v68
	v_addc_co_u32_e32 v69, vcc, v70, v69, vcc
	s_waitcnt vmcnt(1)
	global_store_dword v[68:69], v72, off
	s_or_b64 exec, exec, s[36:37]
	s_and_saveexec_b64 s[36:37], s[92:93]
	s_cbranch_execz .LBB51_122
.LBB51_138:                             ;   in Loop: Header=BB51_21 Depth=1
	v_add_co_u32_e32 v68, vcc, v66, v65
	v_addc_co_u32_e32 v69, vcc, 0, v67, vcc
	v_add_co_u32_e32 v68, vcc, s79, v68
	v_addc_co_u32_e32 v69, vcc, 0, v69, vcc
	v_add_co_u32_e32 v70, vcc, v63, v32
	v_addc_co_u32_e32 v71, vcc, v64, v33, vcc
	v_add_co_u32_e32 v70, vcc, 0x300, v70
	v_addc_co_u32_e32 v71, vcc, 0, v71, vcc
	v_cndmask_b32_e64 v69, v71, v69, s[0:1]
	v_cndmask_b32_e64 v68, v70, v68, s[0:1]
	global_load_dword v72, v[68:69], off
	v_add_co_u32_e32 v68, vcc, v58, v0
	v_addc_co_u32_e32 v69, vcc, 0, v59, vcc
	v_lshlrev_b64 v[70:71], 3, v[68:69]
	v_mov_b32_e32 v73, s66
	v_add_co_u32_e32 v70, vcc, s65, v70
	v_addc_co_u32_e32 v71, vcc, v73, v71, vcc
	v_lshlrev_b64 v[68:69], 2, v[68:69]
	global_store_dwordx2 v[70:71], v[48:49], off
	v_mov_b32_e32 v70, s68
	v_add_co_u32_e32 v68, vcc, s67, v68
	v_addc_co_u32_e32 v69, vcc, v70, v69, vcc
	s_waitcnt vmcnt(1)
	global_store_dword v[68:69], v72, off
	s_or_b64 exec, exec, s[36:37]
	s_and_saveexec_b64 s[36:37], s[8:9]
	s_cbranch_execz .LBB51_123
.LBB51_139:                             ;   in Loop: Header=BB51_21 Depth=1
	v_add_co_u32_e32 v68, vcc, v66, v65
	v_addc_co_u32_e32 v69, vcc, 0, v67, vcc
	v_add_co_u32_e32 v68, vcc, s2, v68
	v_addc_co_u32_e32 v69, vcc, 0, v69, vcc
	;; [unrolled: 2-line block ×4, first 2 shown]
	v_cndmask_b32_e64 v69, v71, v69, s[0:1]
	v_cndmask_b32_e64 v68, v70, v68, s[0:1]
	global_load_dword v72, v[68:69], off
	v_add_co_u32_e32 v68, vcc, v58, v0
	v_addc_co_u32_e32 v69, vcc, 0, v59, vcc
	v_lshlrev_b64 v[70:71], 3, v[68:69]
	v_mov_b32_e32 v73, s70
	v_add_co_u32_e32 v70, vcc, s69, v70
	v_addc_co_u32_e32 v71, vcc, v73, v71, vcc
	v_lshlrev_b64 v[68:69], 2, v[68:69]
	global_store_dwordx2 v[70:71], v[50:51], off
	v_mov_b32_e32 v70, s72
	v_add_co_u32_e32 v68, vcc, s71, v68
	v_addc_co_u32_e32 v69, vcc, v70, v69, vcc
	s_waitcnt vmcnt(1)
	global_store_dword v[68:69], v72, off
	s_or_b64 exec, exec, s[36:37]
	s_and_saveexec_b64 s[36:37], s[94:95]
	s_cbranch_execz .LBB51_124
.LBB51_140:                             ;   in Loop: Header=BB51_21 Depth=1
	v_add_co_u32_e32 v68, vcc, v66, v65
	v_addc_co_u32_e32 v69, vcc, 0, v67, vcc
	v_add_co_u32_e32 v70, vcc, v63, v36
	v_addc_co_u32_e32 v71, vcc, v64, v37, vcc
	v_cndmask_b32_e64 v69, v71, v69, s[0:1]
	v_cndmask_b32_e64 v68, v70, v68, s[0:1]
	global_load_dword v72, v[68:69], off offset:768
	v_add_co_u32_e32 v68, vcc, v58, v0
	v_addc_co_u32_e32 v69, vcc, 0, v59, vcc
	v_lshlrev_b64 v[70:71], 3, v[68:69]
	v_mov_b32_e32 v73, s12
	v_add_co_u32_e32 v70, vcc, s73, v70
	v_addc_co_u32_e32 v71, vcc, v73, v71, vcc
	v_lshlrev_b64 v[68:69], 2, v[68:69]
	global_store_dwordx2 v[70:71], v[54:55], off
	v_mov_b32_e32 v70, s74
	v_add_co_u32_e32 v68, vcc, s13, v68
	v_addc_co_u32_e32 v69, vcc, v70, v69, vcc
	s_waitcnt vmcnt(1)
	global_store_dword v[68:69], v72, off
	s_or_b64 exec, exec, s[36:37]
	s_and_saveexec_b64 s[36:37], s[16:17]
	s_cbranch_execnz .LBB51_125
	s_branch .LBB51_126
.LBB51_141:                             ;   in Loop: Header=BB51_21 Depth=1
	v_add_co_u32_e32 v68, vcc, v66, v65
	v_addc_co_u32_e32 v69, vcc, 0, v67, vcc
	v_add_co_u32_e32 v70, vcc, v63, v26
	v_addc_co_u32_e32 v71, vcc, v64, v27, vcc
	;; [unrolled: 2-line block ×3, first 2 shown]
	v_cndmask_b32_e64 v69, v71, v69, s[0:1]
	v_cndmask_b32_e64 v68, v70, v68, s[0:1]
	global_load_dword v72, v[68:69], off
	v_add_co_u32_e32 v68, vcc, v58, v0
	v_addc_co_u32_e32 v69, vcc, 0, v59, vcc
	v_lshlrev_b64 v[70:71], 3, v[68:69]
	v_mov_b32_e32 v73, s5
	v_add_co_u32_e32 v70, vcc, s4, v70
	v_addc_co_u32_e32 v71, vcc, v73, v71, vcc
	global_store_dwordx2 v[70:71], v[40:41], off
	v_lshlrev_b64 v[40:41], 2, v[68:69]
	v_mov_b32_e32 v68, s49
	v_add_co_u32_e32 v40, vcc, s48, v40
	v_addc_co_u32_e32 v41, vcc, v68, v41, vcc
	s_waitcnt vmcnt(1)
	global_store_dword v[40:41], v72, off
	s_or_b64 exec, exec, s[34:35]
	s_and_saveexec_b64 s[34:35], s[20:21]
	s_cbranch_execz .LBB51_128
.LBB51_142:                             ;   in Loop: Header=BB51_21 Depth=1
	v_add_co_u32_e32 v40, vcc, v66, v65
	v_addc_co_u32_e32 v41, vcc, 0, v67, vcc
	v_add_co_u32_e32 v40, vcc, s54, v40
	v_addc_co_u32_e32 v41, vcc, 0, v41, vcc
	;; [unrolled: 2-line block ×4, first 2 shown]
	v_cndmask_b32_e64 v41, v53, v41, s[0:1]
	v_cndmask_b32_e64 v40, v52, v40, s[0:1]
	global_load_dword v68, v[40:41], off
	v_add_co_u32_e32 v40, vcc, v58, v0
	v_addc_co_u32_e32 v41, vcc, 0, v59, vcc
	v_lshlrev_b64 v[52:53], 3, v[40:41]
	v_mov_b32_e32 v69, s56
	v_add_co_u32_e32 v52, vcc, s55, v52
	v_addc_co_u32_e32 v53, vcc, v69, v53, vcc
	v_lshlrev_b64 v[40:41], 2, v[40:41]
	global_store_dwordx2 v[52:53], v[42:43], off
	v_mov_b32_e32 v42, s58
	v_add_co_u32_e32 v40, vcc, s57, v40
	v_addc_co_u32_e32 v41, vcc, v42, v41, vcc
	s_waitcnt vmcnt(1)
	global_store_dword v[40:41], v68, off
	s_or_b64 exec, exec, s[34:35]
	s_and_saveexec_b64 s[34:35], s[22:23]
	s_cbranch_execz .LBB51_129
.LBB51_143:                             ;   in Loop: Header=BB51_21 Depth=1
	v_add_co_u32_e32 v40, vcc, v66, v65
	v_addc_co_u32_e32 v41, vcc, 0, v67, vcc
	v_add_co_u32_e32 v40, vcc, s7, v40
	v_addc_co_u32_e32 v41, vcc, 0, v41, vcc
	v_add_co_u32_e32 v42, vcc, v63, v28
	v_addc_co_u32_e32 v43, vcc, v64, v29, vcc
	v_add_co_u32_e32 v42, vcc, 0x380, v42
	v_addc_co_u32_e32 v43, vcc, 0, v43, vcc
	v_cndmask_b32_e64 v41, v43, v41, s[0:1]
	v_cndmask_b32_e64 v40, v42, v40, s[0:1]
	global_load_dword v52, v[40:41], off
	v_add_co_u32_e32 v40, vcc, v58, v0
	v_addc_co_u32_e32 v41, vcc, 0, v59, vcc
	v_lshlrev_b64 v[42:43], 3, v[40:41]
	v_mov_b32_e32 v53, s10
	v_add_co_u32_e32 v42, vcc, s59, v42
	v_addc_co_u32_e32 v43, vcc, v53, v43, vcc
	v_lshlrev_b64 v[40:41], 2, v[40:41]
	global_store_dwordx2 v[42:43], v[44:45], off
	v_mov_b32_e32 v42, s60
	v_add_co_u32_e32 v40, vcc, s11, v40
	v_addc_co_u32_e32 v41, vcc, v42, v41, vcc
	s_waitcnt vmcnt(1)
	global_store_dword v[40:41], v52, off
	s_or_b64 exec, exec, s[34:35]
	s_and_saveexec_b64 s[34:35], s[24:25]
	s_cbranch_execz .LBB51_130
.LBB51_144:                             ;   in Loop: Header=BB51_21 Depth=1
	v_add_co_u32_e32 v40, vcc, v66, v65
	v_addc_co_u32_e32 v41, vcc, 0, v67, vcc
	v_add_co_u32_e32 v40, vcc, s78, v40
	v_addc_co_u32_e32 v41, vcc, 0, v41, vcc
	v_add_co_u32_e32 v42, vcc, v63, v30
	v_addc_co_u32_e32 v43, vcc, v64, v31, vcc
	v_add_co_u32_e32 v42, vcc, 0x380, v42
	v_addc_co_u32_e32 v43, vcc, 0, v43, vcc
	v_cndmask_b32_e64 v41, v43, v41, s[0:1]
	v_cndmask_b32_e64 v40, v42, v40, s[0:1]
	global_load_dword v44, v[40:41], off
	v_add_co_u32_e32 v40, vcc, v58, v0
	v_addc_co_u32_e32 v41, vcc, 0, v59, vcc
	v_lshlrev_b64 v[42:43], 3, v[40:41]
	v_mov_b32_e32 v45, s62
	v_add_co_u32_e32 v42, vcc, s61, v42
	v_addc_co_u32_e32 v43, vcc, v45, v43, vcc
	v_lshlrev_b64 v[40:41], 2, v[40:41]
	global_store_dwordx2 v[42:43], v[46:47], off
	v_mov_b32_e32 v42, s64
	v_add_co_u32_e32 v40, vcc, s63, v40
	v_addc_co_u32_e32 v41, vcc, v42, v41, vcc
	s_waitcnt vmcnt(1)
	global_store_dword v[40:41], v44, off
	s_or_b64 exec, exec, s[34:35]
	s_and_saveexec_b64 s[34:35], s[26:27]
	s_cbranch_execz .LBB51_131
.LBB51_145:                             ;   in Loop: Header=BB51_21 Depth=1
	v_add_co_u32_e32 v40, vcc, v66, v65
	v_addc_co_u32_e32 v41, vcc, 0, v67, vcc
	v_add_co_u32_e32 v40, vcc, s79, v40
	v_addc_co_u32_e32 v41, vcc, 0, v41, vcc
	;; [unrolled: 2-line block ×4, first 2 shown]
	v_cndmask_b32_e64 v41, v43, v41, s[0:1]
	v_cndmask_b32_e64 v40, v42, v40, s[0:1]
	global_load_dword v44, v[40:41], off
	v_add_co_u32_e32 v40, vcc, v58, v0
	v_addc_co_u32_e32 v41, vcc, 0, v59, vcc
	v_lshlrev_b64 v[42:43], 3, v[40:41]
	v_mov_b32_e32 v45, s66
	v_add_co_u32_e32 v42, vcc, s65, v42
	v_addc_co_u32_e32 v43, vcc, v45, v43, vcc
	v_lshlrev_b64 v[40:41], 2, v[40:41]
	global_store_dwordx2 v[42:43], v[48:49], off
	v_mov_b32_e32 v42, s68
	v_add_co_u32_e32 v40, vcc, s67, v40
	v_addc_co_u32_e32 v41, vcc, v42, v41, vcc
	s_waitcnt vmcnt(1)
	global_store_dword v[40:41], v44, off
	s_or_b64 exec, exec, s[34:35]
	s_and_saveexec_b64 s[34:35], s[28:29]
	s_cbranch_execz .LBB51_132
.LBB51_146:                             ;   in Loop: Header=BB51_21 Depth=1
	v_add_co_u32_e32 v40, vcc, v66, v65
	v_addc_co_u32_e32 v41, vcc, 0, v67, vcc
	v_add_co_u32_e32 v40, vcc, s2, v40
	v_addc_co_u32_e32 v41, vcc, 0, v41, vcc
	v_add_co_u32_e32 v42, vcc, v63, v34
	v_addc_co_u32_e32 v43, vcc, v64, v35, vcc
	v_add_co_u32_e32 v42, vcc, 0x380, v42
	v_addc_co_u32_e32 v43, vcc, 0, v43, vcc
	v_cndmask_b32_e64 v41, v43, v41, s[0:1]
	v_cndmask_b32_e64 v40, v42, v40, s[0:1]
	global_load_dword v44, v[40:41], off
	v_add_co_u32_e32 v40, vcc, v58, v0
	v_addc_co_u32_e32 v41, vcc, 0, v59, vcc
	v_lshlrev_b64 v[42:43], 3, v[40:41]
	v_mov_b32_e32 v45, s70
	v_add_co_u32_e32 v42, vcc, s69, v42
	v_addc_co_u32_e32 v43, vcc, v45, v43, vcc
	v_lshlrev_b64 v[40:41], 2, v[40:41]
	global_store_dwordx2 v[42:43], v[50:51], off
	v_mov_b32_e32 v42, s72
	v_add_co_u32_e32 v40, vcc, s71, v40
	v_addc_co_u32_e32 v41, vcc, v42, v41, vcc
	s_waitcnt vmcnt(1)
	global_store_dword v[40:41], v44, off
	s_or_b64 exec, exec, s[34:35]
	s_and_saveexec_b64 s[34:35], s[30:31]
	s_cbranch_execz .LBB51_133
.LBB51_147:                             ;   in Loop: Header=BB51_21 Depth=1
	v_add_co_u32_e32 v40, vcc, v66, v65
	v_addc_co_u32_e32 v41, vcc, 0, v67, vcc
	v_add_co_u32_e32 v40, vcc, s3, v40
	v_addc_co_u32_e32 v41, vcc, 0, v41, vcc
	v_add_co_u32_e32 v42, vcc, v63, v36
	v_addc_co_u32_e32 v43, vcc, v64, v37, vcc
	v_add_co_u32_e32 v42, vcc, 0x380, v42
	v_addc_co_u32_e32 v43, vcc, 0, v43, vcc
	v_cndmask_b32_e64 v41, v43, v41, s[0:1]
	v_cndmask_b32_e64 v40, v42, v40, s[0:1]
	global_load_dword v44, v[40:41], off
	v_add_co_u32_e32 v40, vcc, v58, v0
	v_addc_co_u32_e32 v41, vcc, 0, v59, vcc
	v_lshlrev_b64 v[42:43], 3, v[40:41]
	v_mov_b32_e32 v45, s12
	v_add_co_u32_e32 v42, vcc, s73, v42
	v_addc_co_u32_e32 v43, vcc, v45, v43, vcc
	v_lshlrev_b64 v[40:41], 2, v[40:41]
	global_store_dwordx2 v[42:43], v[54:55], off
	v_mov_b32_e32 v42, s74
	v_add_co_u32_e32 v40, vcc, s13, v40
	v_addc_co_u32_e32 v41, vcc, v42, v41, vcc
	s_waitcnt vmcnt(1)
	global_store_dword v[40:41], v44, off
	s_or_b64 exec, exec, s[34:35]
	s_and_saveexec_b64 s[34:35], s[18:19]
	s_cbranch_execz .LBB51_20
.LBB51_148:                             ;   in Loop: Header=BB51_21 Depth=1
	v_add_co_u32_e32 v40, vcc, v66, v65
	v_addc_co_u32_e32 v41, vcc, 0, v67, vcc
	v_add_co_u32_e32 v42, vcc, v63, v38
	v_addc_co_u32_e32 v43, vcc, v64, v39, vcc
	v_cndmask_b32_e64 v41, v43, v41, s[0:1]
	v_cndmask_b32_e64 v40, v42, v40, s[0:1]
	global_load_dword v44, v[40:41], off offset:896
	v_add_co_u32_e32 v40, vcc, v58, v0
	v_addc_co_u32_e32 v41, vcc, 0, v59, vcc
	v_lshlrev_b64 v[42:43], 3, v[40:41]
	v_mov_b32_e32 v45, s76
	v_add_co_u32_e32 v42, vcc, s75, v42
	v_addc_co_u32_e32 v43, vcc, v45, v43, vcc
	v_lshlrev_b64 v[40:41], 2, v[40:41]
	global_store_dwordx2 v[42:43], v[56:57], off
	v_mov_b32_e32 v42, s6
	v_add_co_u32_e32 v40, vcc, s77, v40
	v_addc_co_u32_e32 v41, vcc, v42, v41, vcc
	s_waitcnt vmcnt(1)
	global_store_dword v[40:41], v44, off
	s_branch .LBB51_20
.LBB51_149:
	s_endpgm
	.section	.rodata,"a",@progbits
	.p2align	6, 0x0
	.amdhsa_kernel _ZN9rocsparseL35bsr2csr_block_per_row_33_256_kernelILj1024ELj256ELj32EillEEv20rocsparse_direction_T4_S2_21rocsparse_index_base_PKT2_PKT3_PKS2_S2_S3_PS4_PS7_PS2_
		.amdhsa_group_segment_fixed_size 0
		.amdhsa_private_segment_fixed_size 0
		.amdhsa_kernarg_size 96
		.amdhsa_user_sgpr_count 6
		.amdhsa_user_sgpr_private_segment_buffer 1
		.amdhsa_user_sgpr_dispatch_ptr 0
		.amdhsa_user_sgpr_queue_ptr 0
		.amdhsa_user_sgpr_kernarg_segment_ptr 1
		.amdhsa_user_sgpr_dispatch_id 0
		.amdhsa_user_sgpr_flat_scratch_init 0
		.amdhsa_user_sgpr_kernarg_preload_length 0
		.amdhsa_user_sgpr_kernarg_preload_offset 0
		.amdhsa_user_sgpr_private_segment_size 0
		.amdhsa_uses_dynamic_stack 0
		.amdhsa_system_sgpr_private_segment_wavefront_offset 0
		.amdhsa_system_sgpr_workgroup_id_x 1
		.amdhsa_system_sgpr_workgroup_id_y 0
		.amdhsa_system_sgpr_workgroup_id_z 0
		.amdhsa_system_sgpr_workgroup_info 0
		.amdhsa_system_vgpr_workitem_id 0
		.amdhsa_next_free_vgpr 76
		.amdhsa_next_free_sgpr 96
		.amdhsa_accum_offset 76
		.amdhsa_reserve_vcc 1
		.amdhsa_reserve_flat_scratch 0
		.amdhsa_float_round_mode_32 0
		.amdhsa_float_round_mode_16_64 0
		.amdhsa_float_denorm_mode_32 3
		.amdhsa_float_denorm_mode_16_64 3
		.amdhsa_dx10_clamp 1
		.amdhsa_ieee_mode 1
		.amdhsa_fp16_overflow 0
		.amdhsa_tg_split 0
		.amdhsa_exception_fp_ieee_invalid_op 0
		.amdhsa_exception_fp_denorm_src 0
		.amdhsa_exception_fp_ieee_div_zero 0
		.amdhsa_exception_fp_ieee_overflow 0
		.amdhsa_exception_fp_ieee_underflow 0
		.amdhsa_exception_fp_ieee_inexact 0
		.amdhsa_exception_int_div_zero 0
	.end_amdhsa_kernel
	.section	.text._ZN9rocsparseL35bsr2csr_block_per_row_33_256_kernelILj1024ELj256ELj32EillEEv20rocsparse_direction_T4_S2_21rocsparse_index_base_PKT2_PKT3_PKS2_S2_S3_PS4_PS7_PS2_,"axG",@progbits,_ZN9rocsparseL35bsr2csr_block_per_row_33_256_kernelILj1024ELj256ELj32EillEEv20rocsparse_direction_T4_S2_21rocsparse_index_base_PKT2_PKT3_PKS2_S2_S3_PS4_PS7_PS2_,comdat
.Lfunc_end51:
	.size	_ZN9rocsparseL35bsr2csr_block_per_row_33_256_kernelILj1024ELj256ELj32EillEEv20rocsparse_direction_T4_S2_21rocsparse_index_base_PKT2_PKT3_PKS2_S2_S3_PS4_PS7_PS2_, .Lfunc_end51-_ZN9rocsparseL35bsr2csr_block_per_row_33_256_kernelILj1024ELj256ELj32EillEEv20rocsparse_direction_T4_S2_21rocsparse_index_base_PKT2_PKT3_PKS2_S2_S3_PS4_PS7_PS2_
                                        ; -- End function
	.section	.AMDGPU.csdata,"",@progbits
; Kernel info:
; codeLenInByte = 13216
; NumSgprs: 100
; NumVgprs: 76
; NumAgprs: 0
; TotalNumVgprs: 76
; ScratchSize: 0
; MemoryBound: 0
; FloatMode: 240
; IeeeMode: 1
; LDSByteSize: 0 bytes/workgroup (compile time only)
; SGPRBlocks: 12
; VGPRBlocks: 9
; NumSGPRsForWavesPerEU: 100
; NumVGPRsForWavesPerEU: 76
; AccumOffset: 76
; Occupancy: 6
; WaveLimiterHint : 1
; COMPUTE_PGM_RSRC2:SCRATCH_EN: 0
; COMPUTE_PGM_RSRC2:USER_SGPR: 6
; COMPUTE_PGM_RSRC2:TRAP_HANDLER: 0
; COMPUTE_PGM_RSRC2:TGID_X_EN: 1
; COMPUTE_PGM_RSRC2:TGID_Y_EN: 0
; COMPUTE_PGM_RSRC2:TGID_Z_EN: 0
; COMPUTE_PGM_RSRC2:TIDIG_COMP_CNT: 0
; COMPUTE_PGM_RSRC3_GFX90A:ACCUM_OFFSET: 18
; COMPUTE_PGM_RSRC3_GFX90A:TG_SPLIT: 0
	.section	.text._ZN9rocsparseL35bsr2csr_block_dim_equals_one_kernelILj1024EliiEEvT2_S1_21rocsparse_index_base_PKT0_PKT1_PKS1_S2_PS3_PS6_PS1_,"axG",@progbits,_ZN9rocsparseL35bsr2csr_block_dim_equals_one_kernelILj1024EliiEEvT2_S1_21rocsparse_index_base_PKT0_PKT1_PKS1_S2_PS3_PS6_PS1_,comdat
	.globl	_ZN9rocsparseL35bsr2csr_block_dim_equals_one_kernelILj1024EliiEEvT2_S1_21rocsparse_index_base_PKT0_PKT1_PKS1_S2_PS3_PS6_PS1_ ; -- Begin function _ZN9rocsparseL35bsr2csr_block_dim_equals_one_kernelILj1024EliiEEvT2_S1_21rocsparse_index_base_PKT0_PKT1_PKS1_S2_PS3_PS6_PS1_
	.p2align	8
	.type	_ZN9rocsparseL35bsr2csr_block_dim_equals_one_kernelILj1024EliiEEvT2_S1_21rocsparse_index_base_PKT0_PKT1_PKS1_S2_PS3_PS6_PS1_,@function
_ZN9rocsparseL35bsr2csr_block_dim_equals_one_kernelILj1024EliiEEvT2_S1_21rocsparse_index_base_PKT0_PKT1_PKS1_S2_PS3_PS6_PS1_: ; @_ZN9rocsparseL35bsr2csr_block_dim_equals_one_kernelILj1024EliiEEvT2_S1_21rocsparse_index_base_PKT0_PKT1_PKS1_S2_PS3_PS6_PS1_
; %bb.0:
	v_lshl_or_b32 v0, s6, 10, v0
	s_load_dword s14, s[4:5], 0x0
	s_load_dword s20, s[4:5], 0x8
	s_load_dwordx4 s[0:3], s[4:5], 0x10
	s_load_dwordx2 s[8:9], s[4:5], 0x20
	s_load_dword s21, s[4:5], 0x28
	s_load_dwordx2 s[10:11], s[4:5], 0x40
	s_load_dwordx2 s[12:13], s[4:5], 0x30
	s_waitcnt lgkmcnt(0)
	v_cmp_gt_i32_e32 vcc, s14, v0
	s_and_saveexec_b64 s[6:7], vcc
	s_cbranch_execz .LBB52_6
; %bb.1:
	s_load_dwordx2 s[16:17], s[4:5], 0x38
	v_cmp_ne_u32_e32 vcc, 0, v0
                                        ; implicit-def: $sgpr15
	s_and_saveexec_b64 s[18:19], vcc
	s_xor_b64 s[18:19], exec, s[18:19]
; %bb.2:
	s_sub_i32 s15, s21, s20
; %bb.3:
	s_or_saveexec_b64 s[18:19], s[18:19]
	v_mov_b32_e32 v2, s15
	s_xor_b64 exec, exec, s[18:19]
	s_cbranch_execz .LBB52_5
; %bb.4:
	s_load_dword s15, s[2:3], 0x0
	s_sub_i32 s22, s21, s20
	v_mov_b32_e32 v1, 0
	s_waitcnt lgkmcnt(0)
	s_add_i32 s15, s22, s15
	v_mov_b32_e32 v2, s15
	global_store_dword v1, v2, s[16:17]
	v_mov_b32_e32 v2, s22
.LBB52_5:
	s_or_b64 exec, exec, s[18:19]
	v_ashrrev_i32_e32 v1, 31, v0
	v_lshlrev_b64 v[4:5], 2, v[0:1]
	v_mov_b32_e32 v1, s3
	v_add_co_u32_e32 v6, vcc, s2, v4
	v_addc_co_u32_e32 v7, vcc, v1, v5, vcc
	global_load_dword v1, v[6:7], off offset:4
	s_waitcnt lgkmcnt(0)
	v_mov_b32_e32 v3, s17
	s_waitcnt vmcnt(0)
	v_add_u32_e32 v1, v2, v1
	v_add_co_u32_e32 v2, vcc, s16, v4
	v_addc_co_u32_e32 v3, vcc, v3, v5, vcc
	global_store_dword v[2:3], v1, off offset:4
.LBB52_6:
	s_or_b64 exec, exec, s[6:7]
	s_ashr_i32 s15, s14, 31
	s_lshl_b64 s[6:7], s[14:15], 2
	s_add_u32 s6, s2, s6
	s_addc_u32 s7, s3, s7
	s_load_dword s14, s[6:7], 0x0
	s_load_dword s15, s[2:3], 0x0
	s_waitcnt lgkmcnt(0)
	s_sub_i32 s6, s14, s15
	v_cmp_gt_i32_e32 vcc, s6, v0
	s_and_saveexec_b64 s[2:3], vcc
	s_cbranch_execz .LBB52_9
; %bb.7:
	s_load_dword s5, s[4:5], 0x48
	s_sub_i32 s4, s21, s20
	s_mov_b64 s[2:3], 0
	v_mov_b32_e32 v2, s9
	v_mov_b32_e32 v3, s11
	s_waitcnt lgkmcnt(0)
	s_lshl_b32 s5, s5, 10
	v_mov_b32_e32 v4, s1
	v_mov_b32_e32 v5, s13
.LBB52_8:                               ; =>This Inner Loop Header: Depth=1
	v_ashrrev_i32_e32 v1, 31, v0
	v_lshlrev_b64 v[6:7], 2, v[0:1]
	v_add_co_u32_e32 v8, vcc, s8, v6
	v_addc_co_u32_e32 v9, vcc, v2, v7, vcc
	global_load_dword v12, v[8:9], off
	v_lshlrev_b64 v[8:9], 3, v[0:1]
	v_add_co_u32_e32 v10, vcc, s0, v8
	v_addc_co_u32_e32 v11, vcc, v4, v9, vcc
	global_load_dwordx2 v[10:11], v[10:11], off
	v_add_co_u32_e32 v6, vcc, s10, v6
	v_addc_co_u32_e32 v7, vcc, v3, v7, vcc
	v_add_co_u32_e32 v8, vcc, s12, v8
	v_add_u32_e32 v0, s5, v0
	v_addc_co_u32_e32 v9, vcc, v5, v9, vcc
	v_cmp_le_i32_e32 vcc, s6, v0
	s_or_b64 s[2:3], vcc, s[2:3]
	s_waitcnt vmcnt(1)
	v_add_u32_e32 v1, s4, v12
	global_store_dword v[6:7], v1, off
	s_waitcnt vmcnt(1)
	global_store_dwordx2 v[8:9], v[10:11], off
	s_andn2_b64 exec, exec, s[2:3]
	s_cbranch_execnz .LBB52_8
.LBB52_9:
	s_endpgm
	.section	.rodata,"a",@progbits
	.p2align	6, 0x0
	.amdhsa_kernel _ZN9rocsparseL35bsr2csr_block_dim_equals_one_kernelILj1024EliiEEvT2_S1_21rocsparse_index_base_PKT0_PKT1_PKS1_S2_PS3_PS6_PS1_
		.amdhsa_group_segment_fixed_size 0
		.amdhsa_private_segment_fixed_size 0
		.amdhsa_kernarg_size 328
		.amdhsa_user_sgpr_count 6
		.amdhsa_user_sgpr_private_segment_buffer 1
		.amdhsa_user_sgpr_dispatch_ptr 0
		.amdhsa_user_sgpr_queue_ptr 0
		.amdhsa_user_sgpr_kernarg_segment_ptr 1
		.amdhsa_user_sgpr_dispatch_id 0
		.amdhsa_user_sgpr_flat_scratch_init 0
		.amdhsa_user_sgpr_kernarg_preload_length 0
		.amdhsa_user_sgpr_kernarg_preload_offset 0
		.amdhsa_user_sgpr_private_segment_size 0
		.amdhsa_uses_dynamic_stack 0
		.amdhsa_system_sgpr_private_segment_wavefront_offset 0
		.amdhsa_system_sgpr_workgroup_id_x 1
		.amdhsa_system_sgpr_workgroup_id_y 0
		.amdhsa_system_sgpr_workgroup_id_z 0
		.amdhsa_system_sgpr_workgroup_info 0
		.amdhsa_system_vgpr_workitem_id 0
		.amdhsa_next_free_vgpr 13
		.amdhsa_next_free_sgpr 23
		.amdhsa_accum_offset 16
		.amdhsa_reserve_vcc 1
		.amdhsa_reserve_flat_scratch 0
		.amdhsa_float_round_mode_32 0
		.amdhsa_float_round_mode_16_64 0
		.amdhsa_float_denorm_mode_32 3
		.amdhsa_float_denorm_mode_16_64 3
		.amdhsa_dx10_clamp 1
		.amdhsa_ieee_mode 1
		.amdhsa_fp16_overflow 0
		.amdhsa_tg_split 0
		.amdhsa_exception_fp_ieee_invalid_op 0
		.amdhsa_exception_fp_denorm_src 0
		.amdhsa_exception_fp_ieee_div_zero 0
		.amdhsa_exception_fp_ieee_overflow 0
		.amdhsa_exception_fp_ieee_underflow 0
		.amdhsa_exception_fp_ieee_inexact 0
		.amdhsa_exception_int_div_zero 0
	.end_amdhsa_kernel
	.section	.text._ZN9rocsparseL35bsr2csr_block_dim_equals_one_kernelILj1024EliiEEvT2_S1_21rocsparse_index_base_PKT0_PKT1_PKS1_S2_PS3_PS6_PS1_,"axG",@progbits,_ZN9rocsparseL35bsr2csr_block_dim_equals_one_kernelILj1024EliiEEvT2_S1_21rocsparse_index_base_PKT0_PKT1_PKS1_S2_PS3_PS6_PS1_,comdat
.Lfunc_end52:
	.size	_ZN9rocsparseL35bsr2csr_block_dim_equals_one_kernelILj1024EliiEEvT2_S1_21rocsparse_index_base_PKT0_PKT1_PKS1_S2_PS3_PS6_PS1_, .Lfunc_end52-_ZN9rocsparseL35bsr2csr_block_dim_equals_one_kernelILj1024EliiEEvT2_S1_21rocsparse_index_base_PKT0_PKT1_PKS1_S2_PS3_PS6_PS1_
                                        ; -- End function
	.section	.AMDGPU.csdata,"",@progbits
; Kernel info:
; codeLenInByte = 444
; NumSgprs: 27
; NumVgprs: 13
; NumAgprs: 0
; TotalNumVgprs: 13
; ScratchSize: 0
; MemoryBound: 0
; FloatMode: 240
; IeeeMode: 1
; LDSByteSize: 0 bytes/workgroup (compile time only)
; SGPRBlocks: 3
; VGPRBlocks: 1
; NumSGPRsForWavesPerEU: 27
; NumVGPRsForWavesPerEU: 13
; AccumOffset: 16
; Occupancy: 8
; WaveLimiterHint : 0
; COMPUTE_PGM_RSRC2:SCRATCH_EN: 0
; COMPUTE_PGM_RSRC2:USER_SGPR: 6
; COMPUTE_PGM_RSRC2:TRAP_HANDLER: 0
; COMPUTE_PGM_RSRC2:TGID_X_EN: 1
; COMPUTE_PGM_RSRC2:TGID_Y_EN: 0
; COMPUTE_PGM_RSRC2:TGID_Z_EN: 0
; COMPUTE_PGM_RSRC2:TIDIG_COMP_CNT: 0
; COMPUTE_PGM_RSRC3_GFX90A:ACCUM_OFFSET: 3
; COMPUTE_PGM_RSRC3_GFX90A:TG_SPLIT: 0
	.section	.text._ZN9rocsparseL32bsr2csr_block_per_row_2_7_kernelILj256ELj2EliiEEv20rocsparse_direction_T3_S2_21rocsparse_index_base_PKT1_PKT2_PKS2_S2_S3_PS4_PS7_PS2_,"axG",@progbits,_ZN9rocsparseL32bsr2csr_block_per_row_2_7_kernelILj256ELj2EliiEEv20rocsparse_direction_T3_S2_21rocsparse_index_base_PKT1_PKT2_PKS2_S2_S3_PS4_PS7_PS2_,comdat
	.globl	_ZN9rocsparseL32bsr2csr_block_per_row_2_7_kernelILj256ELj2EliiEEv20rocsparse_direction_T3_S2_21rocsparse_index_base_PKT1_PKT2_PKS2_S2_S3_PS4_PS7_PS2_ ; -- Begin function _ZN9rocsparseL32bsr2csr_block_per_row_2_7_kernelILj256ELj2EliiEEv20rocsparse_direction_T3_S2_21rocsparse_index_base_PKT1_PKT2_PKS2_S2_S3_PS4_PS7_PS2_
	.p2align	8
	.type	_ZN9rocsparseL32bsr2csr_block_per_row_2_7_kernelILj256ELj2EliiEEv20rocsparse_direction_T3_S2_21rocsparse_index_base_PKT1_PKT2_PKS2_S2_S3_PS4_PS7_PS2_,@function
_ZN9rocsparseL32bsr2csr_block_per_row_2_7_kernelILj256ELj2EliiEEv20rocsparse_direction_T3_S2_21rocsparse_index_base_PKT1_PKT2_PKS2_S2_S3_PS4_PS7_PS2_: ; @_ZN9rocsparseL32bsr2csr_block_per_row_2_7_kernelILj256ELj2EliiEEv20rocsparse_direction_T3_S2_21rocsparse_index_base_PKT1_PKT2_PKS2_S2_S3_PS4_PS7_PS2_
; %bb.0:
	s_load_dwordx2 s[0:1], s[4:5], 0x18
	s_load_dword s12, s[4:5], 0x2c
	s_load_dwordx2 s[2:3], s[4:5], 0x38
	s_ashr_i32 s7, s6, 31
	s_lshl_b64 s[8:9], s[6:7], 2
	s_waitcnt lgkmcnt(0)
	s_add_u32 s0, s0, s8
	s_addc_u32 s1, s1, s9
	s_load_dwordx2 s[0:1], s[0:1], 0x0
	v_or_b32_e32 v1, s6, v0
	v_cmp_eq_u32_e32 vcc, 0, v1
	s_and_saveexec_b64 s[8:9], vcc
	s_cbranch_execz .LBB53_2
; %bb.1:
	v_mov_b32_e32 v1, 0
	v_mov_b32_e32 v2, s12
	global_store_dword v1, v2, s[2:3]
.LBB53_2:
	s_or_b64 exec, exec, s[8:9]
	s_load_dword s13, s[4:5], 0xc
	v_and_b32_e32 v3, 1, v0
	v_lshrrev_b32_e32 v4, 1, v0
	v_lshl_or_b32 v0, s6, 1, v3
	v_add_u32_e32 v0, 1, v0
	s_waitcnt lgkmcnt(0)
	s_sub_i32 s7, s0, s13
	s_sub_i32 s14, s1, s13
	;; [unrolled: 1-line block ×3, first 2 shown]
	s_lshl_b32 s8, s8, 1
	v_mov_b32_e32 v1, 0
	s_lshl_b32 s1, s7, 2
	v_mul_lo_u32 v5, s8, v3
	s_add_i32 s8, s8, s12
	v_lshlrev_b64 v[6:7], 2, v[0:1]
	s_add_i32 s8, s8, s1
	v_mov_b32_e32 v0, s3
	v_add_co_u32_e32 v6, vcc, s2, v6
	v_add_u32_e32 v2, s8, v5
	v_addc_co_u32_e32 v7, vcc, v0, v7, vcc
	global_store_dword v[6:7], v2, off
	v_add_u32_e32 v2, s7, v4
	v_cmp_gt_i32_e32 vcc, s14, v2
	s_and_saveexec_b64 s[2:3], vcc
	s_cbranch_execz .LBB53_5
; %bb.3:
	s_load_dwordx2 s[2:3], s[4:5], 0x20
	s_load_dwordx2 s[6:7], s[4:5], 0x30
	s_load_dword s1, s[4:5], 0x0
	s_load_dwordx2 s[8:9], s[4:5], 0x10
	s_load_dwordx2 s[10:11], s[4:5], 0x40
	v_lshlrev_b32_e32 v0, 1, v4
	s_mov_b64 s[4:5], 0
	s_waitcnt lgkmcnt(0)
	s_cmp_eq_u32 s1, 0
	s_cselect_b64 vcc, -1, 0
	s_lshl_b32 s0, s0, 2
	v_add3_u32 v0, v5, s0, v0
	s_lshl_b32 s0, s13, 2
	v_subrev_u32_e32 v4, s0, v0
	v_lshlrev_b32_e32 v0, 2, v2
	v_lshl_or_b32 v6, v3, 1, v0
	v_or_b32_e32 v7, v0, v3
	v_mov_b32_e32 v8, s3
	v_mov_b32_e32 v9, s11
	;; [unrolled: 1-line block ×4, first 2 shown]
.LBB53_4:                               ; =>This Inner Loop Header: Depth=1
	v_ashrrev_i32_e32 v3, 31, v2
	v_lshlrev_b64 v[12:13], 2, v[2:3]
	v_cndmask_b32_e32 v0, v7, v6, vcc
	v_add_co_u32_e64 v12, s[0:1], s2, v12
	v_add_u32_e32 v5, 1, v6
	v_add_u32_e32 v16, 2, v7
	v_lshlrev_b64 v[14:15], 3, v[0:1]
	v_addc_co_u32_e64 v13, s[0:1], v8, v13, s[0:1]
	v_cndmask_b32_e32 v0, v16, v5, vcc
	v_add_co_u32_e64 v16, s[0:1], s8, v14
	v_addc_co_u32_e64 v17, s[0:1], v10, v15, s[0:1]
	v_lshlrev_b64 v[14:15], 3, v[0:1]
	global_load_dword v0, v[12:13], off
	v_add_co_u32_e64 v18, s[0:1], s8, v14
	v_addc_co_u32_e64 v19, s[0:1], v10, v15, s[0:1]
	global_load_dwordx2 v[12:13], v[16:17], off
	global_load_dwordx2 v[14:15], v[18:19], off
	v_ashrrev_i32_e32 v5, 31, v4
	v_lshlrev_b64 v[16:17], 2, v[4:5]
	v_add_co_u32_e64 v16, s[0:1], s10, v16
	v_lshlrev_b64 v[18:19], 3, v[4:5]
	v_addc_co_u32_e64 v17, s[0:1], v9, v17, s[0:1]
	v_add_co_u32_e64 v18, s[0:1], s6, v18
	v_add_u32_e32 v2, 0x80, v2
	v_addc_co_u32_e64 v19, s[0:1], v11, v19, s[0:1]
	v_cmp_le_i32_e64 s[0:1], s14, v2
	v_add_u32_e32 v6, 0x200, v6
	v_add_u32_e32 v7, 0x200, v7
	;; [unrolled: 1-line block ×3, first 2 shown]
	s_or_b64 s[4:5], s[0:1], s[4:5]
	s_waitcnt vmcnt(2)
	v_subrev_u32_e32 v0, s13, v0
	v_lshl_add_u32 v20, v0, 1, s12
	v_add_u32_e32 v21, 1, v20
	global_store_dwordx2 v[16:17], v[20:21], off
	s_waitcnt vmcnt(1)
	global_store_dwordx4 v[18:19], v[12:15], off
	s_andn2_b64 exec, exec, s[4:5]
	s_cbranch_execnz .LBB53_4
.LBB53_5:
	s_endpgm
	.section	.rodata,"a",@progbits
	.p2align	6, 0x0
	.amdhsa_kernel _ZN9rocsparseL32bsr2csr_block_per_row_2_7_kernelILj256ELj2EliiEEv20rocsparse_direction_T3_S2_21rocsparse_index_base_PKT1_PKT2_PKS2_S2_S3_PS4_PS7_PS2_
		.amdhsa_group_segment_fixed_size 0
		.amdhsa_private_segment_fixed_size 0
		.amdhsa_kernarg_size 72
		.amdhsa_user_sgpr_count 6
		.amdhsa_user_sgpr_private_segment_buffer 1
		.amdhsa_user_sgpr_dispatch_ptr 0
		.amdhsa_user_sgpr_queue_ptr 0
		.amdhsa_user_sgpr_kernarg_segment_ptr 1
		.amdhsa_user_sgpr_dispatch_id 0
		.amdhsa_user_sgpr_flat_scratch_init 0
		.amdhsa_user_sgpr_kernarg_preload_length 0
		.amdhsa_user_sgpr_kernarg_preload_offset 0
		.amdhsa_user_sgpr_private_segment_size 0
		.amdhsa_uses_dynamic_stack 0
		.amdhsa_system_sgpr_private_segment_wavefront_offset 0
		.amdhsa_system_sgpr_workgroup_id_x 1
		.amdhsa_system_sgpr_workgroup_id_y 0
		.amdhsa_system_sgpr_workgroup_id_z 0
		.amdhsa_system_sgpr_workgroup_info 0
		.amdhsa_system_vgpr_workitem_id 0
		.amdhsa_next_free_vgpr 22
		.amdhsa_next_free_sgpr 15
		.amdhsa_accum_offset 24
		.amdhsa_reserve_vcc 1
		.amdhsa_reserve_flat_scratch 0
		.amdhsa_float_round_mode_32 0
		.amdhsa_float_round_mode_16_64 0
		.amdhsa_float_denorm_mode_32 3
		.amdhsa_float_denorm_mode_16_64 3
		.amdhsa_dx10_clamp 1
		.amdhsa_ieee_mode 1
		.amdhsa_fp16_overflow 0
		.amdhsa_tg_split 0
		.amdhsa_exception_fp_ieee_invalid_op 0
		.amdhsa_exception_fp_denorm_src 0
		.amdhsa_exception_fp_ieee_div_zero 0
		.amdhsa_exception_fp_ieee_overflow 0
		.amdhsa_exception_fp_ieee_underflow 0
		.amdhsa_exception_fp_ieee_inexact 0
		.amdhsa_exception_int_div_zero 0
	.end_amdhsa_kernel
	.section	.text._ZN9rocsparseL32bsr2csr_block_per_row_2_7_kernelILj256ELj2EliiEEv20rocsparse_direction_T3_S2_21rocsparse_index_base_PKT1_PKT2_PKS2_S2_S3_PS4_PS7_PS2_,"axG",@progbits,_ZN9rocsparseL32bsr2csr_block_per_row_2_7_kernelILj256ELj2EliiEEv20rocsparse_direction_T3_S2_21rocsparse_index_base_PKT1_PKT2_PKS2_S2_S3_PS4_PS7_PS2_,comdat
.Lfunc_end53:
	.size	_ZN9rocsparseL32bsr2csr_block_per_row_2_7_kernelILj256ELj2EliiEEv20rocsparse_direction_T3_S2_21rocsparse_index_base_PKT1_PKT2_PKS2_S2_S3_PS4_PS7_PS2_, .Lfunc_end53-_ZN9rocsparseL32bsr2csr_block_per_row_2_7_kernelILj256ELj2EliiEEv20rocsparse_direction_T3_S2_21rocsparse_index_base_PKT1_PKT2_PKS2_S2_S3_PS4_PS7_PS2_
                                        ; -- End function
	.section	.AMDGPU.csdata,"",@progbits
; Kernel info:
; codeLenInByte = 584
; NumSgprs: 19
; NumVgprs: 22
; NumAgprs: 0
; TotalNumVgprs: 22
; ScratchSize: 0
; MemoryBound: 0
; FloatMode: 240
; IeeeMode: 1
; LDSByteSize: 0 bytes/workgroup (compile time only)
; SGPRBlocks: 2
; VGPRBlocks: 2
; NumSGPRsForWavesPerEU: 19
; NumVGPRsForWavesPerEU: 22
; AccumOffset: 24
; Occupancy: 8
; WaveLimiterHint : 0
; COMPUTE_PGM_RSRC2:SCRATCH_EN: 0
; COMPUTE_PGM_RSRC2:USER_SGPR: 6
; COMPUTE_PGM_RSRC2:TRAP_HANDLER: 0
; COMPUTE_PGM_RSRC2:TGID_X_EN: 1
; COMPUTE_PGM_RSRC2:TGID_Y_EN: 0
; COMPUTE_PGM_RSRC2:TGID_Z_EN: 0
; COMPUTE_PGM_RSRC2:TIDIG_COMP_CNT: 0
; COMPUTE_PGM_RSRC3_GFX90A:ACCUM_OFFSET: 5
; COMPUTE_PGM_RSRC3_GFX90A:TG_SPLIT: 0
	.section	.text._ZN9rocsparseL32bsr2csr_block_per_row_2_7_kernelILj256ELj3EliiEEv20rocsparse_direction_T3_S2_21rocsparse_index_base_PKT1_PKT2_PKS2_S2_S3_PS4_PS7_PS2_,"axG",@progbits,_ZN9rocsparseL32bsr2csr_block_per_row_2_7_kernelILj256ELj3EliiEEv20rocsparse_direction_T3_S2_21rocsparse_index_base_PKT1_PKT2_PKS2_S2_S3_PS4_PS7_PS2_,comdat
	.globl	_ZN9rocsparseL32bsr2csr_block_per_row_2_7_kernelILj256ELj3EliiEEv20rocsparse_direction_T3_S2_21rocsparse_index_base_PKT1_PKT2_PKS2_S2_S3_PS4_PS7_PS2_ ; -- Begin function _ZN9rocsparseL32bsr2csr_block_per_row_2_7_kernelILj256ELj3EliiEEv20rocsparse_direction_T3_S2_21rocsparse_index_base_PKT1_PKT2_PKS2_S2_S3_PS4_PS7_PS2_
	.p2align	8
	.type	_ZN9rocsparseL32bsr2csr_block_per_row_2_7_kernelILj256ELj3EliiEEv20rocsparse_direction_T3_S2_21rocsparse_index_base_PKT1_PKT2_PKS2_S2_S3_PS4_PS7_PS2_,@function
_ZN9rocsparseL32bsr2csr_block_per_row_2_7_kernelILj256ELj3EliiEEv20rocsparse_direction_T3_S2_21rocsparse_index_base_PKT1_PKT2_PKS2_S2_S3_PS4_PS7_PS2_: ; @_ZN9rocsparseL32bsr2csr_block_per_row_2_7_kernelILj256ELj3EliiEEv20rocsparse_direction_T3_S2_21rocsparse_index_base_PKT1_PKT2_PKS2_S2_S3_PS4_PS7_PS2_
; %bb.0:
	s_load_dwordx2 s[0:1], s[4:5], 0x18
	s_load_dword s15, s[4:5], 0x2c
	s_load_dwordx2 s[2:3], s[4:5], 0x38
	s_ashr_i32 s7, s6, 31
	s_lshl_b64 s[8:9], s[6:7], 2
	s_waitcnt lgkmcnt(0)
	s_add_u32 s8, s0, s8
	v_or_b32_e32 v1, s6, v0
	s_addc_u32 s9, s1, s9
	v_cmp_eq_u32_e32 vcc, 0, v1
	s_and_saveexec_b64 s[0:1], vcc
	s_cbranch_execz .LBB54_2
; %bb.1:
	v_mov_b32_e32 v1, 0
	v_mov_b32_e32 v2, s15
	global_store_dword v1, v2, s[2:3]
.LBB54_2:
	s_or_b64 exec, exec, s[0:1]
	v_and_b32_e32 v4, 3, v0
	v_cmp_ne_u32_e32 vcc, 3, v4
	s_and_saveexec_b64 s[0:1], vcc
	s_cbranch_execz .LBB54_6
; %bb.3:
	s_load_dwordx2 s[0:1], s[8:9], 0x0
	s_load_dword s12, s[4:5], 0xc
	v_lshrrev_b32_e32 v3, 2, v0
	v_mov_b32_e32 v1, 0
	s_waitcnt lgkmcnt(0)
	s_sub_i32 s7, s0, s12
	s_sub_i32 s13, s1, s12
	s_sub_i32 s8, s13, s7
	s_mul_i32 s8, s8, 3
	s_mul_i32 s1, s7, 9
	v_mul_lo_u32 v6, s8, v4
	s_add_i32 s8, s8, s15
	s_add_i32 s8, s8, s1
	s_mul_i32 s1, s6, 3
	v_add3_u32 v0, v4, s1, 1
	v_lshlrev_b64 v[8:9], 2, v[0:1]
	v_mov_b32_e32 v0, s3
	v_add_co_u32_e32 v8, vcc, s2, v8
	v_add_u32_e32 v2, s8, v6
	v_addc_co_u32_e32 v9, vcc, v0, v9, vcc
	global_store_dword v[8:9], v2, off
	v_add_u32_e32 v2, s7, v3
	v_cmp_gt_i32_e32 vcc, s13, v2
	s_and_b64 exec, exec, vcc
	s_cbranch_execz .LBB54_6
; %bb.4:
	s_load_dwordx2 s[2:3], s[4:5], 0x20
	s_load_dwordx2 s[6:7], s[4:5], 0x30
	s_load_dword s1, s[4:5], 0x0
	s_load_dwordx2 s[8:9], s[4:5], 0x10
	s_load_dwordx2 s[10:11], s[4:5], 0x40
	v_add_u32_e32 v0, s0, v3
	v_lshl_add_u32 v0, v0, 3, v0
	s_waitcnt lgkmcnt(0)
	s_cmp_eq_u32 s1, 0
	v_mad_u32_u24 v0, v4, 3, v0
	s_mul_i32 s1, s12, 9
	v_subrev_u32_e32 v9, s1, v0
	s_mul_i32 s0, s0, 9
	v_mul_u32_u24_e32 v0, 3, v3
	v_mad_u64_u32 v[4:5], s[4:5], v2, 9, v[4:5]
	v_add3_u32 v0, v6, s0, v0
	s_mov_b32 s14, 0
	s_cselect_b64 vcc, -1, 0
	v_subrev_u32_e32 v6, s1, v0
	s_mov_b64 s[4:5], 0
	v_mov_b32_e32 v5, s3
	v_mov_b32_e32 v8, s15
	;; [unrolled: 1-line block ×5, first 2 shown]
.LBB54_5:                               ; =>This Inner Loop Header: Depth=1
	v_ashrrev_i32_e32 v3, 31, v2
	v_add_u32_e32 v7, s14, v4
	v_add_u32_e32 v13, s14, v9
	v_lshlrev_b64 v[14:15], 2, v[2:3]
	v_cndmask_b32_e32 v0, v7, v13, vcc
	v_add_co_u32_e64 v14, s[0:1], s2, v14
	v_add_u32_e32 v3, 1, v13
	v_add_u32_e32 v18, 3, v7
	v_addc_co_u32_e64 v15, s[0:1], v5, v15, s[0:1]
	v_lshlrev_b64 v[16:17], 3, v[0:1]
	v_cndmask_b32_e32 v0, v18, v3, vcc
	v_add_co_u32_e64 v18, s[0:1], s8, v16
	v_add_u32_e32 v13, 2, v13
	v_add_u32_e32 v7, 6, v7
	global_load_dword v3, v[14:15], off
	v_addc_co_u32_e64 v19, s[0:1], v11, v17, s[0:1]
	v_lshlrev_b64 v[14:15], 3, v[0:1]
	v_cndmask_b32_e32 v0, v7, v13, vcc
	v_add_co_u32_e64 v20, s[0:1], s8, v14
	v_addc_co_u32_e64 v21, s[0:1], v11, v15, s[0:1]
	v_lshlrev_b64 v[22:23], 3, v[0:1]
	global_load_dwordx2 v[14:15], v[18:19], off
	global_load_dwordx2 v[16:17], v[20:21], off
	v_add_co_u32_e64 v18, s[0:1], s8, v22
	v_addc_co_u32_e64 v19, s[0:1], v11, v23, s[0:1]
	global_load_dwordx2 v[22:23], v[18:19], off
	v_ashrrev_i32_e32 v7, 31, v6
	v_lshlrev_b64 v[18:19], 2, v[6:7]
	v_add_co_u32_e64 v24, s[0:1], s10, v18
	v_lshlrev_b64 v[20:21], 3, v[6:7]
	v_addc_co_u32_e64 v25, s[0:1], v10, v19, s[0:1]
	v_add_co_u32_e64 v26, s[0:1], s6, v20
	v_add_u32_e32 v2, 64, v2
	v_addc_co_u32_e64 v27, s[0:1], v12, v21, s[0:1]
	s_addk_i32 s14, 0x240
	v_cmp_le_i32_e64 s[0:1], s13, v2
	s_or_b64 s[4:5], s[0:1], s[4:5]
	v_add_u32_e32 v6, 0xc0, v6
	s_waitcnt vmcnt(3)
	v_subrev_u32_e32 v0, s12, v3
	v_mad_u64_u32 v[18:19], s[0:1], v0, 3, v[8:9]
	v_add_u32_e32 v19, 1, v18
	v_add_u32_e32 v20, 2, v18
	s_waitcnt vmcnt(1)
	global_store_dwordx4 v[26:27], v[14:17], off
	global_store_dwordx3 v[24:25], v[18:20], off
	s_waitcnt vmcnt(2)
	global_store_dwordx2 v[26:27], v[22:23], off offset:16
	s_andn2_b64 exec, exec, s[4:5]
	s_cbranch_execnz .LBB54_5
.LBB54_6:
	s_endpgm
	.section	.rodata,"a",@progbits
	.p2align	6, 0x0
	.amdhsa_kernel _ZN9rocsparseL32bsr2csr_block_per_row_2_7_kernelILj256ELj3EliiEEv20rocsparse_direction_T3_S2_21rocsparse_index_base_PKT1_PKT2_PKS2_S2_S3_PS4_PS7_PS2_
		.amdhsa_group_segment_fixed_size 0
		.amdhsa_private_segment_fixed_size 0
		.amdhsa_kernarg_size 72
		.amdhsa_user_sgpr_count 6
		.amdhsa_user_sgpr_private_segment_buffer 1
		.amdhsa_user_sgpr_dispatch_ptr 0
		.amdhsa_user_sgpr_queue_ptr 0
		.amdhsa_user_sgpr_kernarg_segment_ptr 1
		.amdhsa_user_sgpr_dispatch_id 0
		.amdhsa_user_sgpr_flat_scratch_init 0
		.amdhsa_user_sgpr_kernarg_preload_length 0
		.amdhsa_user_sgpr_kernarg_preload_offset 0
		.amdhsa_user_sgpr_private_segment_size 0
		.amdhsa_uses_dynamic_stack 0
		.amdhsa_system_sgpr_private_segment_wavefront_offset 0
		.amdhsa_system_sgpr_workgroup_id_x 1
		.amdhsa_system_sgpr_workgroup_id_y 0
		.amdhsa_system_sgpr_workgroup_id_z 0
		.amdhsa_system_sgpr_workgroup_info 0
		.amdhsa_system_vgpr_workitem_id 0
		.amdhsa_next_free_vgpr 28
		.amdhsa_next_free_sgpr 16
		.amdhsa_accum_offset 28
		.amdhsa_reserve_vcc 1
		.amdhsa_reserve_flat_scratch 0
		.amdhsa_float_round_mode_32 0
		.amdhsa_float_round_mode_16_64 0
		.amdhsa_float_denorm_mode_32 3
		.amdhsa_float_denorm_mode_16_64 3
		.amdhsa_dx10_clamp 1
		.amdhsa_ieee_mode 1
		.amdhsa_fp16_overflow 0
		.amdhsa_tg_split 0
		.amdhsa_exception_fp_ieee_invalid_op 0
		.amdhsa_exception_fp_denorm_src 0
		.amdhsa_exception_fp_ieee_div_zero 0
		.amdhsa_exception_fp_ieee_overflow 0
		.amdhsa_exception_fp_ieee_underflow 0
		.amdhsa_exception_fp_ieee_inexact 0
		.amdhsa_exception_int_div_zero 0
	.end_amdhsa_kernel
	.section	.text._ZN9rocsparseL32bsr2csr_block_per_row_2_7_kernelILj256ELj3EliiEEv20rocsparse_direction_T3_S2_21rocsparse_index_base_PKT1_PKT2_PKS2_S2_S3_PS4_PS7_PS2_,"axG",@progbits,_ZN9rocsparseL32bsr2csr_block_per_row_2_7_kernelILj256ELj3EliiEEv20rocsparse_direction_T3_S2_21rocsparse_index_base_PKT1_PKT2_PKS2_S2_S3_PS4_PS7_PS2_,comdat
.Lfunc_end54:
	.size	_ZN9rocsparseL32bsr2csr_block_per_row_2_7_kernelILj256ELj3EliiEEv20rocsparse_direction_T3_S2_21rocsparse_index_base_PKT1_PKT2_PKS2_S2_S3_PS4_PS7_PS2_, .Lfunc_end54-_ZN9rocsparseL32bsr2csr_block_per_row_2_7_kernelILj256ELj3EliiEEv20rocsparse_direction_T3_S2_21rocsparse_index_base_PKT1_PKT2_PKS2_S2_S3_PS4_PS7_PS2_
                                        ; -- End function
	.section	.AMDGPU.csdata,"",@progbits
; Kernel info:
; codeLenInByte = 672
; NumSgprs: 20
; NumVgprs: 28
; NumAgprs: 0
; TotalNumVgprs: 28
; ScratchSize: 0
; MemoryBound: 0
; FloatMode: 240
; IeeeMode: 1
; LDSByteSize: 0 bytes/workgroup (compile time only)
; SGPRBlocks: 2
; VGPRBlocks: 3
; NumSGPRsForWavesPerEU: 20
; NumVGPRsForWavesPerEU: 28
; AccumOffset: 28
; Occupancy: 8
; WaveLimiterHint : 1
; COMPUTE_PGM_RSRC2:SCRATCH_EN: 0
; COMPUTE_PGM_RSRC2:USER_SGPR: 6
; COMPUTE_PGM_RSRC2:TRAP_HANDLER: 0
; COMPUTE_PGM_RSRC2:TGID_X_EN: 1
; COMPUTE_PGM_RSRC2:TGID_Y_EN: 0
; COMPUTE_PGM_RSRC2:TGID_Z_EN: 0
; COMPUTE_PGM_RSRC2:TIDIG_COMP_CNT: 0
; COMPUTE_PGM_RSRC3_GFX90A:ACCUM_OFFSET: 6
; COMPUTE_PGM_RSRC3_GFX90A:TG_SPLIT: 0
	.section	.text._ZN9rocsparseL32bsr2csr_block_per_row_2_7_kernelILj256ELj4EliiEEv20rocsparse_direction_T3_S2_21rocsparse_index_base_PKT1_PKT2_PKS2_S2_S3_PS4_PS7_PS2_,"axG",@progbits,_ZN9rocsparseL32bsr2csr_block_per_row_2_7_kernelILj256ELj4EliiEEv20rocsparse_direction_T3_S2_21rocsparse_index_base_PKT1_PKT2_PKS2_S2_S3_PS4_PS7_PS2_,comdat
	.globl	_ZN9rocsparseL32bsr2csr_block_per_row_2_7_kernelILj256ELj4EliiEEv20rocsparse_direction_T3_S2_21rocsparse_index_base_PKT1_PKT2_PKS2_S2_S3_PS4_PS7_PS2_ ; -- Begin function _ZN9rocsparseL32bsr2csr_block_per_row_2_7_kernelILj256ELj4EliiEEv20rocsparse_direction_T3_S2_21rocsparse_index_base_PKT1_PKT2_PKS2_S2_S3_PS4_PS7_PS2_
	.p2align	8
	.type	_ZN9rocsparseL32bsr2csr_block_per_row_2_7_kernelILj256ELj4EliiEEv20rocsparse_direction_T3_S2_21rocsparse_index_base_PKT1_PKT2_PKS2_S2_S3_PS4_PS7_PS2_,@function
_ZN9rocsparseL32bsr2csr_block_per_row_2_7_kernelILj256ELj4EliiEEv20rocsparse_direction_T3_S2_21rocsparse_index_base_PKT1_PKT2_PKS2_S2_S3_PS4_PS7_PS2_: ; @_ZN9rocsparseL32bsr2csr_block_per_row_2_7_kernelILj256ELj4EliiEEv20rocsparse_direction_T3_S2_21rocsparse_index_base_PKT1_PKT2_PKS2_S2_S3_PS4_PS7_PS2_
; %bb.0:
	s_load_dwordx2 s[0:1], s[4:5], 0x18
	s_load_dword s12, s[4:5], 0x2c
	s_load_dwordx2 s[2:3], s[4:5], 0x38
	s_ashr_i32 s7, s6, 31
	s_lshl_b64 s[8:9], s[6:7], 2
	s_waitcnt lgkmcnt(0)
	s_add_u32 s0, s0, s8
	s_addc_u32 s1, s1, s9
	s_load_dwordx2 s[0:1], s[0:1], 0x0
	v_or_b32_e32 v1, s6, v0
	v_cmp_eq_u32_e32 vcc, 0, v1
	s_and_saveexec_b64 s[8:9], vcc
	s_cbranch_execz .LBB55_2
; %bb.1:
	v_mov_b32_e32 v1, 0
	v_mov_b32_e32 v2, s12
	global_store_dword v1, v2, s[2:3]
.LBB55_2:
	s_or_b64 exec, exec, s[8:9]
	s_load_dword s13, s[4:5], 0xc
	v_and_b32_e32 v6, 3, v0
	v_lshrrev_b32_e32 v3, 2, v0
	v_lshl_or_b32 v0, s6, 2, v6
	v_add_u32_e32 v0, 1, v0
	s_waitcnt lgkmcnt(0)
	s_sub_i32 s7, s0, s13
	s_sub_i32 s14, s1, s13
	;; [unrolled: 1-line block ×3, first 2 shown]
	s_lshl_b32 s8, s8, 2
	v_mov_b32_e32 v1, 0
	s_lshl_b32 s1, s7, 4
	v_mul_lo_u32 v4, s8, v6
	s_add_i32 s8, s8, s12
	v_lshlrev_b64 v[8:9], 2, v[0:1]
	s_add_i32 s8, s8, s1
	v_mov_b32_e32 v0, s3
	v_add_co_u32_e32 v8, vcc, s2, v8
	v_add_u32_e32 v2, s8, v4
	v_addc_co_u32_e32 v9, vcc, v0, v9, vcc
	global_store_dword v[8:9], v2, off
	v_add_u32_e32 v2, s7, v3
	v_cmp_gt_i32_e32 vcc, s14, v2
	s_and_saveexec_b64 s[2:3], vcc
	s_cbranch_execz .LBB55_5
; %bb.3:
	s_load_dwordx2 s[2:3], s[4:5], 0x20
	s_load_dwordx2 s[6:7], s[4:5], 0x30
	s_load_dword s1, s[4:5], 0x0
	s_load_dwordx2 s[8:9], s[4:5], 0x10
	s_load_dwordx2 s[10:11], s[4:5], 0x40
	v_lshlrev_b32_e32 v0, 2, v3
	v_lshlrev_b32_e32 v7, 2, v6
	s_waitcnt lgkmcnt(0)
	s_cmp_eq_u32 s1, 0
	s_cselect_b64 vcc, -1, 0
	s_lshl_b32 s0, s0, 4
	v_add3_u32 v0, v4, s0, v0
	s_lshl_b32 s0, s13, 4
	v_subrev_u32_e32 v4, s0, v0
	v_lshlrev_b32_e32 v8, 4, v2
	s_mov_b64 s[4:5], 0
	v_mov_b32_e32 v9, s3
	v_mov_b32_e32 v10, s11
	;; [unrolled: 1-line block ×4, first 2 shown]
.LBB55_4:                               ; =>This Inner Loop Header: Depth=1
	v_ashrrev_i32_e32 v3, 31, v2
	v_add_u32_e32 v5, v7, v8
	v_add_u32_e32 v13, v6, v8
	v_lshlrev_b64 v[14:15], 2, v[2:3]
	v_cndmask_b32_e32 v0, v13, v5, vcc
	v_add_co_u32_e64 v14, s[0:1], s2, v14
	v_add_u32_e32 v3, 1, v5
	v_add_u32_e32 v18, 4, v13
	v_addc_co_u32_e64 v15, s[0:1], v9, v15, s[0:1]
	v_lshlrev_b64 v[16:17], 3, v[0:1]
	v_cndmask_b32_e32 v0, v18, v3, vcc
	v_add_co_u32_e64 v18, s[0:1], s8, v16
	v_add_u32_e32 v20, 2, v5
	v_add_u32_e32 v21, 8, v13
	global_load_dword v3, v[14:15], off
	v_addc_co_u32_e64 v19, s[0:1], v11, v17, s[0:1]
	v_lshlrev_b64 v[14:15], 3, v[0:1]
	v_cndmask_b32_e32 v0, v21, v20, vcc
	v_add_co_u32_e64 v20, s[0:1], s8, v14
	v_add_u32_e32 v5, 3, v5
	v_add_u32_e32 v13, 12, v13
	v_addc_co_u32_e64 v21, s[0:1], v11, v15, s[0:1]
	v_lshlrev_b64 v[22:23], 3, v[0:1]
	v_cndmask_b32_e32 v0, v13, v5, vcc
	v_add_co_u32_e64 v22, s[0:1], s8, v22
	global_load_dwordx2 v[14:15], v[18:19], off
	global_load_dwordx2 v[16:17], v[20:21], off
	v_addc_co_u32_e64 v23, s[0:1], v11, v23, s[0:1]
	v_lshlrev_b64 v[18:19], 3, v[0:1]
	v_add_co_u32_e64 v24, s[0:1], s8, v18
	v_addc_co_u32_e64 v25, s[0:1], v11, v19, s[0:1]
	global_load_dwordx2 v[18:19], v[22:23], off
	global_load_dwordx2 v[20:21], v[24:25], off
	v_ashrrev_i32_e32 v5, 31, v4
	v_lshlrev_b64 v[22:23], 2, v[4:5]
	v_add_co_u32_e64 v26, s[0:1], s10, v22
	v_lshlrev_b64 v[24:25], 3, v[4:5]
	v_addc_co_u32_e64 v27, s[0:1], v10, v23, s[0:1]
	v_add_co_u32_e64 v28, s[0:1], s6, v24
	v_add_u32_e32 v2, 64, v2
	v_addc_co_u32_e64 v29, s[0:1], v12, v25, s[0:1]
	v_cmp_le_i32_e64 s[0:1], s14, v2
	v_add_u32_e32 v8, 0x400, v8
	v_add_u32_e32 v4, 0x100, v4
	s_or_b64 s[4:5], s[0:1], s[4:5]
	s_waitcnt vmcnt(4)
	v_subrev_u32_e32 v0, s13, v3
	v_lshl_add_u32 v22, v0, 2, s12
	v_add_u32_e32 v23, 1, v22
	v_add_u32_e32 v24, 2, v22
	;; [unrolled: 1-line block ×3, first 2 shown]
	s_waitcnt vmcnt(2)
	global_store_dwordx4 v[28:29], v[14:17], off
	global_store_dwordx4 v[26:27], v[22:25], off
	s_waitcnt vmcnt(2)
	global_store_dwordx4 v[28:29], v[18:21], off offset:16
	s_andn2_b64 exec, exec, s[4:5]
	s_cbranch_execnz .LBB55_4
.LBB55_5:
	s_endpgm
	.section	.rodata,"a",@progbits
	.p2align	6, 0x0
	.amdhsa_kernel _ZN9rocsparseL32bsr2csr_block_per_row_2_7_kernelILj256ELj4EliiEEv20rocsparse_direction_T3_S2_21rocsparse_index_base_PKT1_PKT2_PKS2_S2_S3_PS4_PS7_PS2_
		.amdhsa_group_segment_fixed_size 0
		.amdhsa_private_segment_fixed_size 0
		.amdhsa_kernarg_size 72
		.amdhsa_user_sgpr_count 6
		.amdhsa_user_sgpr_private_segment_buffer 1
		.amdhsa_user_sgpr_dispatch_ptr 0
		.amdhsa_user_sgpr_queue_ptr 0
		.amdhsa_user_sgpr_kernarg_segment_ptr 1
		.amdhsa_user_sgpr_dispatch_id 0
		.amdhsa_user_sgpr_flat_scratch_init 0
		.amdhsa_user_sgpr_kernarg_preload_length 0
		.amdhsa_user_sgpr_kernarg_preload_offset 0
		.amdhsa_user_sgpr_private_segment_size 0
		.amdhsa_uses_dynamic_stack 0
		.amdhsa_system_sgpr_private_segment_wavefront_offset 0
		.amdhsa_system_sgpr_workgroup_id_x 1
		.amdhsa_system_sgpr_workgroup_id_y 0
		.amdhsa_system_sgpr_workgroup_id_z 0
		.amdhsa_system_sgpr_workgroup_info 0
		.amdhsa_system_vgpr_workitem_id 0
		.amdhsa_next_free_vgpr 30
		.amdhsa_next_free_sgpr 15
		.amdhsa_accum_offset 32
		.amdhsa_reserve_vcc 1
		.amdhsa_reserve_flat_scratch 0
		.amdhsa_float_round_mode_32 0
		.amdhsa_float_round_mode_16_64 0
		.amdhsa_float_denorm_mode_32 3
		.amdhsa_float_denorm_mode_16_64 3
		.amdhsa_dx10_clamp 1
		.amdhsa_ieee_mode 1
		.amdhsa_fp16_overflow 0
		.amdhsa_tg_split 0
		.amdhsa_exception_fp_ieee_invalid_op 0
		.amdhsa_exception_fp_denorm_src 0
		.amdhsa_exception_fp_ieee_div_zero 0
		.amdhsa_exception_fp_ieee_overflow 0
		.amdhsa_exception_fp_ieee_underflow 0
		.amdhsa_exception_fp_ieee_inexact 0
		.amdhsa_exception_int_div_zero 0
	.end_amdhsa_kernel
	.section	.text._ZN9rocsparseL32bsr2csr_block_per_row_2_7_kernelILj256ELj4EliiEEv20rocsparse_direction_T3_S2_21rocsparse_index_base_PKT1_PKT2_PKS2_S2_S3_PS4_PS7_PS2_,"axG",@progbits,_ZN9rocsparseL32bsr2csr_block_per_row_2_7_kernelILj256ELj4EliiEEv20rocsparse_direction_T3_S2_21rocsparse_index_base_PKT1_PKT2_PKS2_S2_S3_PS4_PS7_PS2_,comdat
.Lfunc_end55:
	.size	_ZN9rocsparseL32bsr2csr_block_per_row_2_7_kernelILj256ELj4EliiEEv20rocsparse_direction_T3_S2_21rocsparse_index_base_PKT1_PKT2_PKS2_S2_S3_PS4_PS7_PS2_, .Lfunc_end55-_ZN9rocsparseL32bsr2csr_block_per_row_2_7_kernelILj256ELj4EliiEEv20rocsparse_direction_T3_S2_21rocsparse_index_base_PKT1_PKT2_PKS2_S2_S3_PS4_PS7_PS2_
                                        ; -- End function
	.section	.AMDGPU.csdata,"",@progbits
; Kernel info:
; codeLenInByte = 680
; NumSgprs: 19
; NumVgprs: 30
; NumAgprs: 0
; TotalNumVgprs: 30
; ScratchSize: 0
; MemoryBound: 0
; FloatMode: 240
; IeeeMode: 1
; LDSByteSize: 0 bytes/workgroup (compile time only)
; SGPRBlocks: 2
; VGPRBlocks: 3
; NumSGPRsForWavesPerEU: 19
; NumVGPRsForWavesPerEU: 30
; AccumOffset: 32
; Occupancy: 8
; WaveLimiterHint : 0
; COMPUTE_PGM_RSRC2:SCRATCH_EN: 0
; COMPUTE_PGM_RSRC2:USER_SGPR: 6
; COMPUTE_PGM_RSRC2:TRAP_HANDLER: 0
; COMPUTE_PGM_RSRC2:TGID_X_EN: 1
; COMPUTE_PGM_RSRC2:TGID_Y_EN: 0
; COMPUTE_PGM_RSRC2:TGID_Z_EN: 0
; COMPUTE_PGM_RSRC2:TIDIG_COMP_CNT: 0
; COMPUTE_PGM_RSRC3_GFX90A:ACCUM_OFFSET: 7
; COMPUTE_PGM_RSRC3_GFX90A:TG_SPLIT: 0
	.section	.text._ZN9rocsparseL32bsr2csr_block_per_row_2_7_kernelILj256ELj5EliiEEv20rocsparse_direction_T3_S2_21rocsparse_index_base_PKT1_PKT2_PKS2_S2_S3_PS4_PS7_PS2_,"axG",@progbits,_ZN9rocsparseL32bsr2csr_block_per_row_2_7_kernelILj256ELj5EliiEEv20rocsparse_direction_T3_S2_21rocsparse_index_base_PKT1_PKT2_PKS2_S2_S3_PS4_PS7_PS2_,comdat
	.globl	_ZN9rocsparseL32bsr2csr_block_per_row_2_7_kernelILj256ELj5EliiEEv20rocsparse_direction_T3_S2_21rocsparse_index_base_PKT1_PKT2_PKS2_S2_S3_PS4_PS7_PS2_ ; -- Begin function _ZN9rocsparseL32bsr2csr_block_per_row_2_7_kernelILj256ELj5EliiEEv20rocsparse_direction_T3_S2_21rocsparse_index_base_PKT1_PKT2_PKS2_S2_S3_PS4_PS7_PS2_
	.p2align	8
	.type	_ZN9rocsparseL32bsr2csr_block_per_row_2_7_kernelILj256ELj5EliiEEv20rocsparse_direction_T3_S2_21rocsparse_index_base_PKT1_PKT2_PKS2_S2_S3_PS4_PS7_PS2_,@function
_ZN9rocsparseL32bsr2csr_block_per_row_2_7_kernelILj256ELj5EliiEEv20rocsparse_direction_T3_S2_21rocsparse_index_base_PKT1_PKT2_PKS2_S2_S3_PS4_PS7_PS2_: ; @_ZN9rocsparseL32bsr2csr_block_per_row_2_7_kernelILj256ELj5EliiEEv20rocsparse_direction_T3_S2_21rocsparse_index_base_PKT1_PKT2_PKS2_S2_S3_PS4_PS7_PS2_
; %bb.0:
	s_load_dwordx2 s[0:1], s[4:5], 0x18
	s_load_dword s15, s[4:5], 0x2c
	s_load_dwordx2 s[2:3], s[4:5], 0x38
	s_ashr_i32 s7, s6, 31
	s_lshl_b64 s[8:9], s[6:7], 2
	s_waitcnt lgkmcnt(0)
	s_add_u32 s8, s0, s8
	v_or_b32_e32 v1, s6, v0
	s_addc_u32 s9, s1, s9
	v_cmp_eq_u32_e32 vcc, 0, v1
	s_and_saveexec_b64 s[0:1], vcc
	s_cbranch_execz .LBB56_2
; %bb.1:
	v_mov_b32_e32 v1, 0
	v_mov_b32_e32 v2, s15
	global_store_dword v1, v2, s[2:3]
.LBB56_2:
	s_or_b64 exec, exec, s[0:1]
	v_and_b32_e32 v4, 7, v0
	v_cmp_gt_u32_e32 vcc, 5, v4
	s_and_saveexec_b64 s[0:1], vcc
	s_cbranch_execz .LBB56_6
; %bb.3:
	s_load_dwordx2 s[0:1], s[8:9], 0x0
	s_load_dword s12, s[4:5], 0xc
	v_lshrrev_b32_e32 v3, 3, v0
	v_mov_b32_e32 v1, 0
	s_waitcnt lgkmcnt(0)
	s_sub_i32 s7, s0, s12
	s_sub_i32 s13, s1, s12
	;; [unrolled: 1-line block ×3, first 2 shown]
	s_mul_i32 s8, s8, 5
	s_mul_i32 s1, s7, 25
	v_mul_lo_u32 v6, s8, v4
	s_add_i32 s8, s8, s15
	s_add_i32 s8, s8, s1
	s_mul_i32 s1, s6, 5
	v_add3_u32 v0, v4, s1, 1
	v_lshlrev_b64 v[8:9], 2, v[0:1]
	v_mov_b32_e32 v0, s3
	v_add_co_u32_e32 v8, vcc, s2, v8
	v_add_u32_e32 v2, s8, v6
	v_addc_co_u32_e32 v9, vcc, v0, v9, vcc
	global_store_dword v[8:9], v2, off
	v_add_u32_e32 v2, s7, v3
	v_cmp_gt_i32_e32 vcc, s13, v2
	s_and_b64 exec, exec, vcc
	s_cbranch_execz .LBB56_6
; %bb.4:
	s_load_dwordx2 s[2:3], s[4:5], 0x20
	s_load_dwordx2 s[6:7], s[4:5], 0x30
	s_load_dword s1, s[4:5], 0x0
	s_load_dwordx2 s[8:9], s[4:5], 0x10
	s_load_dwordx2 s[10:11], s[4:5], 0x40
	v_add_u32_e32 v0, s0, v3
	v_mul_lo_u32 v0, v0, 25
	s_waitcnt lgkmcnt(0)
	s_cmp_eq_u32 s1, 0
	v_mad_u32_u24 v0, v4, 5, v0
	s_mul_i32 s1, s12, 25
	v_subrev_u32_e32 v9, s1, v0
	s_mul_i32 s0, s0, 25
	v_mul_u32_u24_e32 v0, 5, v3
	v_mad_u64_u32 v[4:5], s[4:5], v2, 25, v[4:5]
	v_add3_u32 v0, v6, s0, v0
	s_mov_b32 s14, 0
	s_cselect_b64 vcc, -1, 0
	v_subrev_u32_e32 v6, s1, v0
	s_mov_b64 s[4:5], 0
	v_mov_b32_e32 v5, s3
	v_mov_b32_e32 v8, s15
	;; [unrolled: 1-line block ×5, first 2 shown]
.LBB56_5:                               ; =>This Inner Loop Header: Depth=1
	v_ashrrev_i32_e32 v3, 31, v2
	v_add_u32_e32 v7, s14, v4
	v_add_u32_e32 v13, s14, v9
	v_lshlrev_b64 v[14:15], 2, v[2:3]
	v_cndmask_b32_e32 v0, v7, v13, vcc
	v_add_co_u32_e64 v14, s[0:1], s2, v14
	v_add_u32_e32 v3, 1, v13
	v_add_u32_e32 v18, 5, v7
	v_addc_co_u32_e64 v15, s[0:1], v5, v15, s[0:1]
	v_lshlrev_b64 v[16:17], 3, v[0:1]
	v_cndmask_b32_e32 v0, v18, v3, vcc
	v_add_co_u32_e64 v18, s[0:1], s8, v16
	v_add_u32_e32 v20, 2, v13
	v_add_u32_e32 v21, 10, v7
	global_load_dword v3, v[14:15], off
	v_addc_co_u32_e64 v19, s[0:1], v11, v17, s[0:1]
	v_lshlrev_b64 v[14:15], 3, v[0:1]
	v_cndmask_b32_e32 v0, v21, v20, vcc
	v_add_co_u32_e64 v20, s[0:1], s8, v14
	v_add_u32_e32 v24, 3, v13
	v_add_u32_e32 v25, 15, v7
	v_addc_co_u32_e64 v21, s[0:1], v11, v15, s[0:1]
	v_lshlrev_b64 v[22:23], 3, v[0:1]
	v_cndmask_b32_e32 v0, v25, v24, vcc
	v_add_co_u32_e64 v22, s[0:1], s8, v22
	v_add_u32_e32 v13, 4, v13
	v_add_u32_e32 v7, 20, v7
	global_load_dwordx2 v[14:15], v[18:19], off
	global_load_dwordx2 v[16:17], v[20:21], off
	v_addc_co_u32_e64 v23, s[0:1], v11, v23, s[0:1]
	v_lshlrev_b64 v[18:19], 3, v[0:1]
	v_cndmask_b32_e32 v0, v7, v13, vcc
	v_add_co_u32_e64 v24, s[0:1], s8, v18
	v_addc_co_u32_e64 v25, s[0:1], v11, v19, s[0:1]
	v_lshlrev_b64 v[26:27], 3, v[0:1]
	global_load_dwordx2 v[18:19], v[22:23], off
	global_load_dwordx2 v[20:21], v[24:25], off
	v_add_co_u32_e64 v22, s[0:1], s8, v26
	v_addc_co_u32_e64 v23, s[0:1], v11, v27, s[0:1]
	global_load_dwordx2 v[26:27], v[22:23], off
	v_ashrrev_i32_e32 v7, 31, v6
	v_lshlrev_b64 v[22:23], 2, v[6:7]
	v_add_co_u32_e64 v28, s[0:1], s10, v22
	v_lshlrev_b64 v[24:25], 3, v[6:7]
	v_addc_co_u32_e64 v29, s[0:1], v10, v23, s[0:1]
	v_add_co_u32_e64 v30, s[0:1], s6, v24
	v_add_u32_e32 v2, 32, v2
	v_addc_co_u32_e64 v31, s[0:1], v12, v25, s[0:1]
	s_addk_i32 s14, 0x320
	v_cmp_le_i32_e64 s[0:1], s13, v2
	s_or_b64 s[4:5], s[0:1], s[4:5]
	v_add_u32_e32 v6, 0xa0, v6
	s_waitcnt vmcnt(5)
	v_subrev_u32_e32 v0, s12, v3
	v_mad_u64_u32 v[22:23], s[0:1], v0, 5, v[8:9]
	v_add_u32_e32 v23, 1, v22
	v_add_u32_e32 v24, 2, v22
	;; [unrolled: 1-line block ×4, first 2 shown]
	s_waitcnt vmcnt(3)
	global_store_dwordx4 v[30:31], v[14:17], off
	global_store_dwordx4 v[28:29], v[22:25], off
	global_store_dword v[28:29], v0, off offset:16
	s_waitcnt vmcnt(4)
	global_store_dwordx4 v[30:31], v[18:21], off offset:16
	s_waitcnt vmcnt(4)
	global_store_dwordx2 v[30:31], v[26:27], off offset:32
	s_andn2_b64 exec, exec, s[4:5]
	s_cbranch_execnz .LBB56_5
.LBB56_6:
	s_endpgm
	.section	.rodata,"a",@progbits
	.p2align	6, 0x0
	.amdhsa_kernel _ZN9rocsparseL32bsr2csr_block_per_row_2_7_kernelILj256ELj5EliiEEv20rocsparse_direction_T3_S2_21rocsparse_index_base_PKT1_PKT2_PKS2_S2_S3_PS4_PS7_PS2_
		.amdhsa_group_segment_fixed_size 0
		.amdhsa_private_segment_fixed_size 0
		.amdhsa_kernarg_size 72
		.amdhsa_user_sgpr_count 6
		.amdhsa_user_sgpr_private_segment_buffer 1
		.amdhsa_user_sgpr_dispatch_ptr 0
		.amdhsa_user_sgpr_queue_ptr 0
		.amdhsa_user_sgpr_kernarg_segment_ptr 1
		.amdhsa_user_sgpr_dispatch_id 0
		.amdhsa_user_sgpr_flat_scratch_init 0
		.amdhsa_user_sgpr_kernarg_preload_length 0
		.amdhsa_user_sgpr_kernarg_preload_offset 0
		.amdhsa_user_sgpr_private_segment_size 0
		.amdhsa_uses_dynamic_stack 0
		.amdhsa_system_sgpr_private_segment_wavefront_offset 0
		.amdhsa_system_sgpr_workgroup_id_x 1
		.amdhsa_system_sgpr_workgroup_id_y 0
		.amdhsa_system_sgpr_workgroup_id_z 0
		.amdhsa_system_sgpr_workgroup_info 0
		.amdhsa_system_vgpr_workitem_id 0
		.amdhsa_next_free_vgpr 32
		.amdhsa_next_free_sgpr 16
		.amdhsa_accum_offset 32
		.amdhsa_reserve_vcc 1
		.amdhsa_reserve_flat_scratch 0
		.amdhsa_float_round_mode_32 0
		.amdhsa_float_round_mode_16_64 0
		.amdhsa_float_denorm_mode_32 3
		.amdhsa_float_denorm_mode_16_64 3
		.amdhsa_dx10_clamp 1
		.amdhsa_ieee_mode 1
		.amdhsa_fp16_overflow 0
		.amdhsa_tg_split 0
		.amdhsa_exception_fp_ieee_invalid_op 0
		.amdhsa_exception_fp_denorm_src 0
		.amdhsa_exception_fp_ieee_div_zero 0
		.amdhsa_exception_fp_ieee_overflow 0
		.amdhsa_exception_fp_ieee_underflow 0
		.amdhsa_exception_fp_ieee_inexact 0
		.amdhsa_exception_int_div_zero 0
	.end_amdhsa_kernel
	.section	.text._ZN9rocsparseL32bsr2csr_block_per_row_2_7_kernelILj256ELj5EliiEEv20rocsparse_direction_T3_S2_21rocsparse_index_base_PKT1_PKT2_PKS2_S2_S3_PS4_PS7_PS2_,"axG",@progbits,_ZN9rocsparseL32bsr2csr_block_per_row_2_7_kernelILj256ELj5EliiEEv20rocsparse_direction_T3_S2_21rocsparse_index_base_PKT1_PKT2_PKS2_S2_S3_PS4_PS7_PS2_,comdat
.Lfunc_end56:
	.size	_ZN9rocsparseL32bsr2csr_block_per_row_2_7_kernelILj256ELj5EliiEEv20rocsparse_direction_T3_S2_21rocsparse_index_base_PKT1_PKT2_PKS2_S2_S3_PS4_PS7_PS2_, .Lfunc_end56-_ZN9rocsparseL32bsr2csr_block_per_row_2_7_kernelILj256ELj5EliiEEv20rocsparse_direction_T3_S2_21rocsparse_index_base_PKT1_PKT2_PKS2_S2_S3_PS4_PS7_PS2_
                                        ; -- End function
	.section	.AMDGPU.csdata,"",@progbits
; Kernel info:
; codeLenInByte = 788
; NumSgprs: 20
; NumVgprs: 32
; NumAgprs: 0
; TotalNumVgprs: 32
; ScratchSize: 0
; MemoryBound: 0
; FloatMode: 240
; IeeeMode: 1
; LDSByteSize: 0 bytes/workgroup (compile time only)
; SGPRBlocks: 2
; VGPRBlocks: 3
; NumSGPRsForWavesPerEU: 20
; NumVGPRsForWavesPerEU: 32
; AccumOffset: 32
; Occupancy: 8
; WaveLimiterHint : 1
; COMPUTE_PGM_RSRC2:SCRATCH_EN: 0
; COMPUTE_PGM_RSRC2:USER_SGPR: 6
; COMPUTE_PGM_RSRC2:TRAP_HANDLER: 0
; COMPUTE_PGM_RSRC2:TGID_X_EN: 1
; COMPUTE_PGM_RSRC2:TGID_Y_EN: 0
; COMPUTE_PGM_RSRC2:TGID_Z_EN: 0
; COMPUTE_PGM_RSRC2:TIDIG_COMP_CNT: 0
; COMPUTE_PGM_RSRC3_GFX90A:ACCUM_OFFSET: 7
; COMPUTE_PGM_RSRC3_GFX90A:TG_SPLIT: 0
	.section	.text._ZN9rocsparseL32bsr2csr_block_per_row_2_7_kernelILj256ELj6EliiEEv20rocsparse_direction_T3_S2_21rocsparse_index_base_PKT1_PKT2_PKS2_S2_S3_PS4_PS7_PS2_,"axG",@progbits,_ZN9rocsparseL32bsr2csr_block_per_row_2_7_kernelILj256ELj6EliiEEv20rocsparse_direction_T3_S2_21rocsparse_index_base_PKT1_PKT2_PKS2_S2_S3_PS4_PS7_PS2_,comdat
	.globl	_ZN9rocsparseL32bsr2csr_block_per_row_2_7_kernelILj256ELj6EliiEEv20rocsparse_direction_T3_S2_21rocsparse_index_base_PKT1_PKT2_PKS2_S2_S3_PS4_PS7_PS2_ ; -- Begin function _ZN9rocsparseL32bsr2csr_block_per_row_2_7_kernelILj256ELj6EliiEEv20rocsparse_direction_T3_S2_21rocsparse_index_base_PKT1_PKT2_PKS2_S2_S3_PS4_PS7_PS2_
	.p2align	8
	.type	_ZN9rocsparseL32bsr2csr_block_per_row_2_7_kernelILj256ELj6EliiEEv20rocsparse_direction_T3_S2_21rocsparse_index_base_PKT1_PKT2_PKS2_S2_S3_PS4_PS7_PS2_,@function
_ZN9rocsparseL32bsr2csr_block_per_row_2_7_kernelILj256ELj6EliiEEv20rocsparse_direction_T3_S2_21rocsparse_index_base_PKT1_PKT2_PKS2_S2_S3_PS4_PS7_PS2_: ; @_ZN9rocsparseL32bsr2csr_block_per_row_2_7_kernelILj256ELj6EliiEEv20rocsparse_direction_T3_S2_21rocsparse_index_base_PKT1_PKT2_PKS2_S2_S3_PS4_PS7_PS2_
; %bb.0:
	s_load_dwordx2 s[2:3], s[4:5], 0x18
	s_load_dword s15, s[4:5], 0x2c
	s_load_dwordx2 s[0:1], s[4:5], 0x38
	s_ashr_i32 s7, s6, 31
	s_lshl_b64 s[8:9], s[6:7], 2
	s_waitcnt lgkmcnt(0)
	s_add_u32 s2, s2, s8
	v_or_b32_e32 v1, s6, v0
	s_addc_u32 s3, s3, s9
	v_cmp_eq_u32_e32 vcc, 0, v1
	s_and_saveexec_b64 s[8:9], vcc
	s_cbranch_execz .LBB57_2
; %bb.1:
	v_mov_b32_e32 v1, 0
	v_mov_b32_e32 v2, s15
	global_store_dword v1, v2, s[0:1]
.LBB57_2:
	s_or_b64 exec, exec, s[8:9]
	v_and_b32_e32 v4, 7, v0
	v_cmp_gt_u32_e32 vcc, 6, v4
	s_and_saveexec_b64 s[8:9], vcc
	s_cbranch_execz .LBB57_6
; %bb.3:
	s_load_dwordx2 s[12:13], s[2:3], 0x0
	s_load_dword s14, s[4:5], 0xc
	v_lshrrev_b32_e32 v3, 3, v0
	v_mov_b32_e32 v1, 0
	s_waitcnt lgkmcnt(0)
	s_sub_i32 s2, s12, s14
	s_sub_i32 s13, s13, s14
	;; [unrolled: 1-line block ×3, first 2 shown]
	s_mul_i32 s7, s7, 6
	s_mul_i32 s3, s2, 36
	v_mul_lo_u32 v6, s7, v4
	s_add_i32 s7, s7, s15
	s_add_i32 s7, s7, s3
	s_mul_i32 s3, s6, 6
	v_add3_u32 v0, v4, s3, 1
	v_lshlrev_b64 v[8:9], 2, v[0:1]
	v_mov_b32_e32 v0, s1
	v_add_co_u32_e32 v8, vcc, s0, v8
	v_add_u32_e32 v2, s7, v6
	v_addc_co_u32_e32 v9, vcc, v0, v9, vcc
	global_store_dword v[8:9], v2, off
	v_add_u32_e32 v2, s2, v3
	v_cmp_gt_i32_e32 vcc, s13, v2
	s_and_b64 exec, exec, vcc
	s_cbranch_execz .LBB57_6
; %bb.4:
	s_load_dwordx2 s[2:3], s[4:5], 0x20
	s_load_dwordx2 s[6:7], s[4:5], 0x30
	s_load_dword s0, s[4:5], 0x0
	s_load_dwordx2 s[8:9], s[4:5], 0x10
	s_load_dwordx2 s[10:11], s[4:5], 0x40
	v_mul_u32_u24_e32 v9, 5, v4
	v_mul_u32_u24_e32 v0, 6, v3
	s_waitcnt lgkmcnt(0)
	s_cmp_eq_u32 s0, 0
	v_mad_u64_u32 v[4:5], s[0:1], v2, 36, v[4:5]
	s_mul_i32 s0, s12, 36
	v_add3_u32 v0, v6, s0, v0
	s_mul_i32 s0, s14, 36
	s_cselect_b64 vcc, -1, 0
	v_subrev_u32_e32 v6, s0, v0
	s_mov_b64 s[4:5], 0
	v_mov_b32_e32 v5, s3
	v_mov_b32_e32 v8, s15
	;; [unrolled: 1-line block ×5, first 2 shown]
.LBB57_5:                               ; =>This Inner Loop Header: Depth=1
	v_ashrrev_i32_e32 v3, 31, v2
	v_add_u32_e32 v7, v9, v4
	v_lshlrev_b64 v[14:15], 2, v[2:3]
	v_cndmask_b32_e32 v0, v4, v7, vcc
	v_add_co_u32_e64 v14, s[0:1], s2, v14
	v_add_u32_e32 v13, 6, v4
	v_add_u32_e32 v3, 1, v7
	v_addc_co_u32_e64 v15, s[0:1], v5, v15, s[0:1]
	v_lshlrev_b64 v[16:17], 3, v[0:1]
	v_cndmask_b32_e32 v0, v13, v3, vcc
	v_add_co_u32_e64 v18, s[0:1], s8, v16
	v_add_u32_e32 v20, 12, v4
	v_add_u32_e32 v21, 2, v7
	global_load_dword v3, v[14:15], off
	v_addc_co_u32_e64 v19, s[0:1], v11, v17, s[0:1]
	v_lshlrev_b64 v[14:15], 3, v[0:1]
	v_cndmask_b32_e32 v0, v20, v21, vcc
	v_add_co_u32_e64 v20, s[0:1], s8, v14
	v_add_u32_e32 v24, 18, v4
	v_add_u32_e32 v26, 3, v7
	v_addc_co_u32_e64 v21, s[0:1], v11, v15, s[0:1]
	v_lshlrev_b64 v[22:23], 3, v[0:1]
	v_cndmask_b32_e32 v0, v24, v26, vcc
	v_add_co_u32_e64 v22, s[0:1], s8, v22
	v_add_u32_e32 v25, 24, v4
	v_add_u32_e32 v27, 4, v7
	global_load_dwordx2 v[14:15], v[18:19], off
	global_load_dwordx2 v[16:17], v[20:21], off
	v_addc_co_u32_e64 v23, s[0:1], v11, v23, s[0:1]
	v_lshlrev_b64 v[18:19], 3, v[0:1]
	v_cndmask_b32_e32 v0, v25, v27, vcc
	v_add_co_u32_e64 v24, s[0:1], s8, v18
	v_add_u32_e32 v28, 30, v4
	v_add_u32_e32 v7, 5, v7
	v_addc_co_u32_e64 v25, s[0:1], v11, v19, s[0:1]
	v_lshlrev_b64 v[26:27], 3, v[0:1]
	v_cndmask_b32_e32 v0, v28, v7, vcc
	v_add_co_u32_e64 v26, s[0:1], s8, v26
	global_load_dwordx2 v[18:19], v[22:23], off
	global_load_dwordx2 v[20:21], v[24:25], off
	v_addc_co_u32_e64 v27, s[0:1], v11, v27, s[0:1]
	v_lshlrev_b64 v[22:23], 3, v[0:1]
	v_add_co_u32_e64 v28, s[0:1], s8, v22
	v_addc_co_u32_e64 v29, s[0:1], v11, v23, s[0:1]
	global_load_dwordx2 v[22:23], v[26:27], off
	global_load_dwordx2 v[24:25], v[28:29], off
	v_ashrrev_i32_e32 v7, 31, v6
	v_lshlrev_b64 v[26:27], 2, v[6:7]
	v_add_co_u32_e64 v30, s[0:1], s10, v26
	v_lshlrev_b64 v[28:29], 3, v[6:7]
	v_addc_co_u32_e64 v31, s[0:1], v10, v27, s[0:1]
	v_add_co_u32_e64 v32, s[0:1], s6, v28
	v_add_u32_e32 v2, 32, v2
	v_addc_co_u32_e64 v33, s[0:1], v12, v29, s[0:1]
	v_cmp_le_i32_e64 s[0:1], s13, v2
	s_or_b64 s[4:5], s[0:1], s[4:5]
	v_add_u32_e32 v4, 0x480, v4
	v_add_u32_e32 v6, 0xc0, v6
	s_waitcnt vmcnt(6)
	v_subrev_u32_e32 v0, s14, v3
	v_mad_u64_u32 v[26:27], s[0:1], v0, 6, v[8:9]
	v_add_u32_e32 v27, 1, v26
	v_add_u32_e32 v28, 2, v26
	v_add_u32_e32 v29, 3, v26
	s_waitcnt vmcnt(4)
	global_store_dwordx4 v[32:33], v[14:17], off
	s_nop 0
	v_add_u32_e32 v14, 4, v26
	v_add_u32_e32 v15, 5, v26
	global_store_dwordx4 v[30:31], v[26:29], off
	global_store_dwordx2 v[30:31], v[14:15], off offset:16
	s_waitcnt vmcnt(5)
	global_store_dwordx4 v[32:33], v[18:21], off offset:16
	s_waitcnt vmcnt(4)
	global_store_dwordx4 v[32:33], v[22:25], off offset:32
	s_andn2_b64 exec, exec, s[4:5]
	s_cbranch_execnz .LBB57_5
.LBB57_6:
	s_endpgm
	.section	.rodata,"a",@progbits
	.p2align	6, 0x0
	.amdhsa_kernel _ZN9rocsparseL32bsr2csr_block_per_row_2_7_kernelILj256ELj6EliiEEv20rocsparse_direction_T3_S2_21rocsparse_index_base_PKT1_PKT2_PKS2_S2_S3_PS4_PS7_PS2_
		.amdhsa_group_segment_fixed_size 0
		.amdhsa_private_segment_fixed_size 0
		.amdhsa_kernarg_size 72
		.amdhsa_user_sgpr_count 6
		.amdhsa_user_sgpr_private_segment_buffer 1
		.amdhsa_user_sgpr_dispatch_ptr 0
		.amdhsa_user_sgpr_queue_ptr 0
		.amdhsa_user_sgpr_kernarg_segment_ptr 1
		.amdhsa_user_sgpr_dispatch_id 0
		.amdhsa_user_sgpr_flat_scratch_init 0
		.amdhsa_user_sgpr_kernarg_preload_length 0
		.amdhsa_user_sgpr_kernarg_preload_offset 0
		.amdhsa_user_sgpr_private_segment_size 0
		.amdhsa_uses_dynamic_stack 0
		.amdhsa_system_sgpr_private_segment_wavefront_offset 0
		.amdhsa_system_sgpr_workgroup_id_x 1
		.amdhsa_system_sgpr_workgroup_id_y 0
		.amdhsa_system_sgpr_workgroup_id_z 0
		.amdhsa_system_sgpr_workgroup_info 0
		.amdhsa_system_vgpr_workitem_id 0
		.amdhsa_next_free_vgpr 34
		.amdhsa_next_free_sgpr 16
		.amdhsa_accum_offset 36
		.amdhsa_reserve_vcc 1
		.amdhsa_reserve_flat_scratch 0
		.amdhsa_float_round_mode_32 0
		.amdhsa_float_round_mode_16_64 0
		.amdhsa_float_denorm_mode_32 3
		.amdhsa_float_denorm_mode_16_64 3
		.amdhsa_dx10_clamp 1
		.amdhsa_ieee_mode 1
		.amdhsa_fp16_overflow 0
		.amdhsa_tg_split 0
		.amdhsa_exception_fp_ieee_invalid_op 0
		.amdhsa_exception_fp_denorm_src 0
		.amdhsa_exception_fp_ieee_div_zero 0
		.amdhsa_exception_fp_ieee_overflow 0
		.amdhsa_exception_fp_ieee_underflow 0
		.amdhsa_exception_fp_ieee_inexact 0
		.amdhsa_exception_int_div_zero 0
	.end_amdhsa_kernel
	.section	.text._ZN9rocsparseL32bsr2csr_block_per_row_2_7_kernelILj256ELj6EliiEEv20rocsparse_direction_T3_S2_21rocsparse_index_base_PKT1_PKT2_PKS2_S2_S3_PS4_PS7_PS2_,"axG",@progbits,_ZN9rocsparseL32bsr2csr_block_per_row_2_7_kernelILj256ELj6EliiEEv20rocsparse_direction_T3_S2_21rocsparse_index_base_PKT1_PKT2_PKS2_S2_S3_PS4_PS7_PS2_,comdat
.Lfunc_end57:
	.size	_ZN9rocsparseL32bsr2csr_block_per_row_2_7_kernelILj256ELj6EliiEEv20rocsparse_direction_T3_S2_21rocsparse_index_base_PKT1_PKT2_PKS2_S2_S3_PS4_PS7_PS2_, .Lfunc_end57-_ZN9rocsparseL32bsr2csr_block_per_row_2_7_kernelILj256ELj6EliiEEv20rocsparse_direction_T3_S2_21rocsparse_index_base_PKT1_PKT2_PKS2_S2_S3_PS4_PS7_PS2_
                                        ; -- End function
	.section	.AMDGPU.csdata,"",@progbits
; Kernel info:
; codeLenInByte = 816
; NumSgprs: 20
; NumVgprs: 34
; NumAgprs: 0
; TotalNumVgprs: 34
; ScratchSize: 0
; MemoryBound: 0
; FloatMode: 240
; IeeeMode: 1
; LDSByteSize: 0 bytes/workgroup (compile time only)
; SGPRBlocks: 2
; VGPRBlocks: 4
; NumSGPRsForWavesPerEU: 20
; NumVGPRsForWavesPerEU: 34
; AccumOffset: 36
; Occupancy: 8
; WaveLimiterHint : 0
; COMPUTE_PGM_RSRC2:SCRATCH_EN: 0
; COMPUTE_PGM_RSRC2:USER_SGPR: 6
; COMPUTE_PGM_RSRC2:TRAP_HANDLER: 0
; COMPUTE_PGM_RSRC2:TGID_X_EN: 1
; COMPUTE_PGM_RSRC2:TGID_Y_EN: 0
; COMPUTE_PGM_RSRC2:TGID_Z_EN: 0
; COMPUTE_PGM_RSRC2:TIDIG_COMP_CNT: 0
; COMPUTE_PGM_RSRC3_GFX90A:ACCUM_OFFSET: 8
; COMPUTE_PGM_RSRC3_GFX90A:TG_SPLIT: 0
	.section	.text._ZN9rocsparseL32bsr2csr_block_per_row_2_7_kernelILj256ELj7EliiEEv20rocsparse_direction_T3_S2_21rocsparse_index_base_PKT1_PKT2_PKS2_S2_S3_PS4_PS7_PS2_,"axG",@progbits,_ZN9rocsparseL32bsr2csr_block_per_row_2_7_kernelILj256ELj7EliiEEv20rocsparse_direction_T3_S2_21rocsparse_index_base_PKT1_PKT2_PKS2_S2_S3_PS4_PS7_PS2_,comdat
	.globl	_ZN9rocsparseL32bsr2csr_block_per_row_2_7_kernelILj256ELj7EliiEEv20rocsparse_direction_T3_S2_21rocsparse_index_base_PKT1_PKT2_PKS2_S2_S3_PS4_PS7_PS2_ ; -- Begin function _ZN9rocsparseL32bsr2csr_block_per_row_2_7_kernelILj256ELj7EliiEEv20rocsparse_direction_T3_S2_21rocsparse_index_base_PKT1_PKT2_PKS2_S2_S3_PS4_PS7_PS2_
	.p2align	8
	.type	_ZN9rocsparseL32bsr2csr_block_per_row_2_7_kernelILj256ELj7EliiEEv20rocsparse_direction_T3_S2_21rocsparse_index_base_PKT1_PKT2_PKS2_S2_S3_PS4_PS7_PS2_,@function
_ZN9rocsparseL32bsr2csr_block_per_row_2_7_kernelILj256ELj7EliiEEv20rocsparse_direction_T3_S2_21rocsparse_index_base_PKT1_PKT2_PKS2_S2_S3_PS4_PS7_PS2_: ; @_ZN9rocsparseL32bsr2csr_block_per_row_2_7_kernelILj256ELj7EliiEEv20rocsparse_direction_T3_S2_21rocsparse_index_base_PKT1_PKT2_PKS2_S2_S3_PS4_PS7_PS2_
; %bb.0:
	s_load_dwordx2 s[2:3], s[4:5], 0x18
	s_load_dword s15, s[4:5], 0x2c
	s_load_dwordx2 s[0:1], s[4:5], 0x38
	s_ashr_i32 s7, s6, 31
	s_lshl_b64 s[8:9], s[6:7], 2
	s_waitcnt lgkmcnt(0)
	s_add_u32 s2, s2, s8
	v_or_b32_e32 v1, s6, v0
	s_addc_u32 s3, s3, s9
	v_cmp_eq_u32_e32 vcc, 0, v1
	s_and_saveexec_b64 s[8:9], vcc
	s_cbranch_execz .LBB58_2
; %bb.1:
	v_mov_b32_e32 v1, 0
	v_mov_b32_e32 v2, s15
	global_store_dword v1, v2, s[0:1]
.LBB58_2:
	s_or_b64 exec, exec, s[8:9]
	v_and_b32_e32 v4, 7, v0
	v_cmp_ne_u32_e32 vcc, 7, v4
	s_and_saveexec_b64 s[8:9], vcc
	s_cbranch_execz .LBB58_6
; %bb.3:
	s_load_dwordx2 s[12:13], s[2:3], 0x0
	s_load_dword s14, s[4:5], 0xc
	v_lshrrev_b32_e32 v3, 3, v0
	v_mov_b32_e32 v1, 0
	s_waitcnt lgkmcnt(0)
	s_sub_i32 s2, s12, s14
	s_sub_i32 s13, s13, s14
	;; [unrolled: 1-line block ×3, first 2 shown]
	s_mul_i32 s7, s7, 7
	s_mul_i32 s3, s2, 49
	v_mul_lo_u32 v6, s7, v4
	s_add_i32 s7, s7, s15
	s_add_i32 s7, s7, s3
	s_mul_i32 s3, s6, 7
	v_add3_u32 v0, v4, s3, 1
	v_lshlrev_b64 v[8:9], 2, v[0:1]
	v_mov_b32_e32 v0, s1
	v_add_co_u32_e32 v8, vcc, s0, v8
	v_add_u32_e32 v2, s7, v6
	v_addc_co_u32_e32 v9, vcc, v0, v9, vcc
	global_store_dword v[8:9], v2, off
	v_add_u32_e32 v2, s2, v3
	v_cmp_gt_i32_e32 vcc, s13, v2
	s_and_b64 exec, exec, vcc
	s_cbranch_execz .LBB58_6
; %bb.4:
	s_load_dwordx2 s[2:3], s[4:5], 0x20
	s_load_dwordx2 s[6:7], s[4:5], 0x30
	s_load_dword s0, s[4:5], 0x0
	s_load_dwordx2 s[8:9], s[4:5], 0x10
	s_load_dwordx2 s[10:11], s[4:5], 0x40
	v_mul_u32_u24_e32 v9, 6, v4
	v_mul_u32_u24_e32 v0, 7, v3
	s_waitcnt lgkmcnt(0)
	s_cmp_eq_u32 s0, 0
	v_mad_u64_u32 v[4:5], s[0:1], v2, 49, v[4:5]
	s_mul_i32 s0, s12, 49
	v_add3_u32 v0, v6, s0, v0
	s_mul_i32 s0, s14, 49
	s_cselect_b64 vcc, -1, 0
	v_subrev_u32_e32 v6, s0, v0
	s_mov_b64 s[4:5], 0
	v_mov_b32_e32 v5, s3
	v_mov_b32_e32 v8, s15
	;; [unrolled: 1-line block ×5, first 2 shown]
.LBB58_5:                               ; =>This Inner Loop Header: Depth=1
	v_ashrrev_i32_e32 v3, 31, v2
	v_add_u32_e32 v7, v9, v4
	v_lshlrev_b64 v[14:15], 2, v[2:3]
	v_cndmask_b32_e32 v0, v4, v7, vcc
	v_add_co_u32_e64 v14, s[0:1], s2, v14
	v_add_u32_e32 v13, 7, v4
	v_add_u32_e32 v3, 1, v7
	v_addc_co_u32_e64 v15, s[0:1], v5, v15, s[0:1]
	v_lshlrev_b64 v[16:17], 3, v[0:1]
	v_cndmask_b32_e32 v0, v13, v3, vcc
	v_add_co_u32_e64 v18, s[0:1], s8, v16
	v_add_u32_e32 v20, 14, v4
	v_add_u32_e32 v21, 2, v7
	global_load_dword v3, v[14:15], off
	v_addc_co_u32_e64 v19, s[0:1], v11, v17, s[0:1]
	v_lshlrev_b64 v[14:15], 3, v[0:1]
	v_cndmask_b32_e32 v0, v20, v21, vcc
	v_add_co_u32_e64 v20, s[0:1], s8, v14
	v_add_u32_e32 v24, 21, v4
	v_add_u32_e32 v26, 3, v7
	v_addc_co_u32_e64 v21, s[0:1], v11, v15, s[0:1]
	v_lshlrev_b64 v[22:23], 3, v[0:1]
	v_cndmask_b32_e32 v0, v24, v26, vcc
	v_add_co_u32_e64 v22, s[0:1], s8, v22
	v_add_u32_e32 v25, 28, v4
	v_add_u32_e32 v27, 4, v7
	global_load_dwordx2 v[14:15], v[18:19], off
	global_load_dwordx2 v[16:17], v[20:21], off
	v_addc_co_u32_e64 v23, s[0:1], v11, v23, s[0:1]
	v_lshlrev_b64 v[18:19], 3, v[0:1]
	v_cndmask_b32_e32 v0, v25, v27, vcc
	v_add_co_u32_e64 v24, s[0:1], s8, v18
	v_add_u32_e32 v28, 35, v4
	v_add_u32_e32 v30, 5, v7
	v_addc_co_u32_e64 v25, s[0:1], v11, v19, s[0:1]
	v_lshlrev_b64 v[26:27], 3, v[0:1]
	v_cndmask_b32_e32 v0, v28, v30, vcc
	global_load_dwordx2 v[18:19], v[22:23], off
	global_load_dwordx2 v[20:21], v[24:25], off
	v_add_co_u32_e64 v22, s[0:1], s8, v26
	v_add_u32_e32 v29, 42, v4
	v_add_u32_e32 v7, 6, v7
	v_addc_co_u32_e64 v23, s[0:1], v11, v27, s[0:1]
	v_lshlrev_b64 v[24:25], 3, v[0:1]
	v_cndmask_b32_e32 v0, v29, v7, vcc
	v_add_co_u32_e64 v26, s[0:1], s8, v24
	v_addc_co_u32_e64 v27, s[0:1], v11, v25, s[0:1]
	v_lshlrev_b64 v[24:25], 3, v[0:1]
	v_add_co_u32_e64 v28, s[0:1], s8, v24
	global_load_dwordx2 v[22:23], v[22:23], off
	v_addc_co_u32_e64 v29, s[0:1], v11, v25, s[0:1]
	global_load_dwordx2 v[24:25], v[26:27], off
	global_load_dwordx2 v[30:31], v[28:29], off
	v_ashrrev_i32_e32 v7, 31, v6
	v_lshlrev_b64 v[26:27], 2, v[6:7]
	v_add_co_u32_e64 v32, s[0:1], s10, v26
	v_lshlrev_b64 v[28:29], 3, v[6:7]
	v_addc_co_u32_e64 v33, s[0:1], v10, v27, s[0:1]
	v_add_co_u32_e64 v34, s[0:1], s6, v28
	v_add_u32_e32 v2, 32, v2
	v_addc_co_u32_e64 v35, s[0:1], v12, v29, s[0:1]
	v_cmp_le_i32_e64 s[0:1], s13, v2
	s_or_b64 s[4:5], s[0:1], s[4:5]
	v_add_u32_e32 v4, 0x620, v4
	v_add_u32_e32 v6, 0xe0, v6
	s_waitcnt vmcnt(7)
	v_subrev_u32_e32 v0, s14, v3
	v_mad_u64_u32 v[26:27], s[0:1], v0, 7, v[8:9]
	v_add_u32_e32 v27, 1, v26
	v_add_u32_e32 v28, 2, v26
	;; [unrolled: 1-line block ×3, first 2 shown]
	s_waitcnt vmcnt(5)
	global_store_dwordx4 v[34:35], v[14:17], off
	s_nop 0
	v_add_u32_e32 v14, 4, v26
	v_add_u32_e32 v15, 5, v26
	;; [unrolled: 1-line block ×3, first 2 shown]
	global_store_dwordx4 v[32:33], v[26:29], off
	global_store_dwordx3 v[32:33], v[14:16], off offset:16
	s_waitcnt vmcnt(6)
	global_store_dwordx4 v[34:35], v[18:21], off offset:16
	s_waitcnt vmcnt(5)
	global_store_dwordx4 v[34:35], v[22:25], off offset:32
	s_waitcnt vmcnt(5)
	global_store_dwordx2 v[34:35], v[30:31], off offset:48
	s_andn2_b64 exec, exec, s[4:5]
	s_cbranch_execnz .LBB58_5
.LBB58_6:
	s_endpgm
	.section	.rodata,"a",@progbits
	.p2align	6, 0x0
	.amdhsa_kernel _ZN9rocsparseL32bsr2csr_block_per_row_2_7_kernelILj256ELj7EliiEEv20rocsparse_direction_T3_S2_21rocsparse_index_base_PKT1_PKT2_PKS2_S2_S3_PS4_PS7_PS2_
		.amdhsa_group_segment_fixed_size 0
		.amdhsa_private_segment_fixed_size 0
		.amdhsa_kernarg_size 72
		.amdhsa_user_sgpr_count 6
		.amdhsa_user_sgpr_private_segment_buffer 1
		.amdhsa_user_sgpr_dispatch_ptr 0
		.amdhsa_user_sgpr_queue_ptr 0
		.amdhsa_user_sgpr_kernarg_segment_ptr 1
		.amdhsa_user_sgpr_dispatch_id 0
		.amdhsa_user_sgpr_flat_scratch_init 0
		.amdhsa_user_sgpr_kernarg_preload_length 0
		.amdhsa_user_sgpr_kernarg_preload_offset 0
		.amdhsa_user_sgpr_private_segment_size 0
		.amdhsa_uses_dynamic_stack 0
		.amdhsa_system_sgpr_private_segment_wavefront_offset 0
		.amdhsa_system_sgpr_workgroup_id_x 1
		.amdhsa_system_sgpr_workgroup_id_y 0
		.amdhsa_system_sgpr_workgroup_id_z 0
		.amdhsa_system_sgpr_workgroup_info 0
		.amdhsa_system_vgpr_workitem_id 0
		.amdhsa_next_free_vgpr 36
		.amdhsa_next_free_sgpr 16
		.amdhsa_accum_offset 36
		.amdhsa_reserve_vcc 1
		.amdhsa_reserve_flat_scratch 0
		.amdhsa_float_round_mode_32 0
		.amdhsa_float_round_mode_16_64 0
		.amdhsa_float_denorm_mode_32 3
		.amdhsa_float_denorm_mode_16_64 3
		.amdhsa_dx10_clamp 1
		.amdhsa_ieee_mode 1
		.amdhsa_fp16_overflow 0
		.amdhsa_tg_split 0
		.amdhsa_exception_fp_ieee_invalid_op 0
		.amdhsa_exception_fp_denorm_src 0
		.amdhsa_exception_fp_ieee_div_zero 0
		.amdhsa_exception_fp_ieee_overflow 0
		.amdhsa_exception_fp_ieee_underflow 0
		.amdhsa_exception_fp_ieee_inexact 0
		.amdhsa_exception_int_div_zero 0
	.end_amdhsa_kernel
	.section	.text._ZN9rocsparseL32bsr2csr_block_per_row_2_7_kernelILj256ELj7EliiEEv20rocsparse_direction_T3_S2_21rocsparse_index_base_PKT1_PKT2_PKS2_S2_S3_PS4_PS7_PS2_,"axG",@progbits,_ZN9rocsparseL32bsr2csr_block_per_row_2_7_kernelILj256ELj7EliiEEv20rocsparse_direction_T3_S2_21rocsparse_index_base_PKT1_PKT2_PKS2_S2_S3_PS4_PS7_PS2_,comdat
.Lfunc_end58:
	.size	_ZN9rocsparseL32bsr2csr_block_per_row_2_7_kernelILj256ELj7EliiEEv20rocsparse_direction_T3_S2_21rocsparse_index_base_PKT1_PKT2_PKS2_S2_S3_PS4_PS7_PS2_, .Lfunc_end58-_ZN9rocsparseL32bsr2csr_block_per_row_2_7_kernelILj256ELj7EliiEEv20rocsparse_direction_T3_S2_21rocsparse_index_base_PKT1_PKT2_PKS2_S2_S3_PS4_PS7_PS2_
                                        ; -- End function
	.section	.AMDGPU.csdata,"",@progbits
; Kernel info:
; codeLenInByte = 876
; NumSgprs: 20
; NumVgprs: 36
; NumAgprs: 0
; TotalNumVgprs: 36
; ScratchSize: 0
; MemoryBound: 0
; FloatMode: 240
; IeeeMode: 1
; LDSByteSize: 0 bytes/workgroup (compile time only)
; SGPRBlocks: 2
; VGPRBlocks: 4
; NumSGPRsForWavesPerEU: 20
; NumVGPRsForWavesPerEU: 36
; AccumOffset: 36
; Occupancy: 8
; WaveLimiterHint : 0
; COMPUTE_PGM_RSRC2:SCRATCH_EN: 0
; COMPUTE_PGM_RSRC2:USER_SGPR: 6
; COMPUTE_PGM_RSRC2:TRAP_HANDLER: 0
; COMPUTE_PGM_RSRC2:TGID_X_EN: 1
; COMPUTE_PGM_RSRC2:TGID_Y_EN: 0
; COMPUTE_PGM_RSRC2:TGID_Z_EN: 0
; COMPUTE_PGM_RSRC2:TIDIG_COMP_CNT: 0
; COMPUTE_PGM_RSRC3_GFX90A:ACCUM_OFFSET: 8
; COMPUTE_PGM_RSRC3_GFX90A:TG_SPLIT: 0
	.section	.text._ZN9rocsparseL33bsr2csr_block_per_row_8_32_kernelILj1024ELj8EliiEEv20rocsparse_direction_T3_S2_21rocsparse_index_base_PKT1_PKT2_PKS2_S2_S3_PS4_PS7_PS2_,"axG",@progbits,_ZN9rocsparseL33bsr2csr_block_per_row_8_32_kernelILj1024ELj8EliiEEv20rocsparse_direction_T3_S2_21rocsparse_index_base_PKT1_PKT2_PKS2_S2_S3_PS4_PS7_PS2_,comdat
	.globl	_ZN9rocsparseL33bsr2csr_block_per_row_8_32_kernelILj1024ELj8EliiEEv20rocsparse_direction_T3_S2_21rocsparse_index_base_PKT1_PKT2_PKS2_S2_S3_PS4_PS7_PS2_ ; -- Begin function _ZN9rocsparseL33bsr2csr_block_per_row_8_32_kernelILj1024ELj8EliiEEv20rocsparse_direction_T3_S2_21rocsparse_index_base_PKT1_PKT2_PKS2_S2_S3_PS4_PS7_PS2_
	.p2align	8
	.type	_ZN9rocsparseL33bsr2csr_block_per_row_8_32_kernelILj1024ELj8EliiEEv20rocsparse_direction_T3_S2_21rocsparse_index_base_PKT1_PKT2_PKS2_S2_S3_PS4_PS7_PS2_,@function
_ZN9rocsparseL33bsr2csr_block_per_row_8_32_kernelILj1024ELj8EliiEEv20rocsparse_direction_T3_S2_21rocsparse_index_base_PKT1_PKT2_PKS2_S2_S3_PS4_PS7_PS2_: ; @_ZN9rocsparseL33bsr2csr_block_per_row_8_32_kernelILj1024ELj8EliiEEv20rocsparse_direction_T3_S2_21rocsparse_index_base_PKT1_PKT2_PKS2_S2_S3_PS4_PS7_PS2_
; %bb.0:
	s_load_dwordx2 s[8:9], s[4:5], 0x18
	s_load_dwordx2 s[0:1], s[4:5], 0x28
	s_load_dwordx2 s[2:3], s[4:5], 0x38
	s_ashr_i32 s7, s6, 31
	s_lshl_b64 s[10:11], s[6:7], 2
	s_waitcnt lgkmcnt(0)
	s_add_u32 s8, s8, s10
	v_or_b32_e32 v1, s6, v0
	s_addc_u32 s9, s9, s11
	v_cmp_eq_u32_e32 vcc, 0, v1
	s_and_saveexec_b64 s[10:11], vcc
	s_cbranch_execz .LBB59_2
; %bb.1:
	v_mov_b32_e32 v1, 0
	v_mov_b32_e32 v2, s1
	global_store_dword v1, v2, s[2:3]
.LBB59_2:
	s_or_b64 exec, exec, s[10:11]
	v_and_b32_e32 v6, 7, v0
	v_bfe_u32 v8, v0, 3, 3
	v_max_i32_e32 v1, v8, v6
	v_cmp_gt_i32_e32 vcc, s0, v1
	s_and_saveexec_b64 s[10:11], vcc
	s_cbranch_execz .LBB59_6
; %bb.3:
	s_load_dwordx2 s[10:11], s[8:9], 0x0
	s_load_dword s12, s[4:5], 0xc
	s_mul_i32 s6, s6, s0
	v_add_u32_e32 v2, s6, v8
	s_mul_i32 s15, s0, s0
	v_ashrrev_i32_e32 v3, 31, v2
	s_waitcnt lgkmcnt(0)
	s_sub_i32 s14, s10, s12
	s_sub_i32 s13, s11, s12
	;; [unrolled: 1-line block ×3, first 2 shown]
	s_mul_i32 s8, s16, s0
	v_lshrrev_b32_e32 v1, 6, v0
	s_mul_i32 s7, s14, s15
	v_mul_lo_u32 v0, s8, v8
	s_add_i32 s8, s8, s1
	v_lshlrev_b64 v[2:3], 2, v[2:3]
	s_add_i32 s8, s8, s7
	v_mov_b32_e32 v4, s3
	v_add_co_u32_e32 v2, vcc, s2, v2
	v_add_u32_e32 v0, s8, v0
	v_addc_co_u32_e32 v3, vcc, v4, v3, vcc
	global_store_dword v[2:3], v0, off offset:4
	v_add_u32_e32 v0, s14, v1
	v_cmp_gt_i32_e32 vcc, s13, v0
	s_and_b64 exec, exec, vcc
	s_cbranch_execz .LBB59_6
; %bb.4:
	s_load_dwordx2 s[2:3], s[4:5], 0x20
	s_load_dwordx2 s[6:7], s[4:5], 0x30
	s_load_dword s17, s[4:5], 0x0
	s_load_dwordx2 s[8:9], s[4:5], 0x10
	s_load_dwordx2 s[10:11], s[4:5], 0x40
	v_mad_u64_u32 v[4:5], s[4:5], v6, s0, v[8:9]
	s_waitcnt lgkmcnt(0)
	s_cmp_eq_u32 s17, 0
	v_mad_u64_u32 v[10:11], s[4:5], v8, s0, v[6:7]
	s_cselect_b64 vcc, -1, 0
	v_cndmask_b32_e32 v4, v4, v10, vcc
	v_mad_u64_u32 v[4:5], s[4:5], s15, v0, v[4:5]
	s_mul_i32 s4, s0, s14
	v_mul_lo_u32 v3, s16, v8
	v_add3_u32 v1, v1, s4, v3
	v_add_u32_e32 v2, s1, v6
	v_mad_u64_u32 v[6:7], s[4:5], s0, v1, v[6:7]
	s_lshl_b32 s1, s15, 4
	s_lshl_b32 s14, s0, 4
	s_mov_b64 s[4:5], 0
	v_mov_b32_e32 v3, s3
	v_mov_b32_e32 v8, s11
	;; [unrolled: 1-line block ×4, first 2 shown]
.LBB59_5:                               ; =>This Inner Loop Header: Depth=1
	v_ashrrev_i32_e32 v1, 31, v0
	v_lshlrev_b64 v[12:13], 2, v[0:1]
	v_add_co_u32_e32 v12, vcc, s2, v12
	v_addc_co_u32_e32 v13, vcc, v3, v13, vcc
	v_ashrrev_i32_e32 v5, 31, v4
	global_load_dword v1, v[12:13], off
	v_lshlrev_b64 v[12:13], 3, v[4:5]
	v_add_co_u32_e32 v12, vcc, s8, v12
	v_addc_co_u32_e32 v13, vcc, v9, v13, vcc
	global_load_dwordx2 v[12:13], v[12:13], off
	v_ashrrev_i32_e32 v7, 31, v6
	v_lshlrev_b64 v[14:15], 2, v[6:7]
	v_add_co_u32_e32 v14, vcc, s10, v14
	v_lshlrev_b64 v[16:17], 3, v[6:7]
	v_addc_co_u32_e32 v15, vcc, v8, v15, vcc
	v_add_co_u32_e32 v16, vcc, s6, v16
	v_add_u32_e32 v0, 16, v0
	v_addc_co_u32_e32 v17, vcc, v10, v17, vcc
	v_cmp_le_i32_e32 vcc, s13, v0
	v_add_u32_e32 v4, s1, v4
	s_or_b64 s[4:5], vcc, s[4:5]
	v_add_u32_e32 v6, s14, v6
	s_waitcnt vmcnt(1)
	v_subrev_u32_e32 v1, s12, v1
	s_waitcnt vmcnt(0)
	global_store_dwordx2 v[16:17], v[12:13], off
	v_mad_u64_u32 v[12:13], s[16:17], v1, s0, v[2:3]
	global_store_dword v[14:15], v12, off
	s_andn2_b64 exec, exec, s[4:5]
	s_cbranch_execnz .LBB59_5
.LBB59_6:
	s_endpgm
	.section	.rodata,"a",@progbits
	.p2align	6, 0x0
	.amdhsa_kernel _ZN9rocsparseL33bsr2csr_block_per_row_8_32_kernelILj1024ELj8EliiEEv20rocsparse_direction_T3_S2_21rocsparse_index_base_PKT1_PKT2_PKS2_S2_S3_PS4_PS7_PS2_
		.amdhsa_group_segment_fixed_size 0
		.amdhsa_private_segment_fixed_size 0
		.amdhsa_kernarg_size 72
		.amdhsa_user_sgpr_count 6
		.amdhsa_user_sgpr_private_segment_buffer 1
		.amdhsa_user_sgpr_dispatch_ptr 0
		.amdhsa_user_sgpr_queue_ptr 0
		.amdhsa_user_sgpr_kernarg_segment_ptr 1
		.amdhsa_user_sgpr_dispatch_id 0
		.amdhsa_user_sgpr_flat_scratch_init 0
		.amdhsa_user_sgpr_kernarg_preload_length 0
		.amdhsa_user_sgpr_kernarg_preload_offset 0
		.amdhsa_user_sgpr_private_segment_size 0
		.amdhsa_uses_dynamic_stack 0
		.amdhsa_system_sgpr_private_segment_wavefront_offset 0
		.amdhsa_system_sgpr_workgroup_id_x 1
		.amdhsa_system_sgpr_workgroup_id_y 0
		.amdhsa_system_sgpr_workgroup_id_z 0
		.amdhsa_system_sgpr_workgroup_info 0
		.amdhsa_system_vgpr_workitem_id 0
		.amdhsa_next_free_vgpr 18
		.amdhsa_next_free_sgpr 18
		.amdhsa_accum_offset 20
		.amdhsa_reserve_vcc 1
		.amdhsa_reserve_flat_scratch 0
		.amdhsa_float_round_mode_32 0
		.amdhsa_float_round_mode_16_64 0
		.amdhsa_float_denorm_mode_32 3
		.amdhsa_float_denorm_mode_16_64 3
		.amdhsa_dx10_clamp 1
		.amdhsa_ieee_mode 1
		.amdhsa_fp16_overflow 0
		.amdhsa_tg_split 0
		.amdhsa_exception_fp_ieee_invalid_op 0
		.amdhsa_exception_fp_denorm_src 0
		.amdhsa_exception_fp_ieee_div_zero 0
		.amdhsa_exception_fp_ieee_overflow 0
		.amdhsa_exception_fp_ieee_underflow 0
		.amdhsa_exception_fp_ieee_inexact 0
		.amdhsa_exception_int_div_zero 0
	.end_amdhsa_kernel
	.section	.text._ZN9rocsparseL33bsr2csr_block_per_row_8_32_kernelILj1024ELj8EliiEEv20rocsparse_direction_T3_S2_21rocsparse_index_base_PKT1_PKT2_PKS2_S2_S3_PS4_PS7_PS2_,"axG",@progbits,_ZN9rocsparseL33bsr2csr_block_per_row_8_32_kernelILj1024ELj8EliiEEv20rocsparse_direction_T3_S2_21rocsparse_index_base_PKT1_PKT2_PKS2_S2_S3_PS4_PS7_PS2_,comdat
.Lfunc_end59:
	.size	_ZN9rocsparseL33bsr2csr_block_per_row_8_32_kernelILj1024ELj8EliiEEv20rocsparse_direction_T3_S2_21rocsparse_index_base_PKT1_PKT2_PKS2_S2_S3_PS4_PS7_PS2_, .Lfunc_end59-_ZN9rocsparseL33bsr2csr_block_per_row_8_32_kernelILj1024ELj8EliiEEv20rocsparse_direction_T3_S2_21rocsparse_index_base_PKT1_PKT2_PKS2_S2_S3_PS4_PS7_PS2_
                                        ; -- End function
	.section	.AMDGPU.csdata,"",@progbits
; Kernel info:
; codeLenInByte = 532
; NumSgprs: 22
; NumVgprs: 18
; NumAgprs: 0
; TotalNumVgprs: 18
; ScratchSize: 0
; MemoryBound: 0
; FloatMode: 240
; IeeeMode: 1
; LDSByteSize: 0 bytes/workgroup (compile time only)
; SGPRBlocks: 2
; VGPRBlocks: 2
; NumSGPRsForWavesPerEU: 22
; NumVGPRsForWavesPerEU: 18
; AccumOffset: 20
; Occupancy: 8
; WaveLimiterHint : 0
; COMPUTE_PGM_RSRC2:SCRATCH_EN: 0
; COMPUTE_PGM_RSRC2:USER_SGPR: 6
; COMPUTE_PGM_RSRC2:TRAP_HANDLER: 0
; COMPUTE_PGM_RSRC2:TGID_X_EN: 1
; COMPUTE_PGM_RSRC2:TGID_Y_EN: 0
; COMPUTE_PGM_RSRC2:TGID_Z_EN: 0
; COMPUTE_PGM_RSRC2:TIDIG_COMP_CNT: 0
; COMPUTE_PGM_RSRC3_GFX90A:ACCUM_OFFSET: 4
; COMPUTE_PGM_RSRC3_GFX90A:TG_SPLIT: 0
	.section	.text._ZN9rocsparseL33bsr2csr_block_per_row_8_32_kernelILj1024ELj16EliiEEv20rocsparse_direction_T3_S2_21rocsparse_index_base_PKT1_PKT2_PKS2_S2_S3_PS4_PS7_PS2_,"axG",@progbits,_ZN9rocsparseL33bsr2csr_block_per_row_8_32_kernelILj1024ELj16EliiEEv20rocsparse_direction_T3_S2_21rocsparse_index_base_PKT1_PKT2_PKS2_S2_S3_PS4_PS7_PS2_,comdat
	.globl	_ZN9rocsparseL33bsr2csr_block_per_row_8_32_kernelILj1024ELj16EliiEEv20rocsparse_direction_T3_S2_21rocsparse_index_base_PKT1_PKT2_PKS2_S2_S3_PS4_PS7_PS2_ ; -- Begin function _ZN9rocsparseL33bsr2csr_block_per_row_8_32_kernelILj1024ELj16EliiEEv20rocsparse_direction_T3_S2_21rocsparse_index_base_PKT1_PKT2_PKS2_S2_S3_PS4_PS7_PS2_
	.p2align	8
	.type	_ZN9rocsparseL33bsr2csr_block_per_row_8_32_kernelILj1024ELj16EliiEEv20rocsparse_direction_T3_S2_21rocsparse_index_base_PKT1_PKT2_PKS2_S2_S3_PS4_PS7_PS2_,@function
_ZN9rocsparseL33bsr2csr_block_per_row_8_32_kernelILj1024ELj16EliiEEv20rocsparse_direction_T3_S2_21rocsparse_index_base_PKT1_PKT2_PKS2_S2_S3_PS4_PS7_PS2_: ; @_ZN9rocsparseL33bsr2csr_block_per_row_8_32_kernelILj1024ELj16EliiEEv20rocsparse_direction_T3_S2_21rocsparse_index_base_PKT1_PKT2_PKS2_S2_S3_PS4_PS7_PS2_
; %bb.0:
	s_load_dwordx2 s[8:9], s[4:5], 0x18
	s_load_dwordx2 s[0:1], s[4:5], 0x28
	;; [unrolled: 1-line block ×3, first 2 shown]
	s_ashr_i32 s7, s6, 31
	s_lshl_b64 s[10:11], s[6:7], 2
	s_waitcnt lgkmcnt(0)
	s_add_u32 s8, s8, s10
	v_or_b32_e32 v1, s6, v0
	s_addc_u32 s9, s9, s11
	v_cmp_eq_u32_e32 vcc, 0, v1
	s_and_saveexec_b64 s[10:11], vcc
	s_cbranch_execz .LBB60_2
; %bb.1:
	v_mov_b32_e32 v1, 0
	v_mov_b32_e32 v2, s1
	global_store_dword v1, v2, s[2:3]
.LBB60_2:
	s_or_b64 exec, exec, s[10:11]
	v_and_b32_e32 v6, 15, v0
	v_bfe_u32 v8, v0, 4, 4
	v_max_i32_e32 v1, v8, v6
	v_cmp_gt_i32_e32 vcc, s0, v1
	s_and_saveexec_b64 s[10:11], vcc
	s_cbranch_execz .LBB60_6
; %bb.3:
	s_load_dwordx2 s[10:11], s[8:9], 0x0
	s_load_dword s12, s[4:5], 0xc
	s_mul_i32 s6, s6, s0
	v_add_u32_e32 v2, s6, v8
	s_mul_i32 s15, s0, s0
	v_ashrrev_i32_e32 v3, 31, v2
	s_waitcnt lgkmcnt(0)
	s_sub_i32 s14, s10, s12
	s_sub_i32 s13, s11, s12
	;; [unrolled: 1-line block ×3, first 2 shown]
	s_mul_i32 s8, s16, s0
	v_lshrrev_b32_e32 v1, 8, v0
	s_mul_i32 s7, s14, s15
	v_mul_lo_u32 v0, s8, v8
	s_add_i32 s8, s8, s1
	v_lshlrev_b64 v[2:3], 2, v[2:3]
	s_add_i32 s8, s8, s7
	v_mov_b32_e32 v4, s3
	v_add_co_u32_e32 v2, vcc, s2, v2
	v_add_u32_e32 v0, s8, v0
	v_addc_co_u32_e32 v3, vcc, v4, v3, vcc
	global_store_dword v[2:3], v0, off offset:4
	v_add_u32_e32 v0, s14, v1
	v_cmp_gt_i32_e32 vcc, s13, v0
	s_and_b64 exec, exec, vcc
	s_cbranch_execz .LBB60_6
; %bb.4:
	s_load_dwordx2 s[2:3], s[4:5], 0x20
	s_load_dwordx2 s[6:7], s[4:5], 0x30
	s_load_dword s17, s[4:5], 0x0
	s_load_dwordx2 s[8:9], s[4:5], 0x10
	s_load_dwordx2 s[10:11], s[4:5], 0x40
	v_mad_u64_u32 v[4:5], s[4:5], v6, s0, v[8:9]
	s_waitcnt lgkmcnt(0)
	s_cmp_eq_u32 s17, 0
	v_mad_u64_u32 v[10:11], s[4:5], v8, s0, v[6:7]
	s_cselect_b64 vcc, -1, 0
	v_cndmask_b32_e32 v4, v4, v10, vcc
	v_mad_u64_u32 v[4:5], s[4:5], s15, v0, v[4:5]
	s_mul_i32 s4, s0, s14
	v_mul_lo_u32 v3, s16, v8
	v_add3_u32 v1, v1, s4, v3
	v_add_u32_e32 v2, s1, v6
	v_mad_u64_u32 v[6:7], s[4:5], s0, v1, v[6:7]
	s_lshl_b32 s1, s15, 2
	s_lshl_b32 s14, s0, 2
	s_mov_b64 s[4:5], 0
	v_mov_b32_e32 v3, s3
	v_mov_b32_e32 v8, s11
	;; [unrolled: 1-line block ×4, first 2 shown]
.LBB60_5:                               ; =>This Inner Loop Header: Depth=1
	v_ashrrev_i32_e32 v1, 31, v0
	v_lshlrev_b64 v[12:13], 2, v[0:1]
	v_add_co_u32_e32 v12, vcc, s2, v12
	v_addc_co_u32_e32 v13, vcc, v3, v13, vcc
	v_ashrrev_i32_e32 v5, 31, v4
	global_load_dword v1, v[12:13], off
	v_lshlrev_b64 v[12:13], 3, v[4:5]
	v_add_co_u32_e32 v12, vcc, s8, v12
	v_addc_co_u32_e32 v13, vcc, v9, v13, vcc
	global_load_dwordx2 v[12:13], v[12:13], off
	v_ashrrev_i32_e32 v7, 31, v6
	v_lshlrev_b64 v[14:15], 2, v[6:7]
	v_add_co_u32_e32 v14, vcc, s10, v14
	v_lshlrev_b64 v[16:17], 3, v[6:7]
	v_addc_co_u32_e32 v15, vcc, v8, v15, vcc
	v_add_co_u32_e32 v16, vcc, s6, v16
	v_add_u32_e32 v0, 4, v0
	v_addc_co_u32_e32 v17, vcc, v10, v17, vcc
	v_cmp_le_i32_e32 vcc, s13, v0
	v_add_u32_e32 v4, s1, v4
	s_or_b64 s[4:5], vcc, s[4:5]
	v_add_u32_e32 v6, s14, v6
	s_waitcnt vmcnt(1)
	v_subrev_u32_e32 v1, s12, v1
	s_waitcnt vmcnt(0)
	global_store_dwordx2 v[16:17], v[12:13], off
	v_mad_u64_u32 v[12:13], s[16:17], v1, s0, v[2:3]
	global_store_dword v[14:15], v12, off
	s_andn2_b64 exec, exec, s[4:5]
	s_cbranch_execnz .LBB60_5
.LBB60_6:
	s_endpgm
	.section	.rodata,"a",@progbits
	.p2align	6, 0x0
	.amdhsa_kernel _ZN9rocsparseL33bsr2csr_block_per_row_8_32_kernelILj1024ELj16EliiEEv20rocsparse_direction_T3_S2_21rocsparse_index_base_PKT1_PKT2_PKS2_S2_S3_PS4_PS7_PS2_
		.amdhsa_group_segment_fixed_size 0
		.amdhsa_private_segment_fixed_size 0
		.amdhsa_kernarg_size 72
		.amdhsa_user_sgpr_count 6
		.amdhsa_user_sgpr_private_segment_buffer 1
		.amdhsa_user_sgpr_dispatch_ptr 0
		.amdhsa_user_sgpr_queue_ptr 0
		.amdhsa_user_sgpr_kernarg_segment_ptr 1
		.amdhsa_user_sgpr_dispatch_id 0
		.amdhsa_user_sgpr_flat_scratch_init 0
		.amdhsa_user_sgpr_kernarg_preload_length 0
		.amdhsa_user_sgpr_kernarg_preload_offset 0
		.amdhsa_user_sgpr_private_segment_size 0
		.amdhsa_uses_dynamic_stack 0
		.amdhsa_system_sgpr_private_segment_wavefront_offset 0
		.amdhsa_system_sgpr_workgroup_id_x 1
		.amdhsa_system_sgpr_workgroup_id_y 0
		.amdhsa_system_sgpr_workgroup_id_z 0
		.amdhsa_system_sgpr_workgroup_info 0
		.amdhsa_system_vgpr_workitem_id 0
		.amdhsa_next_free_vgpr 18
		.amdhsa_next_free_sgpr 18
		.amdhsa_accum_offset 20
		.amdhsa_reserve_vcc 1
		.amdhsa_reserve_flat_scratch 0
		.amdhsa_float_round_mode_32 0
		.amdhsa_float_round_mode_16_64 0
		.amdhsa_float_denorm_mode_32 3
		.amdhsa_float_denorm_mode_16_64 3
		.amdhsa_dx10_clamp 1
		.amdhsa_ieee_mode 1
		.amdhsa_fp16_overflow 0
		.amdhsa_tg_split 0
		.amdhsa_exception_fp_ieee_invalid_op 0
		.amdhsa_exception_fp_denorm_src 0
		.amdhsa_exception_fp_ieee_div_zero 0
		.amdhsa_exception_fp_ieee_overflow 0
		.amdhsa_exception_fp_ieee_underflow 0
		.amdhsa_exception_fp_ieee_inexact 0
		.amdhsa_exception_int_div_zero 0
	.end_amdhsa_kernel
	.section	.text._ZN9rocsparseL33bsr2csr_block_per_row_8_32_kernelILj1024ELj16EliiEEv20rocsparse_direction_T3_S2_21rocsparse_index_base_PKT1_PKT2_PKS2_S2_S3_PS4_PS7_PS2_,"axG",@progbits,_ZN9rocsparseL33bsr2csr_block_per_row_8_32_kernelILj1024ELj16EliiEEv20rocsparse_direction_T3_S2_21rocsparse_index_base_PKT1_PKT2_PKS2_S2_S3_PS4_PS7_PS2_,comdat
.Lfunc_end60:
	.size	_ZN9rocsparseL33bsr2csr_block_per_row_8_32_kernelILj1024ELj16EliiEEv20rocsparse_direction_T3_S2_21rocsparse_index_base_PKT1_PKT2_PKS2_S2_S3_PS4_PS7_PS2_, .Lfunc_end60-_ZN9rocsparseL33bsr2csr_block_per_row_8_32_kernelILj1024ELj16EliiEEv20rocsparse_direction_T3_S2_21rocsparse_index_base_PKT1_PKT2_PKS2_S2_S3_PS4_PS7_PS2_
                                        ; -- End function
	.section	.AMDGPU.csdata,"",@progbits
; Kernel info:
; codeLenInByte = 532
; NumSgprs: 22
; NumVgprs: 18
; NumAgprs: 0
; TotalNumVgprs: 18
; ScratchSize: 0
; MemoryBound: 0
; FloatMode: 240
; IeeeMode: 1
; LDSByteSize: 0 bytes/workgroup (compile time only)
; SGPRBlocks: 2
; VGPRBlocks: 2
; NumSGPRsForWavesPerEU: 22
; NumVGPRsForWavesPerEU: 18
; AccumOffset: 20
; Occupancy: 8
; WaveLimiterHint : 0
; COMPUTE_PGM_RSRC2:SCRATCH_EN: 0
; COMPUTE_PGM_RSRC2:USER_SGPR: 6
; COMPUTE_PGM_RSRC2:TRAP_HANDLER: 0
; COMPUTE_PGM_RSRC2:TGID_X_EN: 1
; COMPUTE_PGM_RSRC2:TGID_Y_EN: 0
; COMPUTE_PGM_RSRC2:TGID_Z_EN: 0
; COMPUTE_PGM_RSRC2:TIDIG_COMP_CNT: 0
; COMPUTE_PGM_RSRC3_GFX90A:ACCUM_OFFSET: 4
; COMPUTE_PGM_RSRC3_GFX90A:TG_SPLIT: 0
	.section	.text._ZN9rocsparseL33bsr2csr_block_per_row_8_32_kernelILj1024ELj32EliiEEv20rocsparse_direction_T3_S2_21rocsparse_index_base_PKT1_PKT2_PKS2_S2_S3_PS4_PS7_PS2_,"axG",@progbits,_ZN9rocsparseL33bsr2csr_block_per_row_8_32_kernelILj1024ELj32EliiEEv20rocsparse_direction_T3_S2_21rocsparse_index_base_PKT1_PKT2_PKS2_S2_S3_PS4_PS7_PS2_,comdat
	.globl	_ZN9rocsparseL33bsr2csr_block_per_row_8_32_kernelILj1024ELj32EliiEEv20rocsparse_direction_T3_S2_21rocsparse_index_base_PKT1_PKT2_PKS2_S2_S3_PS4_PS7_PS2_ ; -- Begin function _ZN9rocsparseL33bsr2csr_block_per_row_8_32_kernelILj1024ELj32EliiEEv20rocsparse_direction_T3_S2_21rocsparse_index_base_PKT1_PKT2_PKS2_S2_S3_PS4_PS7_PS2_
	.p2align	8
	.type	_ZN9rocsparseL33bsr2csr_block_per_row_8_32_kernelILj1024ELj32EliiEEv20rocsparse_direction_T3_S2_21rocsparse_index_base_PKT1_PKT2_PKS2_S2_S3_PS4_PS7_PS2_,@function
_ZN9rocsparseL33bsr2csr_block_per_row_8_32_kernelILj1024ELj32EliiEEv20rocsparse_direction_T3_S2_21rocsparse_index_base_PKT1_PKT2_PKS2_S2_S3_PS4_PS7_PS2_: ; @_ZN9rocsparseL33bsr2csr_block_per_row_8_32_kernelILj1024ELj32EliiEEv20rocsparse_direction_T3_S2_21rocsparse_index_base_PKT1_PKT2_PKS2_S2_S3_PS4_PS7_PS2_
; %bb.0:
	s_load_dwordx2 s[2:3], s[4:5], 0x18
	s_load_dwordx2 s[0:1], s[4:5], 0x28
	;; [unrolled: 1-line block ×3, first 2 shown]
	s_ashr_i32 s7, s6, 31
	s_lshl_b64 s[10:11], s[6:7], 2
	s_waitcnt lgkmcnt(0)
	s_add_u32 s2, s2, s10
	v_or_b32_e32 v1, s6, v0
	s_addc_u32 s3, s3, s11
	v_cmp_eq_u32_e32 vcc, 0, v1
	s_and_saveexec_b64 s[10:11], vcc
	s_cbranch_execz .LBB61_2
; %bb.1:
	v_mov_b32_e32 v1, 0
	v_mov_b32_e32 v2, s1
	global_store_dword v1, v2, s[8:9]
.LBB61_2:
	s_or_b64 exec, exec, s[10:11]
	v_and_b32_e32 v2, 31, v0
	v_lshrrev_b32_e32 v4, 5, v0
	v_max_i32_e32 v0, v4, v2
	v_cmp_gt_i32_e32 vcc, s0, v0
	s_and_saveexec_b64 s[10:11], vcc
	s_cbranch_execz .LBB61_6
; %bb.3:
	s_load_dwordx2 s[10:11], s[2:3], 0x0
	s_load_dword s12, s[4:5], 0xc
	s_mul_i32 s13, s0, s0
	s_mul_i32 s6, s6, s0
	v_mov_b32_e32 v5, s9
	s_waitcnt lgkmcnt(0)
	s_sub_i32 s2, s10, s12
	s_sub_i32 s14, s11, s12
	;; [unrolled: 1-line block ×3, first 2 shown]
	s_mul_i32 s7, s3, s0
	s_mul_i32 s15, s2, s13
	v_mul_lo_u32 v0, s7, v4
	s_add_i32 s7, s7, s1
	s_add_i32 s7, s7, s15
	v_add_u32_e32 v3, s7, v0
	v_add_u32_e32 v0, s6, v4
	v_ashrrev_i32_e32 v1, 31, v0
	v_lshlrev_b64 v[0:1], 2, v[0:1]
	v_add_co_u32_e32 v0, vcc, s8, v0
	v_addc_co_u32_e32 v1, vcc, v5, v1, vcc
	s_cmp_ge_i32 s10, s11
	global_store_dword v[0:1], v3, off offset:4
	s_cbranch_scc1 .LBB61_6
; %bb.4:
	s_load_dwordx2 s[16:17], s[4:5], 0x20
	s_load_dwordx2 s[6:7], s[4:5], 0x30
	s_load_dword s18, s[4:5], 0x0
	s_load_dwordx2 s[8:9], s[4:5], 0x10
	s_load_dwordx2 s[10:11], s[4:5], 0x40
	v_add_u32_e32 v5, s1, v2
	v_mad_u64_u32 v[0:1], s[4:5], v2, s0, v[4:5]
	s_mul_i32 s1, s0, s2
	v_mul_lo_u32 v1, v4, s3
	s_waitcnt lgkmcnt(0)
	s_cmp_eq_u32 s18, 0
	v_add_u32_e32 v1, s1, v1
	v_mad_u64_u32 v[6:7], s[4:5], v4, s0, v[2:3]
	s_cselect_b64 vcc, -1, 0
	v_mad_u64_u32 v[2:3], s[4:5], s0, v1, v[2:3]
	s_ashr_i32 s3, s2, 31
	s_lshl_b64 s[4:5], s[2:3], 2
	v_cndmask_b32_e32 v0, v0, v6, vcc
	s_add_u32 s4, s16, s4
	v_add_u32_e32 v0, s15, v0
	s_addc_u32 s5, s17, s5
	v_mov_b32_e32 v4, s11
	v_mov_b32_e32 v6, s9
	;; [unrolled: 1-line block ×3, first 2 shown]
.LBB61_5:                               ; =>This Inner Loop Header: Depth=1
	v_ashrrev_i32_e32 v1, 31, v0
	v_lshlrev_b64 v[8:9], 3, v[0:1]
	v_add_co_u32_e32 v8, vcc, s8, v8
	v_addc_co_u32_e32 v9, vcc, v6, v9, vcc
	global_load_dwordx2 v[8:9], v[8:9], off
	s_load_dword s1, s[4:5], 0x0
	v_ashrrev_i32_e32 v3, 31, v2
	v_lshlrev_b64 v[10:11], 2, v[2:3]
	s_add_i32 s2, s2, 1
	v_add_co_u32_e32 v10, vcc, s10, v10
	s_waitcnt lgkmcnt(0)
	s_sub_i32 s1, s1, s12
	v_lshlrev_b64 v[12:13], 3, v[2:3]
	v_addc_co_u32_e32 v11, vcc, v4, v11, vcc
	s_add_u32 s4, s4, 4
	v_add_co_u32_e32 v12, vcc, s6, v12
	s_mul_i32 s1, s1, s0
	s_addc_u32 s5, s5, 0
	v_add_u32_e32 v0, s13, v0
	v_add_u32_e32 v2, s0, v2
	v_addc_co_u32_e32 v13, vcc, v7, v13, vcc
	v_add_u32_e32 v1, s1, v5
	s_cmp_lt_i32 s2, s14
	global_store_dword v[10:11], v1, off
	s_waitcnt vmcnt(1)
	global_store_dwordx2 v[12:13], v[8:9], off
	s_cbranch_scc1 .LBB61_5
.LBB61_6:
	s_endpgm
	.section	.rodata,"a",@progbits
	.p2align	6, 0x0
	.amdhsa_kernel _ZN9rocsparseL33bsr2csr_block_per_row_8_32_kernelILj1024ELj32EliiEEv20rocsparse_direction_T3_S2_21rocsparse_index_base_PKT1_PKT2_PKS2_S2_S3_PS4_PS7_PS2_
		.amdhsa_group_segment_fixed_size 0
		.amdhsa_private_segment_fixed_size 0
		.amdhsa_kernarg_size 72
		.amdhsa_user_sgpr_count 6
		.amdhsa_user_sgpr_private_segment_buffer 1
		.amdhsa_user_sgpr_dispatch_ptr 0
		.amdhsa_user_sgpr_queue_ptr 0
		.amdhsa_user_sgpr_kernarg_segment_ptr 1
		.amdhsa_user_sgpr_dispatch_id 0
		.amdhsa_user_sgpr_flat_scratch_init 0
		.amdhsa_user_sgpr_kernarg_preload_length 0
		.amdhsa_user_sgpr_kernarg_preload_offset 0
		.amdhsa_user_sgpr_private_segment_size 0
		.amdhsa_uses_dynamic_stack 0
		.amdhsa_system_sgpr_private_segment_wavefront_offset 0
		.amdhsa_system_sgpr_workgroup_id_x 1
		.amdhsa_system_sgpr_workgroup_id_y 0
		.amdhsa_system_sgpr_workgroup_id_z 0
		.amdhsa_system_sgpr_workgroup_info 0
		.amdhsa_system_vgpr_workitem_id 0
		.amdhsa_next_free_vgpr 14
		.amdhsa_next_free_sgpr 19
		.amdhsa_accum_offset 16
		.amdhsa_reserve_vcc 1
		.amdhsa_reserve_flat_scratch 0
		.amdhsa_float_round_mode_32 0
		.amdhsa_float_round_mode_16_64 0
		.amdhsa_float_denorm_mode_32 3
		.amdhsa_float_denorm_mode_16_64 3
		.amdhsa_dx10_clamp 1
		.amdhsa_ieee_mode 1
		.amdhsa_fp16_overflow 0
		.amdhsa_tg_split 0
		.amdhsa_exception_fp_ieee_invalid_op 0
		.amdhsa_exception_fp_denorm_src 0
		.amdhsa_exception_fp_ieee_div_zero 0
		.amdhsa_exception_fp_ieee_overflow 0
		.amdhsa_exception_fp_ieee_underflow 0
		.amdhsa_exception_fp_ieee_inexact 0
		.amdhsa_exception_int_div_zero 0
	.end_amdhsa_kernel
	.section	.text._ZN9rocsparseL33bsr2csr_block_per_row_8_32_kernelILj1024ELj32EliiEEv20rocsparse_direction_T3_S2_21rocsparse_index_base_PKT1_PKT2_PKS2_S2_S3_PS4_PS7_PS2_,"axG",@progbits,_ZN9rocsparseL33bsr2csr_block_per_row_8_32_kernelILj1024ELj32EliiEEv20rocsparse_direction_T3_S2_21rocsparse_index_base_PKT1_PKT2_PKS2_S2_S3_PS4_PS7_PS2_,comdat
.Lfunc_end61:
	.size	_ZN9rocsparseL33bsr2csr_block_per_row_8_32_kernelILj1024ELj32EliiEEv20rocsparse_direction_T3_S2_21rocsparse_index_base_PKT1_PKT2_PKS2_S2_S3_PS4_PS7_PS2_, .Lfunc_end61-_ZN9rocsparseL33bsr2csr_block_per_row_8_32_kernelILj1024ELj32EliiEEv20rocsparse_direction_T3_S2_21rocsparse_index_base_PKT1_PKT2_PKS2_S2_S3_PS4_PS7_PS2_
                                        ; -- End function
	.section	.AMDGPU.csdata,"",@progbits
; Kernel info:
; codeLenInByte = 488
; NumSgprs: 23
; NumVgprs: 14
; NumAgprs: 0
; TotalNumVgprs: 14
; ScratchSize: 0
; MemoryBound: 0
; FloatMode: 240
; IeeeMode: 1
; LDSByteSize: 0 bytes/workgroup (compile time only)
; SGPRBlocks: 2
; VGPRBlocks: 1
; NumSGPRsForWavesPerEU: 23
; NumVGPRsForWavesPerEU: 14
; AccumOffset: 16
; Occupancy: 8
; WaveLimiterHint : 0
; COMPUTE_PGM_RSRC2:SCRATCH_EN: 0
; COMPUTE_PGM_RSRC2:USER_SGPR: 6
; COMPUTE_PGM_RSRC2:TRAP_HANDLER: 0
; COMPUTE_PGM_RSRC2:TGID_X_EN: 1
; COMPUTE_PGM_RSRC2:TGID_Y_EN: 0
; COMPUTE_PGM_RSRC2:TGID_Z_EN: 0
; COMPUTE_PGM_RSRC2:TIDIG_COMP_CNT: 0
; COMPUTE_PGM_RSRC3_GFX90A:ACCUM_OFFSET: 3
; COMPUTE_PGM_RSRC3_GFX90A:TG_SPLIT: 0
	.section	.text._ZN9rocsparseL35bsr2csr_block_per_row_33_256_kernelILj1024ELj64ELj32EliiEEv20rocsparse_direction_T4_S2_21rocsparse_index_base_PKT2_PKT3_PKS2_S2_S3_PS4_PS7_PS2_,"axG",@progbits,_ZN9rocsparseL35bsr2csr_block_per_row_33_256_kernelILj1024ELj64ELj32EliiEEv20rocsparse_direction_T4_S2_21rocsparse_index_base_PKT2_PKT3_PKS2_S2_S3_PS4_PS7_PS2_,comdat
	.globl	_ZN9rocsparseL35bsr2csr_block_per_row_33_256_kernelILj1024ELj64ELj32EliiEEv20rocsparse_direction_T4_S2_21rocsparse_index_base_PKT2_PKT3_PKS2_S2_S3_PS4_PS7_PS2_ ; -- Begin function _ZN9rocsparseL35bsr2csr_block_per_row_33_256_kernelILj1024ELj64ELj32EliiEEv20rocsparse_direction_T4_S2_21rocsparse_index_base_PKT2_PKT3_PKS2_S2_S3_PS4_PS7_PS2_
	.p2align	8
	.type	_ZN9rocsparseL35bsr2csr_block_per_row_33_256_kernelILj1024ELj64ELj32EliiEEv20rocsparse_direction_T4_S2_21rocsparse_index_base_PKT2_PKT3_PKS2_S2_S3_PS4_PS7_PS2_,@function
_ZN9rocsparseL35bsr2csr_block_per_row_33_256_kernelILj1024ELj64ELj32EliiEEv20rocsparse_direction_T4_S2_21rocsparse_index_base_PKT2_PKT3_PKS2_S2_S3_PS4_PS7_PS2_: ; @_ZN9rocsparseL35bsr2csr_block_per_row_33_256_kernelILj1024ELj64ELj32EliiEEv20rocsparse_direction_T4_S2_21rocsparse_index_base_PKT2_PKT3_PKS2_S2_S3_PS4_PS7_PS2_
; %bb.0:
	s_load_dwordx2 s[0:1], s[4:5], 0x18
	s_load_dwordx2 s[8:9], s[4:5], 0x28
	;; [unrolled: 1-line block ×3, first 2 shown]
	s_ashr_i32 s7, s6, 31
	s_lshl_b64 s[2:3], s[6:7], 2
	s_waitcnt lgkmcnt(0)
	s_add_u32 s0, s0, s2
	s_addc_u32 s1, s1, s3
	s_load_dwordx2 s[22:23], s[0:1], 0x0
	v_or_b32_e32 v1, s6, v0
	v_cmp_eq_u32_e32 vcc, 0, v1
	s_and_saveexec_b64 s[0:1], vcc
	s_cbranch_execz .LBB62_2
; %bb.1:
	v_mov_b32_e32 v1, 0
	v_mov_b32_e32 v2, s9
	global_store_dword v1, v2, s[12:13]
.LBB62_2:
	s_or_b64 exec, exec, s[0:1]
	s_load_dword s24, s[4:5], 0xc
	v_lshrrev_b32_e32 v1, 5, v0
	s_mul_i32 s14, s6, s8
	s_waitcnt lgkmcnt(0)
	s_sub_i32 s10, s22, s24
	s_sub_i32 s25, s23, s24
	s_mul_i32 s11, s10, s8
	s_sub_i32 s18, s25, s10
	s_mul_i32 s0, s11, s8
	s_mul_i32 s15, s18, s8
	s_add_i32 s16, s0, s9
	s_add_i32 s16, s16, s15
	v_cmp_gt_i32_e64 s[0:1], s8, v1
	s_and_saveexec_b64 s[2:3], s[0:1]
	s_cbranch_execz .LBB62_4
; %bb.3:
	v_mul_lo_u32 v2, v1, s15
	v_add_u32_e32 v4, s16, v2
	v_add_u32_e32 v2, s14, v1
	v_ashrrev_i32_e32 v3, 31, v2
	v_lshlrev_b64 v[2:3], 2, v[2:3]
	v_mov_b32_e32 v5, s13
	v_add_co_u32_e32 v2, vcc, s12, v2
	v_addc_co_u32_e32 v3, vcc, v5, v3, vcc
	global_store_dword v[2:3], v4, off offset:4
.LBB62_4:
	s_or_b64 exec, exec, s[2:3]
	v_or_b32_e32 v2, 32, v1
	v_cmp_gt_i32_e64 s[2:3], s8, v2
	s_and_saveexec_b64 s[6:7], s[2:3]
	s_cbranch_execz .LBB62_6
; %bb.5:
	s_add_u32 s12, s12, 4
	s_addc_u32 s13, s13, 0
	v_mul_lo_u32 v2, v2, s15
	s_ashr_i32 s15, s14, 31
	v_add_u32_e32 v4, s16, v2
	v_mov_b32_e32 v3, s15
	v_add_co_u32_e32 v2, vcc, s14, v1
	v_addc_co_u32_e32 v3, vcc, 0, v3, vcc
	v_lshlrev_b64 v[2:3], 2, v[2:3]
	v_mov_b32_e32 v5, s13
	v_add_co_u32_e32 v2, vcc, s12, v2
	v_addc_co_u32_e32 v3, vcc, v5, v3, vcc
	global_store_dword v[2:3], v4, off offset:128
.LBB62_6:
	s_or_b64 exec, exec, s[6:7]
	s_cmp_lt_i32 s22, s23
	s_cbranch_scc0 .LBB62_17
; %bb.7:
	s_load_dwordx2 s[28:29], s[4:5], 0x20
	s_load_dwordx2 s[12:13], s[4:5], 0x30
	s_load_dword s6, s[4:5], 0x0
	s_load_dwordx2 s[14:15], s[4:5], 0x10
	s_load_dwordx2 s[16:17], s[4:5], 0x40
	v_and_b32_e32 v0, 31, v0
	v_mul_lo_u32 v7, v1, s18
	v_or_b32_e32 v2, 32, v0
	s_waitcnt lgkmcnt(0)
	s_cmp_eq_u32 s6, 0
	v_cmp_gt_i32_e64 s[4:5], s8, v0
	v_cmp_gt_i32_e64 s[6:7], s8, v2
	v_add_u32_e32 v8, s11, v7
	s_cselect_b64 vcc, -1, 0
	s_and_b64 s[18:19], s[0:1], s[4:5]
	s_and_b64 s[20:21], s[0:1], s[6:7]
	v_add_u32_e32 v4, s11, v1
	v_add_u32_e32 v6, s11, v0
	v_lshl_add_u32 v7, s23, 5, v8
	s_lshl_b32 s0, s22, 5
	s_ashr_i32 s11, s10, 31
	s_and_b64 s[4:5], s[2:3], s[4:5]
	s_and_b64 s[2:3], s[2:3], s[6:7]
	v_subrev_u32_e32 v7, s0, v7
	s_lshl_b64 s[0:1], s[10:11], 2
	v_add_u32_e32 v3, 32, v4
	v_add_u32_e32 v5, 32, v6
	s_add_u32 s6, s28, s0
	s_mul_i32 s26, s8, s8
	v_mul_lo_u32 v3, s8, v3
	v_mul_lo_u32 v4, s8, v4
	;; [unrolled: 1-line block ×6, first 2 shown]
	s_addc_u32 s7, s29, s1
	s_branch .LBB62_9
.LBB62_8:                               ;   in Loop: Header=BB62_9 Depth=1
	s_or_b64 exec, exec, s[22:23]
	s_add_i32 s10, s10, 1
	s_add_u32 s6, s6, 4
	s_addc_u32 s7, s7, 0
	v_add_u32_e32 v3, s26, v3
	v_add_u32_e32 v4, s26, v4
	;; [unrolled: 1-line block ×4, first 2 shown]
	s_cmp_ge_i32 s10, s25
	v_add_u32_e32 v8, s8, v8
	s_cbranch_scc1 .LBB62_17
.LBB62_9:                               ; =>This Inner Loop Header: Depth=1
	s_load_dword s0, s[6:7], 0x0
	s_waitcnt lgkmcnt(0)
	s_sub_i32 s0, s0, s24
	s_mul_i32 s11, s0, s8
	s_add_i32 s11, s11, s9
	v_add_u32_e32 v9, s11, v0
	s_and_saveexec_b64 s[22:23], s[18:19]
	s_cbranch_execz .LBB62_11
; %bb.10:                               ;   in Loop: Header=BB62_9 Depth=1
	v_add_u32_e32 v10, v0, v4
	v_add_u32_e32 v11, v6, v1
	v_cndmask_b32_e32 v10, v11, v10, vcc
	v_ashrrev_i32_e32 v11, 31, v10
	v_lshlrev_b64 v[10:11], 3, v[10:11]
	v_mov_b32_e32 v12, s15
	v_add_co_u32_e64 v10, s[0:1], s14, v10
	v_addc_co_u32_e64 v11, s[0:1], v12, v11, s[0:1]
	global_load_dwordx2 v[10:11], v[10:11], off
	v_add_u32_e32 v12, v0, v8
	v_ashrrev_i32_e32 v13, 31, v12
	v_lshlrev_b64 v[14:15], 2, v[12:13]
	v_mov_b32_e32 v16, s17
	v_add_co_u32_e64 v14, s[0:1], s16, v14
	v_addc_co_u32_e64 v15, s[0:1], v16, v15, s[0:1]
	v_lshlrev_b64 v[12:13], 3, v[12:13]
	global_store_dword v[14:15], v9, off
	v_mov_b32_e32 v14, s13
	v_add_co_u32_e64 v12, s[0:1], s12, v12
	v_addc_co_u32_e64 v13, s[0:1], v14, v13, s[0:1]
	s_waitcnt vmcnt(1)
	global_store_dwordx2 v[12:13], v[10:11], off
.LBB62_11:                              ;   in Loop: Header=BB62_9 Depth=1
	s_or_b64 exec, exec, s[22:23]
	v_add_u32_e32 v10, s11, v2
	v_add_u32_e32 v11, v5, v1
	s_and_saveexec_b64 s[22:23], s[20:21]
	s_cbranch_execnz .LBB62_14
; %bb.12:                               ;   in Loop: Header=BB62_9 Depth=1
	s_or_b64 exec, exec, s[22:23]
	v_add_u32_e32 v12, v0, v3
	s_and_saveexec_b64 s[22:23], s[4:5]
	s_cbranch_execnz .LBB62_15
.LBB62_13:                              ;   in Loop: Header=BB62_9 Depth=1
	s_or_b64 exec, exec, s[22:23]
	s_and_saveexec_b64 s[22:23], s[2:3]
	s_cbranch_execz .LBB62_8
	s_branch .LBB62_16
.LBB62_14:                              ;   in Loop: Header=BB62_9 Depth=1
	v_add3_u32 v12, v0, v4, 32
	v_cndmask_b32_e32 v12, v11, v12, vcc
	v_ashrrev_i32_e32 v13, 31, v12
	v_lshlrev_b64 v[12:13], 3, v[12:13]
	v_mov_b32_e32 v14, s15
	v_add_co_u32_e64 v12, s[0:1], s14, v12
	v_addc_co_u32_e64 v13, s[0:1], v14, v13, s[0:1]
	global_load_dwordx2 v[12:13], v[12:13], off
	v_add3_u32 v14, v0, v8, 32
	v_ashrrev_i32_e32 v15, 31, v14
	v_lshlrev_b64 v[16:17], 2, v[14:15]
	v_mov_b32_e32 v18, s17
	v_add_co_u32_e64 v16, s[0:1], s16, v16
	v_addc_co_u32_e64 v17, s[0:1], v18, v17, s[0:1]
	v_lshlrev_b64 v[14:15], 3, v[14:15]
	global_store_dword v[16:17], v10, off
	v_mov_b32_e32 v16, s13
	v_add_co_u32_e64 v14, s[0:1], s12, v14
	v_addc_co_u32_e64 v15, s[0:1], v16, v15, s[0:1]
	s_waitcnt vmcnt(1)
	global_store_dwordx2 v[14:15], v[12:13], off
	s_or_b64 exec, exec, s[22:23]
	v_add_u32_e32 v12, v0, v3
	s_and_saveexec_b64 s[22:23], s[4:5]
	s_cbranch_execz .LBB62_13
.LBB62_15:                              ;   in Loop: Header=BB62_9 Depth=1
	v_add3_u32 v13, v6, v1, 32
	v_cndmask_b32_e32 v14, v13, v12, vcc
	v_ashrrev_i32_e32 v15, 31, v14
	v_lshlrev_b64 v[14:15], 3, v[14:15]
	v_mov_b32_e32 v13, s15
	v_add_co_u32_e64 v14, s[0:1], s14, v14
	v_addc_co_u32_e64 v15, s[0:1], v13, v15, s[0:1]
	global_load_dwordx2 v[14:15], v[14:15], off
	v_add_u32_e32 v16, v0, v7
	v_ashrrev_i32_e32 v17, 31, v16
	v_lshlrev_b64 v[18:19], 2, v[16:17]
	v_mov_b32_e32 v13, s17
	v_add_co_u32_e64 v18, s[0:1], s16, v18
	v_addc_co_u32_e64 v19, s[0:1], v13, v19, s[0:1]
	v_lshlrev_b64 v[16:17], 3, v[16:17]
	global_store_dword v[18:19], v9, off
	v_mov_b32_e32 v9, s13
	v_add_co_u32_e64 v16, s[0:1], s12, v16
	v_addc_co_u32_e64 v17, s[0:1], v9, v17, s[0:1]
	s_waitcnt vmcnt(1)
	global_store_dwordx2 v[16:17], v[14:15], off
	s_or_b64 exec, exec, s[22:23]
	s_and_saveexec_b64 s[22:23], s[2:3]
	s_cbranch_execz .LBB62_8
.LBB62_16:                              ;   in Loop: Header=BB62_9 Depth=1
	v_cndmask_b32_e32 v9, v11, v12, vcc
	v_add_u32_e32 v12, 32, v9
	v_ashrrev_i32_e32 v13, 31, v12
	v_lshlrev_b64 v[12:13], 3, v[12:13]
	v_mov_b32_e32 v9, s15
	v_add_co_u32_e64 v12, s[0:1], s14, v12
	v_addc_co_u32_e64 v13, s[0:1], v9, v13, s[0:1]
	global_load_dwordx2 v[12:13], v[12:13], off
	v_add3_u32 v14, v0, v7, 32
	v_ashrrev_i32_e32 v15, 31, v14
	v_lshlrev_b64 v[16:17], 2, v[14:15]
	v_mov_b32_e32 v9, s17
	v_add_co_u32_e64 v16, s[0:1], s16, v16
	v_addc_co_u32_e64 v17, s[0:1], v9, v17, s[0:1]
	global_store_dword v[16:17], v10, off
	v_lshlrev_b64 v[10:11], 3, v[14:15]
	v_mov_b32_e32 v9, s13
	v_add_co_u32_e64 v10, s[0:1], s12, v10
	v_addc_co_u32_e64 v11, s[0:1], v9, v11, s[0:1]
	s_waitcnt vmcnt(1)
	global_store_dwordx2 v[10:11], v[12:13], off
	s_branch .LBB62_8
.LBB62_17:
	s_endpgm
	.section	.rodata,"a",@progbits
	.p2align	6, 0x0
	.amdhsa_kernel _ZN9rocsparseL35bsr2csr_block_per_row_33_256_kernelILj1024ELj64ELj32EliiEEv20rocsparse_direction_T4_S2_21rocsparse_index_base_PKT2_PKT3_PKS2_S2_S3_PS4_PS7_PS2_
		.amdhsa_group_segment_fixed_size 0
		.amdhsa_private_segment_fixed_size 0
		.amdhsa_kernarg_size 72
		.amdhsa_user_sgpr_count 6
		.amdhsa_user_sgpr_private_segment_buffer 1
		.amdhsa_user_sgpr_dispatch_ptr 0
		.amdhsa_user_sgpr_queue_ptr 0
		.amdhsa_user_sgpr_kernarg_segment_ptr 1
		.amdhsa_user_sgpr_dispatch_id 0
		.amdhsa_user_sgpr_flat_scratch_init 0
		.amdhsa_user_sgpr_kernarg_preload_length 0
		.amdhsa_user_sgpr_kernarg_preload_offset 0
		.amdhsa_user_sgpr_private_segment_size 0
		.amdhsa_uses_dynamic_stack 0
		.amdhsa_system_sgpr_private_segment_wavefront_offset 0
		.amdhsa_system_sgpr_workgroup_id_x 1
		.amdhsa_system_sgpr_workgroup_id_y 0
		.amdhsa_system_sgpr_workgroup_id_z 0
		.amdhsa_system_sgpr_workgroup_info 0
		.amdhsa_system_vgpr_workitem_id 0
		.amdhsa_next_free_vgpr 20
		.amdhsa_next_free_sgpr 30
		.amdhsa_accum_offset 20
		.amdhsa_reserve_vcc 1
		.amdhsa_reserve_flat_scratch 0
		.amdhsa_float_round_mode_32 0
		.amdhsa_float_round_mode_16_64 0
		.amdhsa_float_denorm_mode_32 3
		.amdhsa_float_denorm_mode_16_64 3
		.amdhsa_dx10_clamp 1
		.amdhsa_ieee_mode 1
		.amdhsa_fp16_overflow 0
		.amdhsa_tg_split 0
		.amdhsa_exception_fp_ieee_invalid_op 0
		.amdhsa_exception_fp_denorm_src 0
		.amdhsa_exception_fp_ieee_div_zero 0
		.amdhsa_exception_fp_ieee_overflow 0
		.amdhsa_exception_fp_ieee_underflow 0
		.amdhsa_exception_fp_ieee_inexact 0
		.amdhsa_exception_int_div_zero 0
	.end_amdhsa_kernel
	.section	.text._ZN9rocsparseL35bsr2csr_block_per_row_33_256_kernelILj1024ELj64ELj32EliiEEv20rocsparse_direction_T4_S2_21rocsparse_index_base_PKT2_PKT3_PKS2_S2_S3_PS4_PS7_PS2_,"axG",@progbits,_ZN9rocsparseL35bsr2csr_block_per_row_33_256_kernelILj1024ELj64ELj32EliiEEv20rocsparse_direction_T4_S2_21rocsparse_index_base_PKT2_PKT3_PKS2_S2_S3_PS4_PS7_PS2_,comdat
.Lfunc_end62:
	.size	_ZN9rocsparseL35bsr2csr_block_per_row_33_256_kernelILj1024ELj64ELj32EliiEEv20rocsparse_direction_T4_S2_21rocsparse_index_base_PKT2_PKT3_PKS2_S2_S3_PS4_PS7_PS2_, .Lfunc_end62-_ZN9rocsparseL35bsr2csr_block_per_row_33_256_kernelILj1024ELj64ELj32EliiEEv20rocsparse_direction_T4_S2_21rocsparse_index_base_PKT2_PKT3_PKS2_S2_S3_PS4_PS7_PS2_
                                        ; -- End function
	.section	.AMDGPU.csdata,"",@progbits
; Kernel info:
; codeLenInByte = 1228
; NumSgprs: 34
; NumVgprs: 20
; NumAgprs: 0
; TotalNumVgprs: 20
; ScratchSize: 0
; MemoryBound: 0
; FloatMode: 240
; IeeeMode: 1
; LDSByteSize: 0 bytes/workgroup (compile time only)
; SGPRBlocks: 4
; VGPRBlocks: 2
; NumSGPRsForWavesPerEU: 34
; NumVGPRsForWavesPerEU: 20
; AccumOffset: 20
; Occupancy: 8
; WaveLimiterHint : 1
; COMPUTE_PGM_RSRC2:SCRATCH_EN: 0
; COMPUTE_PGM_RSRC2:USER_SGPR: 6
; COMPUTE_PGM_RSRC2:TRAP_HANDLER: 0
; COMPUTE_PGM_RSRC2:TGID_X_EN: 1
; COMPUTE_PGM_RSRC2:TGID_Y_EN: 0
; COMPUTE_PGM_RSRC2:TGID_Z_EN: 0
; COMPUTE_PGM_RSRC2:TIDIG_COMP_CNT: 0
; COMPUTE_PGM_RSRC3_GFX90A:ACCUM_OFFSET: 4
; COMPUTE_PGM_RSRC3_GFX90A:TG_SPLIT: 0
	.section	.text._ZN9rocsparseL35bsr2csr_block_per_row_33_256_kernelILj1024ELj128ELj32EliiEEv20rocsparse_direction_T4_S2_21rocsparse_index_base_PKT2_PKT3_PKS2_S2_S3_PS4_PS7_PS2_,"axG",@progbits,_ZN9rocsparseL35bsr2csr_block_per_row_33_256_kernelILj1024ELj128ELj32EliiEEv20rocsparse_direction_T4_S2_21rocsparse_index_base_PKT2_PKT3_PKS2_S2_S3_PS4_PS7_PS2_,comdat
	.globl	_ZN9rocsparseL35bsr2csr_block_per_row_33_256_kernelILj1024ELj128ELj32EliiEEv20rocsparse_direction_T4_S2_21rocsparse_index_base_PKT2_PKT3_PKS2_S2_S3_PS4_PS7_PS2_ ; -- Begin function _ZN9rocsparseL35bsr2csr_block_per_row_33_256_kernelILj1024ELj128ELj32EliiEEv20rocsparse_direction_T4_S2_21rocsparse_index_base_PKT2_PKT3_PKS2_S2_S3_PS4_PS7_PS2_
	.p2align	8
	.type	_ZN9rocsparseL35bsr2csr_block_per_row_33_256_kernelILj1024ELj128ELj32EliiEEv20rocsparse_direction_T4_S2_21rocsparse_index_base_PKT2_PKT3_PKS2_S2_S3_PS4_PS7_PS2_,@function
_ZN9rocsparseL35bsr2csr_block_per_row_33_256_kernelILj1024ELj128ELj32EliiEEv20rocsparse_direction_T4_S2_21rocsparse_index_base_PKT2_PKT3_PKS2_S2_S3_PS4_PS7_PS2_: ; @_ZN9rocsparseL35bsr2csr_block_per_row_33_256_kernelILj1024ELj128ELj32EliiEEv20rocsparse_direction_T4_S2_21rocsparse_index_base_PKT2_PKT3_PKS2_S2_S3_PS4_PS7_PS2_
; %bb.0:
	s_load_dwordx2 s[0:1], s[4:5], 0x18
	s_load_dwordx2 s[16:17], s[4:5], 0x28
	;; [unrolled: 1-line block ×3, first 2 shown]
	s_ashr_i32 s7, s6, 31
	s_lshl_b64 s[8:9], s[6:7], 2
	s_waitcnt lgkmcnt(0)
	s_add_u32 s0, s0, s8
	s_addc_u32 s1, s1, s9
	s_load_dwordx2 s[48:49], s[0:1], 0x0
	v_or_b32_e32 v1, s6, v0
	v_cmp_eq_u32_e32 vcc, 0, v1
	s_and_saveexec_b64 s[0:1], vcc
	s_cbranch_execz .LBB63_2
; %bb.1:
	v_mov_b32_e32 v1, 0
	v_mov_b32_e32 v2, s17
	global_store_dword v1, v2, s[2:3]
.LBB63_2:
	s_or_b64 exec, exec, s[0:1]
	s_load_dword s33, s[4:5], 0xc
	v_lshrrev_b32_e32 v6, 5, v0
	s_mul_i32 s13, s6, s16
	s_waitcnt lgkmcnt(0)
	s_sub_i32 s18, s48, s33
	s_sub_i32 s50, s49, s33
	s_mul_i32 s19, s18, s16
	s_sub_i32 s12, s50, s18
	s_mul_i32 s0, s19, s16
	s_mul_i32 s14, s12, s16
	s_add_i32 s15, s0, s17
	s_add_i32 s15, s15, s14
	v_cmp_gt_i32_e64 s[0:1], s16, v6
	s_and_saveexec_b64 s[6:7], s[0:1]
	s_cbranch_execz .LBB63_4
; %bb.3:
	v_add_u32_e32 v2, s13, v6
	v_ashrrev_i32_e32 v3, 31, v2
	v_lshlrev_b64 v[2:3], 2, v[2:3]
	v_mul_lo_u32 v1, v6, s14
	v_mov_b32_e32 v4, s3
	v_add_co_u32_e32 v2, vcc, s2, v2
	v_add_u32_e32 v1, s15, v1
	v_addc_co_u32_e32 v3, vcc, v4, v3, vcc
	global_store_dword v[2:3], v1, off offset:4
.LBB63_4:
	s_or_b64 exec, exec, s[6:7]
	s_add_u32 s20, s2, 4
	v_or_b32_e32 v1, 32, v6
	s_addc_u32 s21, s3, 0
	v_cmp_gt_i32_e64 s[2:3], s16, v1
	s_and_saveexec_b64 s[6:7], s[2:3]
	s_cbranch_execz .LBB63_6
; %bb.5:
	s_ashr_i32 s8, s13, 31
	v_mov_b32_e32 v3, s8
	v_add_co_u32_e32 v2, vcc, s13, v6
	v_addc_co_u32_e32 v3, vcc, 0, v3, vcc
	v_lshlrev_b64 v[2:3], 2, v[2:3]
	v_mul_lo_u32 v1, v1, s14
	v_mov_b32_e32 v4, s21
	v_add_co_u32_e32 v2, vcc, s20, v2
	v_add_u32_e32 v1, s15, v1
	v_addc_co_u32_e32 v3, vcc, v4, v3, vcc
	global_store_dword v[2:3], v1, off offset:128
.LBB63_6:
	s_or_b64 exec, exec, s[6:7]
	v_or_b32_e32 v1, 64, v6
	v_cmp_gt_i32_e64 s[6:7], s16, v1
	s_and_saveexec_b64 s[8:9], s[6:7]
	s_cbranch_execz .LBB63_8
; %bb.7:
	s_ashr_i32 s10, s13, 31
	v_mov_b32_e32 v3, s10
	v_add_co_u32_e32 v2, vcc, s13, v6
	v_addc_co_u32_e32 v3, vcc, 0, v3, vcc
	v_lshlrev_b64 v[2:3], 2, v[2:3]
	v_mul_lo_u32 v1, v1, s14
	v_mov_b32_e32 v4, s21
	v_add_co_u32_e32 v2, vcc, s20, v2
	v_add_u32_e32 v1, s15, v1
	v_addc_co_u32_e32 v3, vcc, v4, v3, vcc
	global_store_dword v[2:3], v1, off offset:256
.LBB63_8:
	s_or_b64 exec, exec, s[8:9]
	v_or_b32_e32 v1, 0x60, v6
	v_cmp_gt_i32_e64 s[8:9], s16, v1
	s_and_saveexec_b64 s[10:11], s[8:9]
	s_cbranch_execz .LBB63_10
; %bb.9:
	v_mul_lo_u32 v1, v1, s14
	s_ashr_i32 s14, s13, 31
	v_mov_b32_e32 v3, s14
	v_add_co_u32_e32 v2, vcc, s13, v6
	v_addc_co_u32_e32 v3, vcc, 0, v3, vcc
	v_lshlrev_b64 v[2:3], 2, v[2:3]
	v_mov_b32_e32 v4, s21
	v_add_co_u32_e32 v2, vcc, s20, v2
	v_add_u32_e32 v1, s15, v1
	v_addc_co_u32_e32 v3, vcc, v4, v3, vcc
	global_store_dword v[2:3], v1, off offset:384
.LBB63_10:
	s_or_b64 exec, exec, s[10:11]
	s_cmp_lt_i32 s48, s49
	s_cbranch_scc0 .LBB63_45
; %bb.11:
	s_load_dwordx2 s[54:55], s[4:5], 0x20
	s_load_dwordx2 s[20:21], s[4:5], 0x30
	;; [unrolled: 1-line block ×3, first 2 shown]
	s_load_dword s10, s[4:5], 0x0
	s_load_dwordx2 s[24:25], s[4:5], 0x40
	v_and_b32_e32 v8, 31, v0
	v_add_u32_e32 v0, s19, v6
	v_add_u32_e32 v1, 32, v0
	v_or_b32_e32 v9, 32, v8
	v_or_b32_e32 v10, 64, v8
	;; [unrolled: 1-line block ×3, first 2 shown]
	v_mul_lo_u32 v12, s16, v1
	v_add_u32_e32 v1, 64, v0
	v_add_u32_e32 v7, s19, v8
	s_waitcnt lgkmcnt(0)
	s_cmp_eq_u32 s10, 0
	v_mul_lo_u32 v16, v6, s12
	v_cmp_gt_i32_e64 s[4:5], s16, v8
	v_cmp_gt_i32_e64 s[10:11], s16, v9
	;; [unrolled: 1-line block ×4, first 2 shown]
	v_mul_lo_u32 v13, s16, v1
	v_add_u32_e32 v1, 0x60, v0
	v_mul_lo_u32 v15, s16, v0
	v_add_u32_e32 v0, 0x60, v7
	s_cselect_b64 vcc, -1, 0
	s_and_b64 s[26:27], s[0:1], s[4:5]
	s_and_b64 s[28:29], s[0:1], s[10:11]
	;; [unrolled: 1-line block ×4, first 2 shown]
	v_mul_lo_u32 v14, s16, v1
	v_mad_u64_u32 v[0:1], s[0:1], s16, v0, v[6:7]
	v_add_u32_e32 v1, 64, v7
	v_mad_u64_u32 v[2:3], s[0:1], s16, v1, v[6:7]
	v_add_u32_e32 v1, 32, v7
	v_mad_u64_u32 v[4:5], s[0:1], s16, v1, v[6:7]
	v_mad_u64_u32 v[6:7], s[0:1], s16, v7, v[6:7]
	v_add_u32_e32 v7, s19, v16
	v_lshl_add_u32 v1, s49, 5, v7
	s_lshl_b32 s0, s48, 5
	v_subrev_u32_e32 v1, s0, v1
	v_lshl_add_u32 v3, s49, 6, v7
	s_lshl_b32 s0, s48, 6
	v_subrev_u32_e32 v3, s0, v3
	s_mul_i32 s0, s49, 0x60
	v_add_u32_e32 v5, s0, v7
	s_mul_i32 s0, s48, 0x60
	s_ashr_i32 s19, s18, 31
	s_and_b64 s[36:37], s[2:3], s[4:5]
	s_and_b64 s[38:39], s[2:3], s[10:11]
	s_and_b64 s[40:41], s[2:3], s[12:13]
	s_and_b64 s[2:3], s[2:3], s[14:15]
	s_and_b64 s[42:43], s[6:7], s[4:5]
	s_and_b64 s[44:45], s[6:7], s[10:11]
	s_and_b64 s[46:47], s[6:7], s[12:13]
	s_and_b64 s[6:7], s[6:7], s[14:15]
	s_and_b64 s[4:5], s[8:9], s[4:5]
	s_and_b64 s[10:11], s[8:9], s[10:11]
	s_and_b64 s[12:13], s[8:9], s[12:13]
	s_and_b64 s[8:9], s[8:9], s[14:15]
	v_subrev_u32_e32 v5, s0, v5
	s_lshl_b64 s[0:1], s[18:19], 2
	s_add_u32 s14, s54, s0
	s_mul_i32 s51, s16, s16
	s_mov_b32 s52, 0
	s_movk_i32 s53, 0x60
	v_mul_lo_u32 v1, s16, v1
	v_mul_lo_u32 v3, s16, v3
	;; [unrolled: 1-line block ×4, first 2 shown]
	s_addc_u32 s15, s55, s1
	s_branch .LBB63_13
.LBB63_12:                              ;   in Loop: Header=BB63_13 Depth=1
	s_or_b64 exec, exec, s[48:49]
	s_add_i32 s18, s18, 1
	s_add_i32 s52, s52, s51
	s_add_u32 s14, s14, 4
	s_addc_u32 s15, s15, 0
	v_add_u32_e32 v12, s51, v12
	v_add_u32_e32 v13, s51, v13
	;; [unrolled: 1-line block ×7, first 2 shown]
	s_cmp_ge_i32 s18, s50
	v_add_u32_e32 v7, s16, v7
	s_cbranch_scc1 .LBB63_45
.LBB63_13:                              ; =>This Inner Loop Header: Depth=1
	s_load_dword s0, s[14:15], 0x0
	v_add_u32_e32 v20, s52, v6
	s_waitcnt lgkmcnt(0)
	s_sub_i32 s0, s0, s33
	s_mul_i32 s19, s0, s16
	s_add_i32 s19, s19, s17
	v_add_u32_e32 v16, s19, v8
	s_and_saveexec_b64 s[48:49], s[26:27]
	s_cbranch_execz .LBB63_15
; %bb.14:                               ;   in Loop: Header=BB63_13 Depth=1
	v_add_u32_e32 v17, v8, v15
	v_cndmask_b32_e32 v18, v20, v17, vcc
	v_ashrrev_i32_e32 v19, 31, v18
	v_lshlrev_b64 v[18:19], 3, v[18:19]
	v_mov_b32_e32 v17, s23
	v_add_co_u32_e64 v18, s[0:1], s22, v18
	v_addc_co_u32_e64 v19, s[0:1], v17, v19, s[0:1]
	global_load_dwordx2 v[18:19], v[18:19], off
	v_add_u32_e32 v22, v8, v7
	v_ashrrev_i32_e32 v23, 31, v22
	v_lshlrev_b64 v[24:25], 2, v[22:23]
	v_mov_b32_e32 v17, s25
	v_add_co_u32_e64 v24, s[0:1], s24, v24
	v_addc_co_u32_e64 v25, s[0:1], v17, v25, s[0:1]
	v_lshlrev_b64 v[22:23], 3, v[22:23]
	v_mov_b32_e32 v17, s21
	v_add_co_u32_e64 v22, s[0:1], s20, v22
	v_addc_co_u32_e64 v23, s[0:1], v17, v23, s[0:1]
	global_store_dword v[24:25], v16, off
	s_waitcnt vmcnt(1)
	global_store_dwordx2 v[22:23], v[18:19], off
.LBB63_15:                              ;   in Loop: Header=BB63_13 Depth=1
	s_or_b64 exec, exec, s[48:49]
	v_add_u32_e32 v17, s19, v9
	v_add_u32_e32 v21, s52, v4
	s_and_saveexec_b64 s[48:49], s[28:29]
	s_cbranch_execz .LBB63_17
; %bb.16:                               ;   in Loop: Header=BB63_13 Depth=1
	v_add3_u32 v18, v8, v15, 32
	v_cndmask_b32_e32 v18, v21, v18, vcc
	v_ashrrev_i32_e32 v19, 31, v18
	v_lshlrev_b64 v[18:19], 3, v[18:19]
	v_mov_b32_e32 v22, s23
	v_add_co_u32_e64 v18, s[0:1], s22, v18
	v_addc_co_u32_e64 v19, s[0:1], v22, v19, s[0:1]
	global_load_dwordx2 v[18:19], v[18:19], off
	v_add3_u32 v22, v8, v7, 32
	v_ashrrev_i32_e32 v23, 31, v22
	v_lshlrev_b64 v[24:25], 2, v[22:23]
	v_mov_b32_e32 v26, s25
	v_add_co_u32_e64 v24, s[0:1], s24, v24
	v_addc_co_u32_e64 v25, s[0:1], v26, v25, s[0:1]
	v_lshlrev_b64 v[22:23], 3, v[22:23]
	global_store_dword v[24:25], v17, off
	v_mov_b32_e32 v24, s21
	v_add_co_u32_e64 v22, s[0:1], s20, v22
	v_addc_co_u32_e64 v23, s[0:1], v24, v23, s[0:1]
	s_waitcnt vmcnt(1)
	global_store_dwordx2 v[22:23], v[18:19], off
.LBB63_17:                              ;   in Loop: Header=BB63_13 Depth=1
	s_or_b64 exec, exec, s[48:49]
	v_add_u32_e32 v18, s19, v10
	v_add_u32_e32 v22, s52, v2
	s_and_saveexec_b64 s[48:49], s[30:31]
	s_cbranch_execz .LBB63_19
; %bb.18:                               ;   in Loop: Header=BB63_13 Depth=1
	v_add3_u32 v19, v8, v15, 64
	v_cndmask_b32_e32 v24, v22, v19, vcc
	v_ashrrev_i32_e32 v25, 31, v24
	v_lshlrev_b64 v[24:25], 3, v[24:25]
	v_mov_b32_e32 v19, s23
	v_add_co_u32_e64 v24, s[0:1], s22, v24
	v_addc_co_u32_e64 v25, s[0:1], v19, v25, s[0:1]
	global_load_dwordx2 v[24:25], v[24:25], off
	v_add3_u32 v26, v8, v7, 64
	v_ashrrev_i32_e32 v27, 31, v26
	v_lshlrev_b64 v[28:29], 2, v[26:27]
	v_mov_b32_e32 v19, s25
	v_add_co_u32_e64 v28, s[0:1], s24, v28
	v_addc_co_u32_e64 v29, s[0:1], v19, v29, s[0:1]
	v_lshlrev_b64 v[26:27], 3, v[26:27]
	v_mov_b32_e32 v19, s21
	v_add_co_u32_e64 v26, s[0:1], s20, v26
	v_addc_co_u32_e64 v27, s[0:1], v19, v27, s[0:1]
	global_store_dword v[28:29], v18, off
	s_waitcnt vmcnt(1)
	global_store_dwordx2 v[26:27], v[24:25], off
.LBB63_19:                              ;   in Loop: Header=BB63_13 Depth=1
	s_or_b64 exec, exec, s[48:49]
	v_add_u32_e32 v19, s19, v11
	v_add_u32_e32 v23, s52, v0
	s_and_saveexec_b64 s[48:49], s[34:35]
	s_cbranch_execnz .LBB63_32
; %bb.20:                               ;   in Loop: Header=BB63_13 Depth=1
	s_or_b64 exec, exec, s[48:49]
	v_add_u32_e32 v24, v8, v12
	s_and_saveexec_b64 s[48:49], s[36:37]
	s_cbranch_execnz .LBB63_33
.LBB63_21:                              ;   in Loop: Header=BB63_13 Depth=1
	s_or_b64 exec, exec, s[48:49]
	s_and_saveexec_b64 s[48:49], s[38:39]
	s_cbranch_execnz .LBB63_34
.LBB63_22:                              ;   in Loop: Header=BB63_13 Depth=1
	s_or_b64 exec, exec, s[48:49]
	s_and_saveexec_b64 s[48:49], s[40:41]
	s_cbranch_execnz .LBB63_35
.LBB63_23:                              ;   in Loop: Header=BB63_13 Depth=1
	s_or_b64 exec, exec, s[48:49]
	s_and_saveexec_b64 s[48:49], s[2:3]
	s_cbranch_execnz .LBB63_36
.LBB63_24:                              ;   in Loop: Header=BB63_13 Depth=1
	s_or_b64 exec, exec, s[48:49]
	v_add_u32_e32 v24, v8, v13
	s_and_saveexec_b64 s[48:49], s[42:43]
	s_cbranch_execnz .LBB63_37
.LBB63_25:                              ;   in Loop: Header=BB63_13 Depth=1
	s_or_b64 exec, exec, s[48:49]
	s_and_saveexec_b64 s[48:49], s[44:45]
	s_cbranch_execnz .LBB63_38
.LBB63_26:                              ;   in Loop: Header=BB63_13 Depth=1
	s_or_b64 exec, exec, s[48:49]
	s_and_saveexec_b64 s[48:49], s[46:47]
	s_cbranch_execnz .LBB63_39
.LBB63_27:                              ;   in Loop: Header=BB63_13 Depth=1
	s_or_b64 exec, exec, s[48:49]
	s_and_saveexec_b64 s[48:49], s[6:7]
	s_cbranch_execnz .LBB63_40
.LBB63_28:                              ;   in Loop: Header=BB63_13 Depth=1
	s_or_b64 exec, exec, s[48:49]
	v_add_u32_e32 v24, v8, v14
	s_and_saveexec_b64 s[48:49], s[4:5]
	s_cbranch_execnz .LBB63_41
.LBB63_29:                              ;   in Loop: Header=BB63_13 Depth=1
	s_or_b64 exec, exec, s[48:49]
	s_and_saveexec_b64 s[48:49], s[10:11]
	s_cbranch_execnz .LBB63_42
.LBB63_30:                              ;   in Loop: Header=BB63_13 Depth=1
	s_or_b64 exec, exec, s[48:49]
	s_and_saveexec_b64 s[48:49], s[12:13]
	s_cbranch_execnz .LBB63_43
.LBB63_31:                              ;   in Loop: Header=BB63_13 Depth=1
	s_or_b64 exec, exec, s[48:49]
	s_and_saveexec_b64 s[48:49], s[8:9]
	s_cbranch_execz .LBB63_12
	s_branch .LBB63_44
.LBB63_32:                              ;   in Loop: Header=BB63_13 Depth=1
	v_add3_u32 v24, v8, v15, s53
	v_cndmask_b32_e32 v24, v23, v24, vcc
	v_ashrrev_i32_e32 v25, 31, v24
	v_lshlrev_b64 v[24:25], 3, v[24:25]
	v_mov_b32_e32 v26, s23
	v_add_co_u32_e64 v24, s[0:1], s22, v24
	v_addc_co_u32_e64 v25, s[0:1], v26, v25, s[0:1]
	global_load_dwordx2 v[24:25], v[24:25], off
	v_add3_u32 v26, v8, v7, s53
	v_ashrrev_i32_e32 v27, 31, v26
	v_lshlrev_b64 v[28:29], 2, v[26:27]
	v_mov_b32_e32 v30, s25
	v_add_co_u32_e64 v28, s[0:1], s24, v28
	v_addc_co_u32_e64 v29, s[0:1], v30, v29, s[0:1]
	v_lshlrev_b64 v[26:27], 3, v[26:27]
	global_store_dword v[28:29], v19, off
	v_mov_b32_e32 v28, s21
	v_add_co_u32_e64 v26, s[0:1], s20, v26
	v_addc_co_u32_e64 v27, s[0:1], v28, v27, s[0:1]
	s_waitcnt vmcnt(1)
	global_store_dwordx2 v[26:27], v[24:25], off
	s_or_b64 exec, exec, s[48:49]
	v_add_u32_e32 v24, v8, v12
	s_and_saveexec_b64 s[48:49], s[36:37]
	s_cbranch_execz .LBB63_21
.LBB63_33:                              ;   in Loop: Header=BB63_13 Depth=1
	v_add3_u32 v25, v6, s52, 32
	v_cndmask_b32_e32 v26, v25, v24, vcc
	v_ashrrev_i32_e32 v27, 31, v26
	v_lshlrev_b64 v[26:27], 3, v[26:27]
	v_mov_b32_e32 v25, s23
	v_add_co_u32_e64 v26, s[0:1], s22, v26
	v_addc_co_u32_e64 v27, s[0:1], v25, v27, s[0:1]
	global_load_dwordx2 v[26:27], v[26:27], off
	v_add_u32_e32 v28, v8, v1
	v_ashrrev_i32_e32 v29, 31, v28
	v_lshlrev_b64 v[30:31], 2, v[28:29]
	v_mov_b32_e32 v25, s25
	v_add_co_u32_e64 v30, s[0:1], s24, v30
	v_addc_co_u32_e64 v31, s[0:1], v25, v31, s[0:1]
	v_lshlrev_b64 v[28:29], 3, v[28:29]
	v_mov_b32_e32 v25, s21
	v_add_co_u32_e64 v28, s[0:1], s20, v28
	v_addc_co_u32_e64 v29, s[0:1], v25, v29, s[0:1]
	global_store_dword v[30:31], v16, off
	s_waitcnt vmcnt(1)
	global_store_dwordx2 v[28:29], v[26:27], off
	s_or_b64 exec, exec, s[48:49]
	s_and_saveexec_b64 s[48:49], s[38:39]
	s_cbranch_execz .LBB63_22
.LBB63_34:                              ;   in Loop: Header=BB63_13 Depth=1
	v_cndmask_b32_e32 v24, v21, v24, vcc
	v_add_u32_e32 v24, 32, v24
	v_ashrrev_i32_e32 v25, 31, v24
	v_lshlrev_b64 v[24:25], 3, v[24:25]
	v_mov_b32_e32 v26, s23
	v_add_co_u32_e64 v24, s[0:1], s22, v24
	v_addc_co_u32_e64 v25, s[0:1], v26, v25, s[0:1]
	global_load_dwordx2 v[24:25], v[24:25], off
	v_add3_u32 v26, v8, v1, 32
	v_ashrrev_i32_e32 v27, 31, v26
	v_lshlrev_b64 v[28:29], 2, v[26:27]
	v_mov_b32_e32 v30, s25
	v_add_co_u32_e64 v28, s[0:1], s24, v28
	v_addc_co_u32_e64 v29, s[0:1], v30, v29, s[0:1]
	v_lshlrev_b64 v[26:27], 3, v[26:27]
	global_store_dword v[28:29], v17, off
	v_mov_b32_e32 v28, s21
	v_add_co_u32_e64 v26, s[0:1], s20, v26
	v_addc_co_u32_e64 v27, s[0:1], v28, v27, s[0:1]
	s_waitcnt vmcnt(1)
	global_store_dwordx2 v[26:27], v[24:25], off
	s_or_b64 exec, exec, s[48:49]
	s_and_saveexec_b64 s[48:49], s[40:41]
	s_cbranch_execz .LBB63_23
.LBB63_35:                              ;   in Loop: Header=BB63_13 Depth=1
	v_add3_u32 v24, v8, v12, 64
	v_add3_u32 v25, v2, s52, 32
	v_cndmask_b32_e32 v24, v25, v24, vcc
	v_ashrrev_i32_e32 v25, 31, v24
	v_lshlrev_b64 v[24:25], 3, v[24:25]
	v_mov_b32_e32 v26, s23
	v_add_co_u32_e64 v24, s[0:1], s22, v24
	v_addc_co_u32_e64 v25, s[0:1], v26, v25, s[0:1]
	global_load_dwordx2 v[24:25], v[24:25], off
	v_add3_u32 v26, v8, v1, 64
	v_ashrrev_i32_e32 v27, 31, v26
	v_lshlrev_b64 v[28:29], 2, v[26:27]
	v_mov_b32_e32 v30, s25
	v_add_co_u32_e64 v28, s[0:1], s24, v28
	v_addc_co_u32_e64 v29, s[0:1], v30, v29, s[0:1]
	v_lshlrev_b64 v[26:27], 3, v[26:27]
	global_store_dword v[28:29], v18, off
	v_mov_b32_e32 v28, s21
	v_add_co_u32_e64 v26, s[0:1], s20, v26
	v_addc_co_u32_e64 v27, s[0:1], v28, v27, s[0:1]
	s_waitcnt vmcnt(1)
	global_store_dwordx2 v[26:27], v[24:25], off
	s_or_b64 exec, exec, s[48:49]
	s_and_saveexec_b64 s[48:49], s[2:3]
	s_cbranch_execz .LBB63_24
.LBB63_36:                              ;   in Loop: Header=BB63_13 Depth=1
	v_add3_u32 v24, v8, v12, s53
	v_add3_u32 v25, v0, s52, 32
	v_cndmask_b32_e32 v24, v25, v24, vcc
	v_ashrrev_i32_e32 v25, 31, v24
	v_lshlrev_b64 v[24:25], 3, v[24:25]
	v_mov_b32_e32 v26, s23
	v_add_co_u32_e64 v24, s[0:1], s22, v24
	v_addc_co_u32_e64 v25, s[0:1], v26, v25, s[0:1]
	global_load_dwordx2 v[24:25], v[24:25], off
	v_add3_u32 v26, v8, v1, s53
	v_ashrrev_i32_e32 v27, 31, v26
	v_lshlrev_b64 v[28:29], 2, v[26:27]
	v_mov_b32_e32 v30, s25
	v_add_co_u32_e64 v28, s[0:1], s24, v28
	v_addc_co_u32_e64 v29, s[0:1], v30, v29, s[0:1]
	v_lshlrev_b64 v[26:27], 3, v[26:27]
	global_store_dword v[28:29], v19, off
	v_mov_b32_e32 v28, s21
	v_add_co_u32_e64 v26, s[0:1], s20, v26
	v_addc_co_u32_e64 v27, s[0:1], v28, v27, s[0:1]
	s_waitcnt vmcnt(1)
	global_store_dwordx2 v[26:27], v[24:25], off
	s_or_b64 exec, exec, s[48:49]
	v_add_u32_e32 v24, v8, v13
	s_and_saveexec_b64 s[48:49], s[42:43]
	s_cbranch_execz .LBB63_25
.LBB63_37:                              ;   in Loop: Header=BB63_13 Depth=1
	v_add3_u32 v25, v6, s52, 64
	v_cndmask_b32_e32 v26, v25, v24, vcc
	v_ashrrev_i32_e32 v27, 31, v26
	v_lshlrev_b64 v[26:27], 3, v[26:27]
	v_mov_b32_e32 v25, s23
	v_add_co_u32_e64 v26, s[0:1], s22, v26
	v_addc_co_u32_e64 v27, s[0:1], v25, v27, s[0:1]
	global_load_dwordx2 v[26:27], v[26:27], off
	v_add_u32_e32 v28, v8, v3
	v_ashrrev_i32_e32 v29, 31, v28
	v_lshlrev_b64 v[30:31], 2, v[28:29]
	v_mov_b32_e32 v25, s25
	v_add_co_u32_e64 v30, s[0:1], s24, v30
	v_addc_co_u32_e64 v31, s[0:1], v25, v31, s[0:1]
	v_lshlrev_b64 v[28:29], 3, v[28:29]
	v_mov_b32_e32 v25, s21
	v_add_co_u32_e64 v28, s[0:1], s20, v28
	v_addc_co_u32_e64 v29, s[0:1], v25, v29, s[0:1]
	global_store_dword v[30:31], v16, off
	s_waitcnt vmcnt(1)
	global_store_dwordx2 v[28:29], v[26:27], off
	s_or_b64 exec, exec, s[48:49]
	s_and_saveexec_b64 s[48:49], s[44:45]
	s_cbranch_execz .LBB63_26
.LBB63_38:                              ;   in Loop: Header=BB63_13 Depth=1
	v_add3_u32 v25, v8, v13, 32
	v_add3_u32 v26, v4, s52, 64
	v_cndmask_b32_e32 v26, v26, v25, vcc
	v_ashrrev_i32_e32 v27, 31, v26
	v_lshlrev_b64 v[26:27], 3, v[26:27]
	v_mov_b32_e32 v25, s23
	v_add_co_u32_e64 v26, s[0:1], s22, v26
	v_addc_co_u32_e64 v27, s[0:1], v25, v27, s[0:1]
	global_load_dwordx2 v[26:27], v[26:27], off
	v_add3_u32 v28, v8, v3, 32
	v_ashrrev_i32_e32 v29, 31, v28
	v_lshlrev_b64 v[30:31], 2, v[28:29]
	v_mov_b32_e32 v25, s25
	v_add_co_u32_e64 v30, s[0:1], s24, v30
	v_addc_co_u32_e64 v31, s[0:1], v25, v31, s[0:1]
	v_lshlrev_b64 v[28:29], 3, v[28:29]
	v_mov_b32_e32 v25, s21
	v_add_co_u32_e64 v28, s[0:1], s20, v28
	v_addc_co_u32_e64 v29, s[0:1], v25, v29, s[0:1]
	global_store_dword v[30:31], v17, off
	s_waitcnt vmcnt(1)
	global_store_dwordx2 v[28:29], v[26:27], off
	s_or_b64 exec, exec, s[48:49]
	s_and_saveexec_b64 s[48:49], s[46:47]
	s_cbranch_execz .LBB63_27
.LBB63_39:                              ;   in Loop: Header=BB63_13 Depth=1
	v_cndmask_b32_e32 v24, v22, v24, vcc
	v_add_u32_e32 v24, 64, v24
	v_ashrrev_i32_e32 v25, 31, v24
	v_lshlrev_b64 v[24:25], 3, v[24:25]
	v_mov_b32_e32 v26, s23
	v_add_co_u32_e64 v24, s[0:1], s22, v24
	v_addc_co_u32_e64 v25, s[0:1], v26, v25, s[0:1]
	global_load_dwordx2 v[24:25], v[24:25], off
	v_add3_u32 v26, v8, v3, 64
	v_ashrrev_i32_e32 v27, 31, v26
	v_lshlrev_b64 v[28:29], 2, v[26:27]
	v_mov_b32_e32 v30, s25
	v_add_co_u32_e64 v28, s[0:1], s24, v28
	v_addc_co_u32_e64 v29, s[0:1], v30, v29, s[0:1]
	v_lshlrev_b64 v[26:27], 3, v[26:27]
	global_store_dword v[28:29], v18, off
	v_mov_b32_e32 v28, s21
	v_add_co_u32_e64 v26, s[0:1], s20, v26
	v_addc_co_u32_e64 v27, s[0:1], v28, v27, s[0:1]
	s_waitcnt vmcnt(1)
	global_store_dwordx2 v[26:27], v[24:25], off
	s_or_b64 exec, exec, s[48:49]
	s_and_saveexec_b64 s[48:49], s[6:7]
	s_cbranch_execz .LBB63_28
.LBB63_40:                              ;   in Loop: Header=BB63_13 Depth=1
	v_add3_u32 v24, v8, v13, s53
	v_add3_u32 v25, v0, s52, 64
	v_cndmask_b32_e32 v24, v25, v24, vcc
	v_ashrrev_i32_e32 v25, 31, v24
	v_lshlrev_b64 v[24:25], 3, v[24:25]
	v_mov_b32_e32 v26, s23
	v_add_co_u32_e64 v24, s[0:1], s22, v24
	v_addc_co_u32_e64 v25, s[0:1], v26, v25, s[0:1]
	global_load_dwordx2 v[24:25], v[24:25], off
	v_add3_u32 v26, v8, v3, s53
	v_ashrrev_i32_e32 v27, 31, v26
	v_lshlrev_b64 v[28:29], 2, v[26:27]
	v_mov_b32_e32 v30, s25
	v_add_co_u32_e64 v28, s[0:1], s24, v28
	v_addc_co_u32_e64 v29, s[0:1], v30, v29, s[0:1]
	v_lshlrev_b64 v[26:27], 3, v[26:27]
	global_store_dword v[28:29], v19, off
	v_mov_b32_e32 v28, s21
	v_add_co_u32_e64 v26, s[0:1], s20, v26
	v_addc_co_u32_e64 v27, s[0:1], v28, v27, s[0:1]
	s_waitcnt vmcnt(1)
	global_store_dwordx2 v[26:27], v[24:25], off
	s_or_b64 exec, exec, s[48:49]
	v_add_u32_e32 v24, v8, v14
	s_and_saveexec_b64 s[48:49], s[4:5]
	s_cbranch_execz .LBB63_29
.LBB63_41:                              ;   in Loop: Header=BB63_13 Depth=1
	v_add_u32_e32 v20, 0x60, v20
	v_cndmask_b32_e32 v26, v20, v24, vcc
	v_ashrrev_i32_e32 v27, 31, v26
	v_lshlrev_b64 v[26:27], 3, v[26:27]
	v_mov_b32_e32 v20, s23
	v_add_co_u32_e64 v26, s[0:1], s22, v26
	v_addc_co_u32_e64 v27, s[0:1], v20, v27, s[0:1]
	global_load_dwordx2 v[26:27], v[26:27], off
	v_add_u32_e32 v28, v8, v5
	v_ashrrev_i32_e32 v29, 31, v28
	v_lshlrev_b64 v[30:31], 2, v[28:29]
	v_mov_b32_e32 v20, s25
	v_add_co_u32_e64 v30, s[0:1], s24, v30
	v_addc_co_u32_e64 v31, s[0:1], v20, v31, s[0:1]
	v_lshlrev_b64 v[28:29], 3, v[28:29]
	global_store_dword v[30:31], v16, off
	v_mov_b32_e32 v16, s21
	v_add_co_u32_e64 v28, s[0:1], s20, v28
	v_addc_co_u32_e64 v29, s[0:1], v16, v29, s[0:1]
	s_waitcnt vmcnt(1)
	global_store_dwordx2 v[28:29], v[26:27], off
	s_or_b64 exec, exec, s[48:49]
	s_and_saveexec_b64 s[48:49], s[10:11]
	s_cbranch_execz .LBB63_30
.LBB63_42:                              ;   in Loop: Header=BB63_13 Depth=1
	v_add3_u32 v16, v8, v14, 32
	v_add_u32_e32 v20, 0x60, v21
	v_cndmask_b32_e32 v20, v20, v16, vcc
	v_ashrrev_i32_e32 v21, 31, v20
	v_lshlrev_b64 v[20:21], 3, v[20:21]
	v_mov_b32_e32 v16, s23
	v_add_co_u32_e64 v20, s[0:1], s22, v20
	v_addc_co_u32_e64 v21, s[0:1], v16, v21, s[0:1]
	global_load_dwordx2 v[20:21], v[20:21], off
	v_add3_u32 v26, v8, v5, 32
	v_ashrrev_i32_e32 v27, 31, v26
	v_lshlrev_b64 v[28:29], 2, v[26:27]
	v_mov_b32_e32 v16, s25
	v_add_co_u32_e64 v28, s[0:1], s24, v28
	v_addc_co_u32_e64 v29, s[0:1], v16, v29, s[0:1]
	global_store_dword v[28:29], v17, off
	v_lshlrev_b64 v[16:17], 3, v[26:27]
	v_mov_b32_e32 v25, s21
	v_add_co_u32_e64 v16, s[0:1], s20, v16
	v_addc_co_u32_e64 v17, s[0:1], v25, v17, s[0:1]
	s_waitcnt vmcnt(1)
	global_store_dwordx2 v[16:17], v[20:21], off
	s_or_b64 exec, exec, s[48:49]
	s_and_saveexec_b64 s[48:49], s[12:13]
	s_cbranch_execz .LBB63_31
.LBB63_43:                              ;   in Loop: Header=BB63_13 Depth=1
	v_add3_u32 v16, v8, v14, 64
	v_add_u32_e32 v17, 0x60, v22
	v_cndmask_b32_e32 v16, v17, v16, vcc
	v_ashrrev_i32_e32 v17, 31, v16
	v_lshlrev_b64 v[16:17], 3, v[16:17]
	v_mov_b32_e32 v20, s23
	v_add_co_u32_e64 v16, s[0:1], s22, v16
	v_addc_co_u32_e64 v17, s[0:1], v20, v17, s[0:1]
	global_load_dwordx2 v[16:17], v[16:17], off
	v_add3_u32 v20, v8, v5, 64
	v_ashrrev_i32_e32 v21, 31, v20
	v_lshlrev_b64 v[26:27], 2, v[20:21]
	v_mov_b32_e32 v22, s25
	v_add_co_u32_e64 v26, s[0:1], s24, v26
	v_addc_co_u32_e64 v27, s[0:1], v22, v27, s[0:1]
	v_lshlrev_b64 v[20:21], 3, v[20:21]
	global_store_dword v[26:27], v18, off
	v_mov_b32_e32 v18, s21
	v_add_co_u32_e64 v20, s[0:1], s20, v20
	v_addc_co_u32_e64 v21, s[0:1], v18, v21, s[0:1]
	s_waitcnt vmcnt(1)
	global_store_dwordx2 v[20:21], v[16:17], off
	s_or_b64 exec, exec, s[48:49]
	s_and_saveexec_b64 s[48:49], s[8:9]
	s_cbranch_execz .LBB63_12
.LBB63_44:                              ;   in Loop: Header=BB63_13 Depth=1
	v_cndmask_b32_e32 v16, v23, v24, vcc
	v_add_u32_e32 v16, 0x60, v16
	v_ashrrev_i32_e32 v17, 31, v16
	v_lshlrev_b64 v[16:17], 3, v[16:17]
	v_mov_b32_e32 v18, s23
	v_add_co_u32_e64 v16, s[0:1], s22, v16
	v_addc_co_u32_e64 v17, s[0:1], v18, v17, s[0:1]
	global_load_dwordx2 v[16:17], v[16:17], off
	v_add3_u32 v20, v8, v5, s53
	v_ashrrev_i32_e32 v21, 31, v20
	v_lshlrev_b64 v[22:23], 2, v[20:21]
	v_mov_b32_e32 v18, s25
	v_add_co_u32_e64 v22, s[0:1], s24, v22
	v_addc_co_u32_e64 v23, s[0:1], v18, v23, s[0:1]
	global_store_dword v[22:23], v19, off
	v_lshlrev_b64 v[18:19], 3, v[20:21]
	v_mov_b32_e32 v20, s21
	v_add_co_u32_e64 v18, s[0:1], s20, v18
	v_addc_co_u32_e64 v19, s[0:1], v20, v19, s[0:1]
	s_waitcnt vmcnt(1)
	global_store_dwordx2 v[18:19], v[16:17], off
	s_branch .LBB63_12
.LBB63_45:
	s_endpgm
	.section	.rodata,"a",@progbits
	.p2align	6, 0x0
	.amdhsa_kernel _ZN9rocsparseL35bsr2csr_block_per_row_33_256_kernelILj1024ELj128ELj32EliiEEv20rocsparse_direction_T4_S2_21rocsparse_index_base_PKT2_PKT3_PKS2_S2_S3_PS4_PS7_PS2_
		.amdhsa_group_segment_fixed_size 0
		.amdhsa_private_segment_fixed_size 0
		.amdhsa_kernarg_size 72
		.amdhsa_user_sgpr_count 6
		.amdhsa_user_sgpr_private_segment_buffer 1
		.amdhsa_user_sgpr_dispatch_ptr 0
		.amdhsa_user_sgpr_queue_ptr 0
		.amdhsa_user_sgpr_kernarg_segment_ptr 1
		.amdhsa_user_sgpr_dispatch_id 0
		.amdhsa_user_sgpr_flat_scratch_init 0
		.amdhsa_user_sgpr_kernarg_preload_length 0
		.amdhsa_user_sgpr_kernarg_preload_offset 0
		.amdhsa_user_sgpr_private_segment_size 0
		.amdhsa_uses_dynamic_stack 0
		.amdhsa_system_sgpr_private_segment_wavefront_offset 0
		.amdhsa_system_sgpr_workgroup_id_x 1
		.amdhsa_system_sgpr_workgroup_id_y 0
		.amdhsa_system_sgpr_workgroup_id_z 0
		.amdhsa_system_sgpr_workgroup_info 0
		.amdhsa_system_vgpr_workitem_id 0
		.amdhsa_next_free_vgpr 32
		.amdhsa_next_free_sgpr 56
		.amdhsa_accum_offset 32
		.amdhsa_reserve_vcc 1
		.amdhsa_reserve_flat_scratch 0
		.amdhsa_float_round_mode_32 0
		.amdhsa_float_round_mode_16_64 0
		.amdhsa_float_denorm_mode_32 3
		.amdhsa_float_denorm_mode_16_64 3
		.amdhsa_dx10_clamp 1
		.amdhsa_ieee_mode 1
		.amdhsa_fp16_overflow 0
		.amdhsa_tg_split 0
		.amdhsa_exception_fp_ieee_invalid_op 0
		.amdhsa_exception_fp_denorm_src 0
		.amdhsa_exception_fp_ieee_div_zero 0
		.amdhsa_exception_fp_ieee_overflow 0
		.amdhsa_exception_fp_ieee_underflow 0
		.amdhsa_exception_fp_ieee_inexact 0
		.amdhsa_exception_int_div_zero 0
	.end_amdhsa_kernel
	.section	.text._ZN9rocsparseL35bsr2csr_block_per_row_33_256_kernelILj1024ELj128ELj32EliiEEv20rocsparse_direction_T4_S2_21rocsparse_index_base_PKT2_PKT3_PKS2_S2_S3_PS4_PS7_PS2_,"axG",@progbits,_ZN9rocsparseL35bsr2csr_block_per_row_33_256_kernelILj1024ELj128ELj32EliiEEv20rocsparse_direction_T4_S2_21rocsparse_index_base_PKT2_PKT3_PKS2_S2_S3_PS4_PS7_PS2_,comdat
.Lfunc_end63:
	.size	_ZN9rocsparseL35bsr2csr_block_per_row_33_256_kernelILj1024ELj128ELj32EliiEEv20rocsparse_direction_T4_S2_21rocsparse_index_base_PKT2_PKT3_PKS2_S2_S3_PS4_PS7_PS2_, .Lfunc_end63-_ZN9rocsparseL35bsr2csr_block_per_row_33_256_kernelILj1024ELj128ELj32EliiEEv20rocsparse_direction_T4_S2_21rocsparse_index_base_PKT2_PKT3_PKS2_S2_S3_PS4_PS7_PS2_
                                        ; -- End function
	.section	.AMDGPU.csdata,"",@progbits
; Kernel info:
; codeLenInByte = 3616
; NumSgprs: 60
; NumVgprs: 32
; NumAgprs: 0
; TotalNumVgprs: 32
; ScratchSize: 0
; MemoryBound: 0
; FloatMode: 240
; IeeeMode: 1
; LDSByteSize: 0 bytes/workgroup (compile time only)
; SGPRBlocks: 7
; VGPRBlocks: 3
; NumSGPRsForWavesPerEU: 60
; NumVGPRsForWavesPerEU: 32
; AccumOffset: 32
; Occupancy: 8
; WaveLimiterHint : 1
; COMPUTE_PGM_RSRC2:SCRATCH_EN: 0
; COMPUTE_PGM_RSRC2:USER_SGPR: 6
; COMPUTE_PGM_RSRC2:TRAP_HANDLER: 0
; COMPUTE_PGM_RSRC2:TGID_X_EN: 1
; COMPUTE_PGM_RSRC2:TGID_Y_EN: 0
; COMPUTE_PGM_RSRC2:TGID_Z_EN: 0
; COMPUTE_PGM_RSRC2:TIDIG_COMP_CNT: 0
; COMPUTE_PGM_RSRC3_GFX90A:ACCUM_OFFSET: 7
; COMPUTE_PGM_RSRC3_GFX90A:TG_SPLIT: 0
	.section	.text._ZN9rocsparseL35bsr2csr_block_per_row_33_256_kernelILj1024ELj256ELj32EliiEEv20rocsparse_direction_T4_S2_21rocsparse_index_base_PKT2_PKT3_PKS2_S2_S3_PS4_PS7_PS2_,"axG",@progbits,_ZN9rocsparseL35bsr2csr_block_per_row_33_256_kernelILj1024ELj256ELj32EliiEEv20rocsparse_direction_T4_S2_21rocsparse_index_base_PKT2_PKT3_PKS2_S2_S3_PS4_PS7_PS2_,comdat
	.globl	_ZN9rocsparseL35bsr2csr_block_per_row_33_256_kernelILj1024ELj256ELj32EliiEEv20rocsparse_direction_T4_S2_21rocsparse_index_base_PKT2_PKT3_PKS2_S2_S3_PS4_PS7_PS2_ ; -- Begin function _ZN9rocsparseL35bsr2csr_block_per_row_33_256_kernelILj1024ELj256ELj32EliiEEv20rocsparse_direction_T4_S2_21rocsparse_index_base_PKT2_PKT3_PKS2_S2_S3_PS4_PS7_PS2_
	.p2align	8
	.type	_ZN9rocsparseL35bsr2csr_block_per_row_33_256_kernelILj1024ELj256ELj32EliiEEv20rocsparse_direction_T4_S2_21rocsparse_index_base_PKT2_PKT3_PKS2_S2_S3_PS4_PS7_PS2_,@function
_ZN9rocsparseL35bsr2csr_block_per_row_33_256_kernelILj1024ELj256ELj32EliiEEv20rocsparse_direction_T4_S2_21rocsparse_index_base_PKT2_PKT3_PKS2_S2_S3_PS4_PS7_PS2_: ; @_ZN9rocsparseL35bsr2csr_block_per_row_33_256_kernelILj1024ELj256ELj32EliiEEv20rocsparse_direction_T4_S2_21rocsparse_index_base_PKT2_PKT3_PKS2_S2_S3_PS4_PS7_PS2_
; %bb.0:
	s_load_dwordx2 s[0:1], s[4:5], 0x18
	s_load_dwordx2 s[36:37], s[4:5], 0x28
	;; [unrolled: 1-line block ×3, first 2 shown]
	s_ashr_i32 s7, s6, 31
	s_lshl_b64 s[8:9], s[6:7], 2
	s_waitcnt lgkmcnt(0)
	s_add_u32 s0, s0, s8
	s_addc_u32 s1, s1, s9
	s_load_dwordx2 s[88:89], s[0:1], 0x0
	v_or_b32_e32 v1, s6, v0
	v_cmp_eq_u32_e32 vcc, 0, v1
	s_and_saveexec_b64 s[0:1], vcc
	s_cbranch_execz .LBB64_2
; %bb.1:
	v_mov_b32_e32 v1, 0
	v_mov_b32_e32 v2, s37
	global_store_dword v1, v2, s[2:3]
.LBB64_2:
	s_or_b64 exec, exec, s[0:1]
	s_load_dword s0, s[4:5], 0xc
                                        ; implicit-def: $vgpr57 : SGPR spill to VGPR lane
	v_lshrrev_b32_e32 v18, 5, v0
	s_mul_i32 s20, s6, s36
	s_waitcnt lgkmcnt(0)
	s_sub_i32 s38, s88, s0
	v_writelane_b32 v57, s0, 0
	s_sub_i32 s0, s89, s0
	s_mul_i32 s33, s38, s36
	s_mov_b32 s95, s0
	s_sub_i32 s90, s0, s38
	s_mul_i32 s0, s33, s36
	s_mul_i32 s21, s90, s36
	s_add_i32 s22, s0, s37
	s_add_i32 s22, s22, s21
	v_cmp_gt_i32_e64 s[0:1], s36, v18
	s_and_saveexec_b64 s[6:7], s[0:1]
	s_cbranch_execz .LBB64_4
; %bb.3:
	v_add_u32_e32 v2, s20, v18
	v_ashrrev_i32_e32 v3, 31, v2
	v_lshlrev_b64 v[2:3], 2, v[2:3]
	v_mul_lo_u32 v1, v18, s21
	v_mov_b32_e32 v4, s3
	v_add_co_u32_e32 v2, vcc, s2, v2
	v_add_u32_e32 v1, s22, v1
	v_addc_co_u32_e32 v3, vcc, v4, v3, vcc
	global_store_dword v[2:3], v1, off offset:4
.LBB64_4:
	s_or_b64 exec, exec, s[6:7]
	s_add_u32 s23, s2, 4
	v_or_b32_e32 v1, 32, v18
	s_addc_u32 s24, s3, 0
	v_cmp_gt_i32_e64 s[2:3], s36, v1
	s_and_saveexec_b64 s[6:7], s[2:3]
	s_cbranch_execz .LBB64_6
; %bb.5:
	s_ashr_i32 s8, s20, 31
	v_mov_b32_e32 v3, s8
	v_add_co_u32_e32 v2, vcc, s20, v18
	v_addc_co_u32_e32 v3, vcc, 0, v3, vcc
	v_lshlrev_b64 v[2:3], 2, v[2:3]
	v_mul_lo_u32 v1, v1, s21
	v_mov_b32_e32 v4, s24
	v_add_co_u32_e32 v2, vcc, s23, v2
	v_add_u32_e32 v1, s22, v1
	v_addc_co_u32_e32 v3, vcc, v4, v3, vcc
	global_store_dword v[2:3], v1, off offset:128
.LBB64_6:
	s_or_b64 exec, exec, s[6:7]
	v_or_b32_e32 v1, 64, v18
	v_cmp_gt_i32_e64 s[6:7], s36, v1
	s_and_saveexec_b64 s[8:9], s[6:7]
	s_cbranch_execz .LBB64_8
; %bb.7:
	s_ashr_i32 s10, s20, 31
	v_mov_b32_e32 v3, s10
	v_add_co_u32_e32 v2, vcc, s20, v18
	v_addc_co_u32_e32 v3, vcc, 0, v3, vcc
	v_lshlrev_b64 v[2:3], 2, v[2:3]
	v_mul_lo_u32 v1, v1, s21
	v_mov_b32_e32 v4, s24
	v_add_co_u32_e32 v2, vcc, s23, v2
	v_add_u32_e32 v1, s22, v1
	v_addc_co_u32_e32 v3, vcc, v4, v3, vcc
	global_store_dword v[2:3], v1, off offset:256
.LBB64_8:
	s_or_b64 exec, exec, s[8:9]
	v_or_b32_e32 v1, 0x60, v18
	;; [unrolled: 18-line block ×6, first 2 shown]
	v_cmp_gt_i32_e64 s[16:17], s36, v1
	s_and_saveexec_b64 s[18:19], s[16:17]
	s_cbranch_execz .LBB64_18
; %bb.17:
	v_mul_lo_u32 v1, v1, s21
	s_ashr_i32 s21, s20, 31
	v_mov_b32_e32 v3, s21
	v_add_co_u32_e32 v2, vcc, s20, v18
	v_addc_co_u32_e32 v3, vcc, 0, v3, vcc
	v_lshlrev_b64 v[2:3], 2, v[2:3]
	v_mov_b32_e32 v4, s24
	v_add_co_u32_e32 v2, vcc, s23, v2
	v_add_u32_e32 v1, s22, v1
	v_addc_co_u32_e32 v3, vcc, v4, v3, vcc
	global_store_dword v[2:3], v1, off offset:896
.LBB64_18:
	s_or_b64 exec, exec, s[18:19]
	s_cmp_lt_i32 s88, s89
	s_cbranch_scc0 .LBB64_149
; %bb.19:
	s_load_dword s22, s[4:5], 0x0
	v_and_b32_e32 v0, 31, v0
	v_or_b32_e32 v1, 32, v0
	v_add_u32_e32 v19, s33, v0
	v_add_u32_e32 v32, s33, v18
	v_cmp_gt_i32_e64 s[18:19], s36, v0
	s_waitcnt lgkmcnt(0)
	s_cmp_eq_u32 s22, 0
	v_mad_u64_u32 v[2:3], s[44:45], s36, v19, v[18:19]
	v_mad_u64_u32 v[4:5], s[44:45], s36, v32, v[0:1]
	s_cselect_b64 vcc, -1, 0
	s_and_b64 s[44:45], s[0:1], s[18:19]
	v_cmp_gt_i32_e64 s[20:21], s36, v1
	v_writelane_b32 v57, s44, 1
	v_or_b32_e32 v34, 64, v0
	v_writelane_b32 v57, s45, 2
	s_and_b64 s[44:45], s[0:1], s[20:21]
	v_cmp_gt_i32_e64 s[22:23], s36, v34
	v_writelane_b32 v57, s44, 3
	v_or_b32_e32 v35, 0x60, v0
	v_writelane_b32 v57, s45, 4
	;; [unrolled: 5-line block ×6, first 2 shown]
	s_and_b64 s[44:45], s[0:1], s[30:31]
	v_cmp_gt_i32_e64 s[34:35], s36, v39
	v_writelane_b32 v57, s44, 13
	v_writelane_b32 v57, s45, 14
	s_and_b64 s[0:1], s[0:1], s[34:35]
	v_writelane_b32 v57, s0, 15
	v_writelane_b32 v57, s1, 16
	s_and_b64 s[0:1], s[2:3], s[18:19]
	;; [unrolled: 3-line block ×21, first 2 shown]
	v_writelane_b32 v57, s0, 55
	v_writelane_b32 v57, s1, 56
	s_load_dwordx2 s[0:1], s[4:5], 0x20
	s_ashr_i32 s39, s38, 31
	s_and_b64 s[44:45], s[8:9], s[26:27]
	s_and_b64 s[46:47], s[8:9], s[28:29]
	s_and_b64 s[48:49], s[8:9], s[30:31]
	s_and_b64 s[8:9], s[8:9], s[34:35]
	s_and_b64 s[50:51], s[10:11], s[18:19]
	s_and_b64 s[52:53], s[10:11], s[20:21]
	s_and_b64 s[54:55], s[10:11], s[22:23]
	s_and_b64 s[56:57], s[10:11], s[24:25]
	s_and_b64 s[58:59], s[10:11], s[26:27]
	s_and_b64 s[60:61], s[10:11], s[28:29]
	s_and_b64 s[62:63], s[10:11], s[30:31]
	s_and_b64 s[10:11], s[10:11], s[34:35]
	s_and_b64 s[64:65], s[12:13], s[18:19]
	s_and_b64 s[66:67], s[12:13], s[20:21]
	s_and_b64 s[68:69], s[12:13], s[22:23]
	s_and_b64 s[70:71], s[12:13], s[24:25]
	s_and_b64 s[72:73], s[12:13], s[26:27]
	s_and_b64 s[2:3], s[12:13], s[28:29]
	s_and_b64 s[74:75], s[12:13], s[30:31]
	s_and_b64 s[12:13], s[12:13], s[34:35]
	s_and_b64 s[76:77], s[14:15], s[18:19]
	s_and_b64 s[78:79], s[14:15], s[20:21]
	s_and_b64 s[80:81], s[14:15], s[22:23]
	s_and_b64 s[82:83], s[14:15], s[24:25]
	s_and_b64 s[84:85], s[14:15], s[26:27]
	s_and_b64 s[86:87], s[14:15], s[28:29]
	s_and_b64 s[6:7], s[14:15], s[30:31]
	s_and_b64 s[14:15], s[14:15], s[34:35]
	s_and_b64 s[18:19], s[16:17], s[18:19]
	s_and_b64 s[20:21], s[16:17], s[20:21]
	s_and_b64 s[22:23], s[16:17], s[22:23]
	s_and_b64 s[24:25], s[16:17], s[24:25]
	s_and_b64 s[26:27], s[16:17], s[26:27]
	s_and_b64 s[28:29], s[16:17], s[28:29]
	s_and_b64 s[30:31], s[16:17], s[30:31]
	s_and_b64 s[16:17], s[16:17], s[34:35]
	s_lshl_b32 s91, s88, 7
	s_lshl_b32 s92, s88, 6
	;; [unrolled: 1-line block ×3, first 2 shown]
	s_lshl_b64 s[34:35], s[38:39], 2
	v_mul_lo_u32 v3, v18, s90
	s_waitcnt lgkmcnt(0)
	s_add_u32 s34, s0, s34
	v_add_u32_e32 v40, s33, v3
	s_mul_i32 s0, s89, 0xe0
	v_add_u32_e32 v3, s0, v40
	s_mul_i32 s0, s88, 0xe0
	v_subrev_u32_e32 v3, s0, v3
	s_mul_i32 s0, s89, 0xc0
	v_add_u32_e32 v5, s0, v40
	s_mul_i32 s0, s88, 0xc0
	v_subrev_u32_e32 v5, s0, v5
	;; [unrolled: 4-line block ×3, first 2 shown]
	v_lshl_add_u32 v6, s89, 7, v40
	s_mul_i32 s0, s89, 0x60
	v_subrev_u32_e32 v42, s91, v6
	v_add_u32_e32 v6, s0, v40
	s_mul_i32 s0, s88, 0x60
	v_lshl_add_u32 v7, s89, 6, v40
	v_subrev_u32_e32 v43, s0, v6
	v_add_u32_e32 v6, 0xe0, v19
	s_addc_u32 s35, s1, s35
	v_subrev_u32_e32 v44, s92, v7
	v_mad_u64_u32 v[6:7], s[0:1], s36, v6, v[18:19]
	v_lshl_add_u32 v8, s89, 5, v40
	v_add_u32_e32 v7, 0xc0, v19
	v_subrev_u32_e32 v45, s93, v8
	v_mad_u64_u32 v[8:9], s[0:1], s36, v7, v[18:19]
	v_add_u32_e32 v7, 0xa0, v19
	v_mad_u64_u32 v[10:11], s[0:1], s36, v7, v[18:19]
	v_add_u32_e32 v7, 0x80, v19
	;; [unrolled: 2-line block ×8, first 2 shown]
	s_load_dwordx2 s[40:41], s[4:5], 0x30
	s_load_dwordx2 s[42:43], s[4:5], 0x10
	v_mad_u64_u32 v[24:25], s[0:1], s36, v7, v[0:1]
	s_load_dwordx2 s[4:5], s[4:5], 0x40
	v_add_u32_e32 v7, 0x80, v32
	v_mad_u64_u32 v[26:27], s[0:1], s36, v7, v[0:1]
	v_add_u32_e32 v7, 0xa0, v32
	v_mad_u64_u32 v[28:29], s[0:1], s36, v7, v[0:1]
	;; [unrolled: 2-line block ×4, first 2 shown]
	v_mul_lo_u32 v3, s36, v3
	v_mul_lo_u32 v5, s36, v5
	;; [unrolled: 1-line block ×8, first 2 shown]
	v_cndmask_b32_e32 v19, v2, v4, vcc
	s_mov_b32 s39, 0
	s_movk_i32 s33, 0x60
	s_movk_i32 s90, 0x80
	;; [unrolled: 1-line block ×5, first 2 shown]
	s_branch .LBB64_21
.LBB64_20:                              ;   in Loop: Header=BB64_21 Depth=1
	s_or_b64 exec, exec, s[88:89]
	s_mul_i32 s0, s36, s36
	s_add_i32 s38, s38, 1
	s_add_i32 s39, s39, s0
	s_add_u32 s34, s34, 4
	s_addc_u32 s35, s35, 0
	v_add_u32_e32 v3, s36, v3
	v_add_u32_e32 v5, s36, v5
	;; [unrolled: 1-line block ×7, first 2 shown]
	s_cmp_ge_i32 s38, s95
	v_add_u32_e32 v17, s36, v17
	s_cbranch_scc1 .LBB64_149
.LBB64_21:                              ; =>This Inner Loop Header: Depth=1
	s_load_dword s0, s[34:35], 0x0
	v_readlane_b32 s1, v57, 0
	s_waitcnt lgkmcnt(0)
	s_sub_i32 s0, s0, s1
	s_mul_i32 s94, s0, s36
	s_add_i32 s94, s94, s37
	v_add_u32_e32 v21, s94, v0
	s_mov_b64 s[88:89], exec
	v_readlane_b32 s0, v57, 1
	v_readlane_b32 s1, v57, 2
	s_and_b64 s[0:1], s[88:89], s[0:1]
	s_mov_b64 exec, s[0:1]
	s_cbranch_execz .LBB64_23
; %bb.22:                               ;   in Loop: Header=BB64_21 Depth=1
	v_add_u32_e32 v40, s39, v19
	v_ashrrev_i32_e32 v41, 31, v40
	v_lshlrev_b64 v[40:41], 3, v[40:41]
	v_mov_b32_e32 v23, s43
	v_add_co_u32_e64 v40, s[0:1], s42, v40
	v_addc_co_u32_e64 v41, s[0:1], v23, v41, s[0:1]
	global_load_dwordx2 v[40:41], v[40:41], off
	v_add_u32_e32 v42, v0, v17
	v_ashrrev_i32_e32 v43, 31, v42
	v_lshlrev_b64 v[44:45], 2, v[42:43]
	v_mov_b32_e32 v23, s5
	v_add_co_u32_e64 v44, s[0:1], s4, v44
	v_addc_co_u32_e64 v45, s[0:1], v23, v45, s[0:1]
	v_lshlrev_b64 v[42:43], 3, v[42:43]
	v_mov_b32_e32 v23, s41
	v_add_co_u32_e64 v42, s[0:1], s40, v42
	v_addc_co_u32_e64 v43, s[0:1], v23, v43, s[0:1]
	global_store_dword v[44:45], v21, off
	s_waitcnt vmcnt(1)
	global_store_dwordx2 v[42:43], v[40:41], off
.LBB64_23:                              ;   in Loop: Header=BB64_21 Depth=1
	s_or_b64 exec, exec, s[88:89]
	v_add_u32_e32 v23, s94, v1
	v_add_u32_e32 v41, s39, v18
	s_mov_b64 s[88:89], exec
	v_readlane_b32 s0, v57, 3
	v_readlane_b32 s1, v57, 4
	s_and_b64 s[0:1], s[88:89], s[0:1]
	s_mov_b64 exec, s[0:1]
	s_cbranch_execz .LBB64_25
; %bb.24:                               ;   in Loop: Header=BB64_21 Depth=1
	v_add3_u32 v25, v4, s39, 32
	v_cndmask_b32_e32 v42, v41, v25, vcc
	v_ashrrev_i32_e32 v43, 31, v42
	v_lshlrev_b64 v[42:43], 3, v[42:43]
	v_mov_b32_e32 v25, s43
	v_add_co_u32_e64 v42, s[0:1], s42, v42
	v_addc_co_u32_e64 v43, s[0:1], v25, v43, s[0:1]
	global_load_dwordx2 v[42:43], v[42:43], off
	v_add3_u32 v44, v0, v17, 32
	v_ashrrev_i32_e32 v45, 31, v44
	v_lshlrev_b64 v[46:47], 2, v[44:45]
	v_mov_b32_e32 v25, s5
	v_add_co_u32_e64 v46, s[0:1], s4, v46
	v_addc_co_u32_e64 v47, s[0:1], v25, v47, s[0:1]
	v_lshlrev_b64 v[44:45], 3, v[44:45]
	v_mov_b32_e32 v25, s41
	v_add_co_u32_e64 v44, s[0:1], s40, v44
	v_addc_co_u32_e64 v45, s[0:1], v25, v45, s[0:1]
	global_store_dword v[46:47], v23, off
	s_waitcnt vmcnt(1)
	global_store_dwordx2 v[44:45], v[42:43], off
.LBB64_25:                              ;   in Loop: Header=BB64_21 Depth=1
	s_or_b64 exec, exec, s[88:89]
	v_add_u32_e32 v25, s94, v34
	v_add_u32_e32 v42, s39, v16
	s_mov_b64 s[88:89], exec
	v_readlane_b32 s0, v57, 5
	v_readlane_b32 s1, v57, 6
	s_and_b64 s[0:1], s[88:89], s[0:1]
	s_mov_b64 exec, s[0:1]
	s_cbranch_execz .LBB64_27
; %bb.26:                               ;   in Loop: Header=BB64_21 Depth=1
	v_add3_u32 v27, v4, s39, 64
	v_cndmask_b32_e32 v44, v42, v27, vcc
	v_ashrrev_i32_e32 v45, 31, v44
	v_lshlrev_b64 v[44:45], 3, v[44:45]
	v_mov_b32_e32 v27, s43
	v_add_co_u32_e64 v44, s[0:1], s42, v44
	v_addc_co_u32_e64 v45, s[0:1], v27, v45, s[0:1]
	global_load_dwordx2 v[44:45], v[44:45], off
	v_add3_u32 v46, v0, v17, 64
	v_ashrrev_i32_e32 v47, 31, v46
	v_lshlrev_b64 v[48:49], 2, v[46:47]
	v_mov_b32_e32 v27, s5
	v_add_co_u32_e64 v48, s[0:1], s4, v48
	v_addc_co_u32_e64 v49, s[0:1], v27, v49, s[0:1]
	v_lshlrev_b64 v[46:47], 3, v[46:47]
	v_mov_b32_e32 v27, s41
	v_add_co_u32_e64 v46, s[0:1], s40, v46
	v_addc_co_u32_e64 v47, s[0:1], v27, v47, s[0:1]
	global_store_dword v[48:49], v25, off
	s_waitcnt vmcnt(1)
	global_store_dwordx2 v[46:47], v[44:45], off
.LBB64_27:                              ;   in Loop: Header=BB64_21 Depth=1
	s_or_b64 exec, exec, s[88:89]
	v_add_u32_e32 v27, s94, v35
	v_add_u32_e32 v48, s39, v4
	;; [unrolled: 1-line block ×3, first 2 shown]
	s_mov_b64 s[88:89], exec
	v_readlane_b32 s0, v57, 7
	v_readlane_b32 s1, v57, 8
	s_and_b64 s[0:1], s[88:89], s[0:1]
	s_mov_b64 exec, s[0:1]
	s_cbranch_execz .LBB64_29
; %bb.28:                               ;   in Loop: Header=BB64_21 Depth=1
	v_add_u32_e32 v29, 0x60, v48
	v_cndmask_b32_e32 v44, v43, v29, vcc
	v_ashrrev_i32_e32 v45, 31, v44
	v_lshlrev_b64 v[44:45], 3, v[44:45]
	v_mov_b32_e32 v29, s43
	v_add_co_u32_e64 v44, s[0:1], s42, v44
	v_addc_co_u32_e64 v45, s[0:1], v29, v45, s[0:1]
	global_load_dwordx2 v[44:45], v[44:45], off
	v_add3_u32 v46, v0, v17, s33
	v_ashrrev_i32_e32 v47, 31, v46
	v_lshlrev_b64 v[50:51], 2, v[46:47]
	v_mov_b32_e32 v29, s5
	v_add_co_u32_e64 v50, s[0:1], s4, v50
	v_addc_co_u32_e64 v51, s[0:1], v29, v51, s[0:1]
	v_lshlrev_b64 v[46:47], 3, v[46:47]
	v_mov_b32_e32 v29, s41
	v_add_co_u32_e64 v46, s[0:1], s40, v46
	v_addc_co_u32_e64 v47, s[0:1], v29, v47, s[0:1]
	global_store_dword v[50:51], v27, off
	s_waitcnt vmcnt(1)
	global_store_dwordx2 v[46:47], v[44:45], off
.LBB64_29:                              ;   in Loop: Header=BB64_21 Depth=1
	s_or_b64 exec, exec, s[88:89]
	v_add_u32_e32 v29, s94, v36
	v_add_u32_e32 v44, s39, v12
	s_mov_b64 s[88:89], exec
	v_readlane_b32 s0, v57, 9
	v_readlane_b32 s1, v57, 10
	s_and_b64 s[0:1], s[88:89], s[0:1]
	s_mov_b64 exec, s[0:1]
	s_cbranch_execz .LBB64_31
; %bb.30:                               ;   in Loop: Header=BB64_21 Depth=1
	v_add_u32_e32 v31, 0x80, v48
	v_cndmask_b32_e32 v46, v44, v31, vcc
	v_ashrrev_i32_e32 v47, 31, v46
	v_lshlrev_b64 v[46:47], 3, v[46:47]
	v_mov_b32_e32 v31, s43
	v_add_co_u32_e64 v46, s[0:1], s42, v46
	v_addc_co_u32_e64 v47, s[0:1], v31, v47, s[0:1]
	global_load_dwordx2 v[46:47], v[46:47], off
	v_add3_u32 v50, v0, v17, s90
	v_ashrrev_i32_e32 v51, 31, v50
	v_lshlrev_b64 v[52:53], 2, v[50:51]
	v_mov_b32_e32 v31, s5
	v_add_co_u32_e64 v52, s[0:1], s4, v52
	v_addc_co_u32_e64 v53, s[0:1], v31, v53, s[0:1]
	v_lshlrev_b64 v[50:51], 3, v[50:51]
	v_mov_b32_e32 v31, s41
	v_add_co_u32_e64 v50, s[0:1], s40, v50
	v_addc_co_u32_e64 v51, s[0:1], v31, v51, s[0:1]
	global_store_dword v[52:53], v29, off
	s_waitcnt vmcnt(1)
	global_store_dwordx2 v[50:51], v[46:47], off
.LBB64_31:                              ;   in Loop: Header=BB64_21 Depth=1
	s_or_b64 exec, exec, s[88:89]
	v_add_u32_e32 v31, s94, v37
	v_add_u32_e32 v45, s39, v10
	;; [unrolled: 32-line block ×4, first 2 shown]
	s_mov_b64 s[88:89], exec
	v_readlane_b32 s0, v57, 15
	v_readlane_b32 s1, v57, 16
	s_and_b64 s[0:1], s[88:89], s[0:1]
	s_mov_b64 exec, s[0:1]
	s_cbranch_execz .LBB64_37
; %bb.36:                               ;   in Loop: Header=BB64_21 Depth=1
	v_add_u32_e32 v48, 0xe0, v48
	v_cndmask_b32_e32 v48, v47, v48, vcc
	v_ashrrev_i32_e32 v49, 31, v48
	v_lshlrev_b64 v[48:49], 3, v[48:49]
	v_mov_b32_e32 v50, s43
	v_add_co_u32_e64 v48, s[0:1], s42, v48
	v_addc_co_u32_e64 v49, s[0:1], v50, v49, s[0:1]
	global_load_dwordx2 v[48:49], v[48:49], off
	v_add3_u32 v50, v0, v17, s93
	v_ashrrev_i32_e32 v51, 31, v50
	v_lshlrev_b64 v[52:53], 2, v[50:51]
	v_mov_b32_e32 v54, s5
	v_add_co_u32_e64 v52, s[0:1], s4, v52
	v_addc_co_u32_e64 v53, s[0:1], v54, v53, s[0:1]
	v_lshlrev_b64 v[50:51], 3, v[50:51]
	global_store_dword v[52:53], v40, off
	v_mov_b32_e32 v52, s41
	v_add_co_u32_e64 v50, s[0:1], s40, v50
	v_addc_co_u32_e64 v51, s[0:1], v52, v51, s[0:1]
	s_waitcnt vmcnt(1)
	global_store_dwordx2 v[50:51], v[48:49], off
.LBB64_37:                              ;   in Loop: Header=BB64_21 Depth=1
	s_or_b64 exec, exec, s[88:89]
	v_add_u32_e32 v48, s39, v20
	s_mov_b64 s[88:89], exec
	v_readlane_b32 s0, v57, 17
	v_readlane_b32 s1, v57, 18
	s_and_b64 s[0:1], s[88:89], s[0:1]
	s_mov_b64 exec, s[0:1]
	s_cbranch_execz .LBB64_39
; %bb.38:                               ;   in Loop: Header=BB64_21 Depth=1
	v_add3_u32 v49, v2, s39, 32
	v_cndmask_b32_e32 v50, v49, v48, vcc
	v_ashrrev_i32_e32 v51, 31, v50
	v_lshlrev_b64 v[50:51], 3, v[50:51]
	v_mov_b32_e32 v49, s43
	v_add_co_u32_e64 v50, s[0:1], s42, v50
	v_addc_co_u32_e64 v51, s[0:1], v49, v51, s[0:1]
	global_load_dwordx2 v[50:51], v[50:51], off
	v_add_u32_e32 v52, v0, v15
	v_ashrrev_i32_e32 v53, 31, v52
	v_lshlrev_b64 v[54:55], 2, v[52:53]
	v_mov_b32_e32 v49, s5
	v_add_co_u32_e64 v54, s[0:1], s4, v54
	v_addc_co_u32_e64 v55, s[0:1], v49, v55, s[0:1]
	v_lshlrev_b64 v[52:53], 3, v[52:53]
	v_mov_b32_e32 v49, s41
	v_add_co_u32_e64 v52, s[0:1], s40, v52
	v_addc_co_u32_e64 v53, s[0:1], v49, v53, s[0:1]
	global_store_dword v[54:55], v21, off
	s_waitcnt vmcnt(1)
	global_store_dwordx2 v[52:53], v[50:51], off
.LBB64_39:                              ;   in Loop: Header=BB64_21 Depth=1
	s_or_b64 exec, exec, s[88:89]
	s_mov_b64 s[88:89], exec
	v_readlane_b32 s0, v57, 19
	v_readlane_b32 s1, v57, 20
	s_and_b64 s[0:1], s[88:89], s[0:1]
	s_mov_b64 exec, s[0:1]
	s_cbranch_execz .LBB64_41
; %bb.40:                               ;   in Loop: Header=BB64_21 Depth=1
	v_cndmask_b32_e32 v49, v18, v20, vcc
	v_add3_u32 v50, v49, s39, 32
	v_ashrrev_i32_e32 v51, 31, v50
	v_lshlrev_b64 v[50:51], 3, v[50:51]
	v_mov_b32_e32 v49, s43
	v_add_co_u32_e64 v50, s[0:1], s42, v50
	v_addc_co_u32_e64 v51, s[0:1], v49, v51, s[0:1]
	global_load_dwordx2 v[50:51], v[50:51], off
	v_add3_u32 v52, v0, v15, 32
	v_ashrrev_i32_e32 v53, 31, v52
	v_lshlrev_b64 v[54:55], 2, v[52:53]
	v_mov_b32_e32 v49, s5
	v_add_co_u32_e64 v54, s[0:1], s4, v54
	v_addc_co_u32_e64 v55, s[0:1], v49, v55, s[0:1]
	v_lshlrev_b64 v[52:53], 3, v[52:53]
	v_mov_b32_e32 v49, s41
	v_add_co_u32_e64 v52, s[0:1], s40, v52
	v_addc_co_u32_e64 v53, s[0:1], v49, v53, s[0:1]
	global_store_dword v[54:55], v23, off
	s_waitcnt vmcnt(1)
	global_store_dwordx2 v[52:53], v[50:51], off
.LBB64_41:                              ;   in Loop: Header=BB64_21 Depth=1
	s_or_b64 exec, exec, s[88:89]
	s_mov_b64 s[88:89], exec
	v_readlane_b32 s0, v57, 21
	v_readlane_b32 s1, v57, 22
	s_and_b64 s[0:1], s[88:89], s[0:1]
	s_mov_b64 exec, s[0:1]
	s_cbranch_execz .LBB64_43
; %bb.42:                               ;   in Loop: Header=BB64_21 Depth=1
	v_add3_u32 v49, v20, s39, 64
	v_add3_u32 v50, v16, s39, 32
	v_cndmask_b32_e32 v50, v50, v49, vcc
	v_ashrrev_i32_e32 v51, 31, v50
	v_lshlrev_b64 v[50:51], 3, v[50:51]
	v_mov_b32_e32 v49, s43
	v_add_co_u32_e64 v50, s[0:1], s42, v50
	v_addc_co_u32_e64 v51, s[0:1], v49, v51, s[0:1]
	global_load_dwordx2 v[50:51], v[50:51], off
	v_add3_u32 v52, v0, v15, 64
	v_ashrrev_i32_e32 v53, 31, v52
	v_lshlrev_b64 v[54:55], 2, v[52:53]
	v_mov_b32_e32 v49, s5
	v_add_co_u32_e64 v54, s[0:1], s4, v54
	v_addc_co_u32_e64 v55, s[0:1], v49, v55, s[0:1]
	v_lshlrev_b64 v[52:53], 3, v[52:53]
	v_mov_b32_e32 v49, s41
	v_add_co_u32_e64 v52, s[0:1], s40, v52
	v_addc_co_u32_e64 v53, s[0:1], v49, v53, s[0:1]
	global_store_dword v[54:55], v25, off
	s_waitcnt vmcnt(1)
	global_store_dwordx2 v[52:53], v[50:51], off
.LBB64_43:                              ;   in Loop: Header=BB64_21 Depth=1
	s_or_b64 exec, exec, s[88:89]
	s_mov_b64 s[88:89], exec
	v_readlane_b32 s0, v57, 23
	v_readlane_b32 s1, v57, 24
	s_and_b64 s[0:1], s[88:89], s[0:1]
	s_mov_b64 exec, s[0:1]
	s_cbranch_execz .LBB64_45
; %bb.44:                               ;   in Loop: Header=BB64_21 Depth=1
	v_add_u32_e32 v49, 0x60, v48
	v_add3_u32 v50, v14, s39, 32
	v_cndmask_b32_e32 v50, v50, v49, vcc
	v_ashrrev_i32_e32 v51, 31, v50
	v_lshlrev_b64 v[50:51], 3, v[50:51]
	v_mov_b32_e32 v49, s43
	v_add_co_u32_e64 v50, s[0:1], s42, v50
	v_addc_co_u32_e64 v51, s[0:1], v49, v51, s[0:1]
	global_load_dwordx2 v[50:51], v[50:51], off
	v_add3_u32 v52, v0, v15, s33
	v_ashrrev_i32_e32 v53, 31, v52
	v_lshlrev_b64 v[54:55], 2, v[52:53]
	v_mov_b32_e32 v49, s5
	v_add_co_u32_e64 v54, s[0:1], s4, v54
	v_addc_co_u32_e64 v55, s[0:1], v49, v55, s[0:1]
	v_lshlrev_b64 v[52:53], 3, v[52:53]
	v_mov_b32_e32 v49, s41
	v_add_co_u32_e64 v52, s[0:1], s40, v52
	v_addc_co_u32_e64 v53, s[0:1], v49, v53, s[0:1]
	global_store_dword v[54:55], v27, off
	s_waitcnt vmcnt(1)
	global_store_dwordx2 v[52:53], v[50:51], off
.LBB64_45:                              ;   in Loop: Header=BB64_21 Depth=1
	s_or_b64 exec, exec, s[88:89]
	s_mov_b64 s[88:89], exec
	v_readlane_b32 s0, v57, 25
	v_readlane_b32 s1, v57, 26
	s_and_b64 s[0:1], s[88:89], s[0:1]
	s_mov_b64 exec, s[0:1]
	s_cbranch_execz .LBB64_47
; %bb.46:                               ;   in Loop: Header=BB64_21 Depth=1
	v_add_u32_e32 v49, 0x80, v48
	v_add3_u32 v50, v12, s39, 32
	v_cndmask_b32_e32 v50, v50, v49, vcc
	v_ashrrev_i32_e32 v51, 31, v50
	v_lshlrev_b64 v[50:51], 3, v[50:51]
	v_mov_b32_e32 v49, s43
	v_add_co_u32_e64 v50, s[0:1], s42, v50
	v_addc_co_u32_e64 v51, s[0:1], v49, v51, s[0:1]
	global_load_dwordx2 v[50:51], v[50:51], off
	v_add3_u32 v52, v0, v15, s90
	v_ashrrev_i32_e32 v53, 31, v52
	v_lshlrev_b64 v[54:55], 2, v[52:53]
	v_mov_b32_e32 v49, s5
	v_add_co_u32_e64 v54, s[0:1], s4, v54
	v_addc_co_u32_e64 v55, s[0:1], v49, v55, s[0:1]
	v_lshlrev_b64 v[52:53], 3, v[52:53]
	v_mov_b32_e32 v49, s41
	v_add_co_u32_e64 v52, s[0:1], s40, v52
	v_addc_co_u32_e64 v53, s[0:1], v49, v53, s[0:1]
	global_store_dword v[54:55], v29, off
	s_waitcnt vmcnt(1)
	global_store_dwordx2 v[52:53], v[50:51], off
.LBB64_47:                              ;   in Loop: Header=BB64_21 Depth=1
	;; [unrolled: 31-line block ×4, first 2 shown]
	s_or_b64 exec, exec, s[88:89]
	s_mov_b64 s[88:89], exec
	v_readlane_b32 s0, v57, 31
	v_readlane_b32 s1, v57, 32
	s_and_b64 s[0:1], s[88:89], s[0:1]
	s_mov_b64 exec, s[0:1]
	s_cbranch_execz .LBB64_53
; %bb.52:                               ;   in Loop: Header=BB64_21 Depth=1
	v_add_u32_e32 v48, 0xe0, v48
	v_add3_u32 v49, v6, s39, 32
	v_cndmask_b32_e32 v48, v49, v48, vcc
	v_ashrrev_i32_e32 v49, 31, v48
	v_lshlrev_b64 v[48:49], 3, v[48:49]
	v_mov_b32_e32 v50, s43
	v_add_co_u32_e64 v48, s[0:1], s42, v48
	v_addc_co_u32_e64 v49, s[0:1], v50, v49, s[0:1]
	global_load_dwordx2 v[48:49], v[48:49], off
	v_add3_u32 v50, v0, v15, s93
	v_ashrrev_i32_e32 v51, 31, v50
	v_lshlrev_b64 v[52:53], 2, v[50:51]
	v_mov_b32_e32 v54, s5
	v_add_co_u32_e64 v52, s[0:1], s4, v52
	v_addc_co_u32_e64 v53, s[0:1], v54, v53, s[0:1]
	v_lshlrev_b64 v[50:51], 3, v[50:51]
	global_store_dword v[52:53], v40, off
	v_mov_b32_e32 v52, s41
	v_add_co_u32_e64 v50, s[0:1], s40, v50
	v_addc_co_u32_e64 v51, s[0:1], v52, v51, s[0:1]
	s_waitcnt vmcnt(1)
	global_store_dwordx2 v[50:51], v[48:49], off
.LBB64_53:                              ;   in Loop: Header=BB64_21 Depth=1
	s_or_b64 exec, exec, s[88:89]
	v_add_u32_e32 v48, s39, v22
	s_mov_b64 s[88:89], exec
	v_readlane_b32 s0, v57, 33
	v_readlane_b32 s1, v57, 34
	s_and_b64 s[0:1], s[88:89], s[0:1]
	s_mov_b64 exec, s[0:1]
	s_cbranch_execz .LBB64_55
; %bb.54:                               ;   in Loop: Header=BB64_21 Depth=1
	v_add3_u32 v49, v2, s39, 64
	v_cndmask_b32_e32 v50, v49, v48, vcc
	v_ashrrev_i32_e32 v51, 31, v50
	v_lshlrev_b64 v[50:51], 3, v[50:51]
	v_mov_b32_e32 v49, s43
	v_add_co_u32_e64 v50, s[0:1], s42, v50
	v_addc_co_u32_e64 v51, s[0:1], v49, v51, s[0:1]
	global_load_dwordx2 v[50:51], v[50:51], off
	v_add_u32_e32 v52, v0, v13
	v_ashrrev_i32_e32 v53, 31, v52
	v_lshlrev_b64 v[54:55], 2, v[52:53]
	v_mov_b32_e32 v49, s5
	v_add_co_u32_e64 v54, s[0:1], s4, v54
	v_addc_co_u32_e64 v55, s[0:1], v49, v55, s[0:1]
	v_lshlrev_b64 v[52:53], 3, v[52:53]
	v_mov_b32_e32 v49, s41
	v_add_co_u32_e64 v52, s[0:1], s40, v52
	v_addc_co_u32_e64 v53, s[0:1], v49, v53, s[0:1]
	global_store_dword v[54:55], v21, off
	s_waitcnt vmcnt(1)
	global_store_dwordx2 v[52:53], v[50:51], off
.LBB64_55:                              ;   in Loop: Header=BB64_21 Depth=1
	s_or_b64 exec, exec, s[88:89]
	s_mov_b64 s[88:89], exec
	v_readlane_b32 s0, v57, 35
	v_readlane_b32 s1, v57, 36
	s_and_b64 s[0:1], s[88:89], s[0:1]
	s_mov_b64 exec, s[0:1]
	s_cbranch_execz .LBB64_57
; %bb.56:                               ;   in Loop: Header=BB64_21 Depth=1
	v_add3_u32 v49, v22, s39, 32
	v_add3_u32 v50, v18, s39, 64
	v_cndmask_b32_e32 v50, v50, v49, vcc
	v_ashrrev_i32_e32 v51, 31, v50
	v_lshlrev_b64 v[50:51], 3, v[50:51]
	v_mov_b32_e32 v49, s43
	v_add_co_u32_e64 v50, s[0:1], s42, v50
	v_addc_co_u32_e64 v51, s[0:1], v49, v51, s[0:1]
	global_load_dwordx2 v[50:51], v[50:51], off
	v_add3_u32 v52, v0, v13, 32
	v_ashrrev_i32_e32 v53, 31, v52
	v_lshlrev_b64 v[54:55], 2, v[52:53]
	v_mov_b32_e32 v49, s5
	v_add_co_u32_e64 v54, s[0:1], s4, v54
	v_addc_co_u32_e64 v55, s[0:1], v49, v55, s[0:1]
	v_lshlrev_b64 v[52:53], 3, v[52:53]
	v_mov_b32_e32 v49, s41
	v_add_co_u32_e64 v52, s[0:1], s40, v52
	v_addc_co_u32_e64 v53, s[0:1], v49, v53, s[0:1]
	global_store_dword v[54:55], v23, off
	s_waitcnt vmcnt(1)
	global_store_dwordx2 v[52:53], v[50:51], off
.LBB64_57:                              ;   in Loop: Header=BB64_21 Depth=1
	s_or_b64 exec, exec, s[88:89]
	s_mov_b64 s[88:89], exec
	v_readlane_b32 s0, v57, 37
	v_readlane_b32 s1, v57, 38
	s_and_b64 s[0:1], s[88:89], s[0:1]
	s_mov_b64 exec, s[0:1]
	s_cbranch_execz .LBB64_59
; %bb.58:                               ;   in Loop: Header=BB64_21 Depth=1
	v_cndmask_b32_e32 v49, v16, v22, vcc
	v_add3_u32 v50, v49, s39, 64
	v_ashrrev_i32_e32 v51, 31, v50
	v_lshlrev_b64 v[50:51], 3, v[50:51]
	v_mov_b32_e32 v49, s43
	v_add_co_u32_e64 v50, s[0:1], s42, v50
	v_addc_co_u32_e64 v51, s[0:1], v49, v51, s[0:1]
	global_load_dwordx2 v[50:51], v[50:51], off
	v_add3_u32 v52, v0, v13, 64
	v_ashrrev_i32_e32 v53, 31, v52
	v_lshlrev_b64 v[54:55], 2, v[52:53]
	v_mov_b32_e32 v49, s5
	v_add_co_u32_e64 v54, s[0:1], s4, v54
	v_addc_co_u32_e64 v55, s[0:1], v49, v55, s[0:1]
	v_lshlrev_b64 v[52:53], 3, v[52:53]
	v_mov_b32_e32 v49, s41
	v_add_co_u32_e64 v52, s[0:1], s40, v52
	v_addc_co_u32_e64 v53, s[0:1], v49, v53, s[0:1]
	global_store_dword v[54:55], v25, off
	s_waitcnt vmcnt(1)
	global_store_dwordx2 v[52:53], v[50:51], off
.LBB64_59:                              ;   in Loop: Header=BB64_21 Depth=1
	s_or_b64 exec, exec, s[88:89]
	s_mov_b64 s[88:89], exec
	v_readlane_b32 s0, v57, 39
	v_readlane_b32 s1, v57, 40
	s_and_b64 s[0:1], s[88:89], s[0:1]
	s_mov_b64 exec, s[0:1]
	s_cbranch_execz .LBB64_61
; %bb.60:                               ;   in Loop: Header=BB64_21 Depth=1
	v_add_u32_e32 v49, 0x60, v48
	v_add3_u32 v50, v14, s39, 64
	v_cndmask_b32_e32 v50, v50, v49, vcc
	v_ashrrev_i32_e32 v51, 31, v50
	v_lshlrev_b64 v[50:51], 3, v[50:51]
	v_mov_b32_e32 v49, s43
	v_add_co_u32_e64 v50, s[0:1], s42, v50
	v_addc_co_u32_e64 v51, s[0:1], v49, v51, s[0:1]
	global_load_dwordx2 v[50:51], v[50:51], off
	v_add3_u32 v52, v0, v13, s33
	v_ashrrev_i32_e32 v53, 31, v52
	v_lshlrev_b64 v[54:55], 2, v[52:53]
	v_mov_b32_e32 v49, s5
	v_add_co_u32_e64 v54, s[0:1], s4, v54
	v_addc_co_u32_e64 v55, s[0:1], v49, v55, s[0:1]
	v_lshlrev_b64 v[52:53], 3, v[52:53]
	v_mov_b32_e32 v49, s41
	v_add_co_u32_e64 v52, s[0:1], s40, v52
	v_addc_co_u32_e64 v53, s[0:1], v49, v53, s[0:1]
	global_store_dword v[54:55], v27, off
	s_waitcnt vmcnt(1)
	global_store_dwordx2 v[52:53], v[50:51], off
.LBB64_61:                              ;   in Loop: Header=BB64_21 Depth=1
	s_or_b64 exec, exec, s[88:89]
	s_mov_b64 s[88:89], exec
	v_readlane_b32 s0, v57, 41
	v_readlane_b32 s1, v57, 42
	s_and_b64 s[0:1], s[88:89], s[0:1]
	s_mov_b64 exec, s[0:1]
	s_cbranch_execz .LBB64_63
; %bb.62:                               ;   in Loop: Header=BB64_21 Depth=1
	v_add_u32_e32 v49, 0x80, v48
	v_add3_u32 v50, v12, s39, 64
	v_cndmask_b32_e32 v50, v50, v49, vcc
	v_ashrrev_i32_e32 v51, 31, v50
	v_lshlrev_b64 v[50:51], 3, v[50:51]
	v_mov_b32_e32 v49, s43
	v_add_co_u32_e64 v50, s[0:1], s42, v50
	v_addc_co_u32_e64 v51, s[0:1], v49, v51, s[0:1]
	global_load_dwordx2 v[50:51], v[50:51], off
	v_add3_u32 v52, v0, v13, s90
	v_ashrrev_i32_e32 v53, 31, v52
	v_lshlrev_b64 v[54:55], 2, v[52:53]
	v_mov_b32_e32 v49, s5
	v_add_co_u32_e64 v54, s[0:1], s4, v54
	v_addc_co_u32_e64 v55, s[0:1], v49, v55, s[0:1]
	v_lshlrev_b64 v[52:53], 3, v[52:53]
	v_mov_b32_e32 v49, s41
	v_add_co_u32_e64 v52, s[0:1], s40, v52
	v_addc_co_u32_e64 v53, s[0:1], v49, v53, s[0:1]
	global_store_dword v[54:55], v29, off
	s_waitcnt vmcnt(1)
	global_store_dwordx2 v[52:53], v[50:51], off
.LBB64_63:                              ;   in Loop: Header=BB64_21 Depth=1
	s_or_b64 exec, exec, s[88:89]
	s_mov_b64 s[88:89], exec
	v_readlane_b32 s0, v57, 43
	v_readlane_b32 s1, v57, 44
	s_and_b64 s[0:1], s[88:89], s[0:1]
	s_mov_b64 exec, s[0:1]
	s_cbranch_execz .LBB64_65
; %bb.64:                               ;   in Loop: Header=BB64_21 Depth=1
	v_add_u32_e32 v49, 0xa0, v48
	v_add3_u32 v50, v10, s39, 64
	v_cndmask_b32_e32 v50, v50, v49, vcc
	v_ashrrev_i32_e32 v51, 31, v50
	v_lshlrev_b64 v[50:51], 3, v[50:51]
	v_mov_b32_e32 v49, s43
	v_add_co_u32_e64 v50, s[0:1], s42, v50
	v_addc_co_u32_e64 v51, s[0:1], v49, v51, s[0:1]
	global_load_dwordx2 v[50:51], v[50:51], off
	v_add3_u32 v52, v0, v13, s91
	v_ashrrev_i32_e32 v53, 31, v52
	v_lshlrev_b64 v[54:55], 2, v[52:53]
	v_mov_b32_e32 v49, s5
	v_add_co_u32_e64 v54, s[0:1], s4, v54
	v_addc_co_u32_e64 v55, s[0:1], v49, v55, s[0:1]
	v_lshlrev_b64 v[52:53], 3, v[52:53]
	v_mov_b32_e32 v49, s41
	v_add_co_u32_e64 v52, s[0:1], s40, v52
	v_addc_co_u32_e64 v53, s[0:1], v49, v53, s[0:1]
	global_store_dword v[54:55], v31, off
	s_waitcnt vmcnt(1)
	global_store_dwordx2 v[52:53], v[50:51], off
.LBB64_65:                              ;   in Loop: Header=BB64_21 Depth=1
	s_or_b64 exec, exec, s[88:89]
	s_mov_b64 s[88:89], exec
	v_readlane_b32 s0, v57, 45
	v_readlane_b32 s1, v57, 46
	s_and_b64 s[0:1], s[88:89], s[0:1]
	s_mov_b64 exec, s[0:1]
	s_cbranch_execz .LBB64_67
; %bb.66:                               ;   in Loop: Header=BB64_21 Depth=1
	v_add_u32_e32 v49, 0xc0, v48
	v_add3_u32 v50, v8, s39, 64
	v_cndmask_b32_e32 v50, v50, v49, vcc
	v_ashrrev_i32_e32 v51, 31, v50
	v_lshlrev_b64 v[50:51], 3, v[50:51]
	v_mov_b32_e32 v49, s43
	v_add_co_u32_e64 v50, s[0:1], s42, v50
	v_addc_co_u32_e64 v51, s[0:1], v49, v51, s[0:1]
	global_load_dwordx2 v[50:51], v[50:51], off
	v_add3_u32 v52, v0, v13, s92
	v_ashrrev_i32_e32 v53, 31, v52
	v_lshlrev_b64 v[54:55], 2, v[52:53]
	v_mov_b32_e32 v49, s5
	v_add_co_u32_e64 v54, s[0:1], s4, v54
	v_addc_co_u32_e64 v55, s[0:1], v49, v55, s[0:1]
	v_lshlrev_b64 v[52:53], 3, v[52:53]
	v_mov_b32_e32 v49, s41
	v_add_co_u32_e64 v52, s[0:1], s40, v52
	v_addc_co_u32_e64 v53, s[0:1], v49, v53, s[0:1]
	global_store_dword v[54:55], v33, off
	s_waitcnt vmcnt(1)
	global_store_dwordx2 v[52:53], v[50:51], off
.LBB64_67:                              ;   in Loop: Header=BB64_21 Depth=1
	s_or_b64 exec, exec, s[88:89]
	s_mov_b64 s[88:89], exec
	v_readlane_b32 s0, v57, 47
	v_readlane_b32 s1, v57, 48
	s_and_b64 s[0:1], s[88:89], s[0:1]
	s_mov_b64 exec, s[0:1]
	s_cbranch_execz .LBB64_69
; %bb.68:                               ;   in Loop: Header=BB64_21 Depth=1
	v_add_u32_e32 v48, 0xe0, v48
	v_add3_u32 v49, v6, s39, 64
	v_cndmask_b32_e32 v48, v49, v48, vcc
	v_ashrrev_i32_e32 v49, 31, v48
	v_lshlrev_b64 v[48:49], 3, v[48:49]
	v_mov_b32_e32 v50, s43
	v_add_co_u32_e64 v48, s[0:1], s42, v48
	v_addc_co_u32_e64 v49, s[0:1], v50, v49, s[0:1]
	global_load_dwordx2 v[48:49], v[48:49], off
	v_add3_u32 v50, v0, v13, s93
	v_ashrrev_i32_e32 v51, 31, v50
	v_lshlrev_b64 v[52:53], 2, v[50:51]
	v_mov_b32_e32 v54, s5
	v_add_co_u32_e64 v52, s[0:1], s4, v52
	v_addc_co_u32_e64 v53, s[0:1], v54, v53, s[0:1]
	v_lshlrev_b64 v[50:51], 3, v[50:51]
	global_store_dword v[52:53], v40, off
	v_mov_b32_e32 v52, s41
	v_add_co_u32_e64 v50, s[0:1], s40, v50
	v_addc_co_u32_e64 v51, s[0:1], v52, v51, s[0:1]
	s_waitcnt vmcnt(1)
	global_store_dwordx2 v[50:51], v[48:49], off
.LBB64_69:                              ;   in Loop: Header=BB64_21 Depth=1
	s_or_b64 exec, exec, s[88:89]
	v_add_u32_e32 v49, s39, v24
	v_add_u32_e32 v48, s39, v2
	s_mov_b64 s[88:89], exec
	v_readlane_b32 s0, v57, 49
	v_readlane_b32 s1, v57, 50
	s_and_b64 s[0:1], s[88:89], s[0:1]
	s_mov_b64 exec, s[0:1]
	s_cbranch_execz .LBB64_71
; %bb.70:                               ;   in Loop: Header=BB64_21 Depth=1
	v_add_u32_e32 v50, 0x60, v48
	v_cndmask_b32_e32 v50, v50, v49, vcc
	v_ashrrev_i32_e32 v51, 31, v50
	v_lshlrev_b64 v[50:51], 3, v[50:51]
	v_mov_b32_e32 v52, s43
	v_add_co_u32_e64 v50, s[0:1], s42, v50
	v_addc_co_u32_e64 v51, s[0:1], v52, v51, s[0:1]
	global_load_dwordx2 v[50:51], v[50:51], off
	v_add_u32_e32 v52, v0, v11
	v_ashrrev_i32_e32 v53, 31, v52
	v_lshlrev_b64 v[54:55], 2, v[52:53]
	v_mov_b32_e32 v56, s5
	v_add_co_u32_e64 v54, s[0:1], s4, v54
	v_addc_co_u32_e64 v55, s[0:1], v56, v55, s[0:1]
	v_lshlrev_b64 v[52:53], 3, v[52:53]
	global_store_dword v[54:55], v21, off
	v_mov_b32_e32 v54, s41
	v_add_co_u32_e64 v52, s[0:1], s40, v52
	v_addc_co_u32_e64 v53, s[0:1], v54, v53, s[0:1]
	s_waitcnt vmcnt(1)
	global_store_dwordx2 v[52:53], v[50:51], off
.LBB64_71:                              ;   in Loop: Header=BB64_21 Depth=1
	s_or_b64 exec, exec, s[88:89]
	s_mov_b64 s[88:89], exec
	v_readlane_b32 s0, v57, 51
	v_readlane_b32 s1, v57, 52
	s_and_b64 s[0:1], s[88:89], s[0:1]
	s_mov_b64 exec, s[0:1]
	s_cbranch_execz .LBB64_73
; %bb.72:                               ;   in Loop: Header=BB64_21 Depth=1
	v_add3_u32 v50, v24, s39, 32
	v_add_u32_e32 v51, 0x60, v41
	v_cndmask_b32_e32 v50, v51, v50, vcc
	v_ashrrev_i32_e32 v51, 31, v50
	v_lshlrev_b64 v[50:51], 3, v[50:51]
	v_mov_b32_e32 v52, s43
	v_add_co_u32_e64 v50, s[0:1], s42, v50
	v_addc_co_u32_e64 v51, s[0:1], v52, v51, s[0:1]
	global_load_dwordx2 v[50:51], v[50:51], off
	v_add3_u32 v52, v0, v11, 32
	v_ashrrev_i32_e32 v53, 31, v52
	v_lshlrev_b64 v[54:55], 2, v[52:53]
	v_mov_b32_e32 v56, s5
	v_add_co_u32_e64 v54, s[0:1], s4, v54
	v_addc_co_u32_e64 v55, s[0:1], v56, v55, s[0:1]
	v_lshlrev_b64 v[52:53], 3, v[52:53]
	global_store_dword v[54:55], v23, off
	v_mov_b32_e32 v54, s41
	v_add_co_u32_e64 v52, s[0:1], s40, v52
	v_addc_co_u32_e64 v53, s[0:1], v54, v53, s[0:1]
	s_waitcnt vmcnt(1)
	global_store_dwordx2 v[52:53], v[50:51], off
.LBB64_73:                              ;   in Loop: Header=BB64_21 Depth=1
	s_or_b64 exec, exec, s[88:89]
	s_mov_b64 s[88:89], exec
	v_readlane_b32 s0, v57, 53
	v_readlane_b32 s1, v57, 54
	s_and_b64 s[0:1], s[88:89], s[0:1]
	s_mov_b64 exec, s[0:1]
	s_cbranch_execz .LBB64_75
; %bb.74:                               ;   in Loop: Header=BB64_21 Depth=1
	v_add3_u32 v50, v24, s39, 64
	v_add_u32_e32 v51, 0x60, v42
	v_cndmask_b32_e32 v50, v51, v50, vcc
	v_ashrrev_i32_e32 v51, 31, v50
	v_lshlrev_b64 v[50:51], 3, v[50:51]
	v_mov_b32_e32 v52, s43
	v_add_co_u32_e64 v50, s[0:1], s42, v50
	v_addc_co_u32_e64 v51, s[0:1], v52, v51, s[0:1]
	global_load_dwordx2 v[50:51], v[50:51], off
	v_add3_u32 v52, v0, v11, 64
	v_ashrrev_i32_e32 v53, 31, v52
	v_lshlrev_b64 v[54:55], 2, v[52:53]
	v_mov_b32_e32 v56, s5
	v_add_co_u32_e64 v54, s[0:1], s4, v54
	v_addc_co_u32_e64 v55, s[0:1], v56, v55, s[0:1]
	v_lshlrev_b64 v[52:53], 3, v[52:53]
	global_store_dword v[54:55], v25, off
	v_mov_b32_e32 v54, s41
	v_add_co_u32_e64 v52, s[0:1], s40, v52
	v_addc_co_u32_e64 v53, s[0:1], v54, v53, s[0:1]
	s_waitcnt vmcnt(1)
	global_store_dwordx2 v[52:53], v[50:51], off
.LBB64_75:                              ;   in Loop: Header=BB64_21 Depth=1
	s_or_b64 exec, exec, s[88:89]
	s_mov_b64 s[88:89], exec
	v_readlane_b32 s0, v57, 55
	v_readlane_b32 s1, v57, 56
	s_and_b64 s[0:1], s[88:89], s[0:1]
	s_mov_b64 exec, s[0:1]
	s_cbranch_execnz .LBB64_112
; %bb.76:                               ;   in Loop: Header=BB64_21 Depth=1
	s_or_b64 exec, exec, s[88:89]
	s_and_saveexec_b64 s[88:89], s[44:45]
	s_cbranch_execnz .LBB64_113
.LBB64_77:                              ;   in Loop: Header=BB64_21 Depth=1
	s_or_b64 exec, exec, s[88:89]
	s_and_saveexec_b64 s[88:89], s[46:47]
	s_cbranch_execnz .LBB64_114
.LBB64_78:                              ;   in Loop: Header=BB64_21 Depth=1
	s_or_b64 exec, exec, s[88:89]
	s_and_saveexec_b64 s[88:89], s[48:49]
	s_cbranch_execnz .LBB64_115
.LBB64_79:                              ;   in Loop: Header=BB64_21 Depth=1
	s_or_b64 exec, exec, s[88:89]
	s_and_saveexec_b64 s[88:89], s[8:9]
	s_cbranch_execnz .LBB64_116
.LBB64_80:                              ;   in Loop: Header=BB64_21 Depth=1
	s_or_b64 exec, exec, s[88:89]
	v_add_u32_e32 v49, s39, v26
	s_and_saveexec_b64 s[88:89], s[50:51]
	s_cbranch_execnz .LBB64_117
.LBB64_81:                              ;   in Loop: Header=BB64_21 Depth=1
	s_or_b64 exec, exec, s[88:89]
	s_and_saveexec_b64 s[88:89], s[52:53]
	s_cbranch_execnz .LBB64_118
.LBB64_82:                              ;   in Loop: Header=BB64_21 Depth=1
	s_or_b64 exec, exec, s[88:89]
	s_and_saveexec_b64 s[88:89], s[54:55]
	s_cbranch_execnz .LBB64_119
.LBB64_83:                              ;   in Loop: Header=BB64_21 Depth=1
	s_or_b64 exec, exec, s[88:89]
	s_and_saveexec_b64 s[88:89], s[56:57]
	s_cbranch_execnz .LBB64_120
.LBB64_84:                              ;   in Loop: Header=BB64_21 Depth=1
	s_or_b64 exec, exec, s[88:89]
	s_and_saveexec_b64 s[88:89], s[58:59]
	s_cbranch_execnz .LBB64_121
.LBB64_85:                              ;   in Loop: Header=BB64_21 Depth=1
	s_or_b64 exec, exec, s[88:89]
	s_and_saveexec_b64 s[88:89], s[60:61]
	s_cbranch_execnz .LBB64_122
.LBB64_86:                              ;   in Loop: Header=BB64_21 Depth=1
	s_or_b64 exec, exec, s[88:89]
	s_and_saveexec_b64 s[88:89], s[62:63]
	s_cbranch_execnz .LBB64_123
.LBB64_87:                              ;   in Loop: Header=BB64_21 Depth=1
	s_or_b64 exec, exec, s[88:89]
	s_and_saveexec_b64 s[88:89], s[10:11]
	s_cbranch_execnz .LBB64_124
.LBB64_88:                              ;   in Loop: Header=BB64_21 Depth=1
	s_or_b64 exec, exec, s[88:89]
	v_add_u32_e32 v49, s39, v28
	s_and_saveexec_b64 s[88:89], s[64:65]
	s_cbranch_execnz .LBB64_125
.LBB64_89:                              ;   in Loop: Header=BB64_21 Depth=1
	s_or_b64 exec, exec, s[88:89]
	s_and_saveexec_b64 s[88:89], s[66:67]
	s_cbranch_execnz .LBB64_126
.LBB64_90:                              ;   in Loop: Header=BB64_21 Depth=1
	s_or_b64 exec, exec, s[88:89]
	s_and_saveexec_b64 s[88:89], s[68:69]
	s_cbranch_execnz .LBB64_127
.LBB64_91:                              ;   in Loop: Header=BB64_21 Depth=1
	s_or_b64 exec, exec, s[88:89]
	s_and_saveexec_b64 s[88:89], s[70:71]
	s_cbranch_execnz .LBB64_128
.LBB64_92:                              ;   in Loop: Header=BB64_21 Depth=1
	s_or_b64 exec, exec, s[88:89]
	s_and_saveexec_b64 s[88:89], s[72:73]
	s_cbranch_execnz .LBB64_129
.LBB64_93:                              ;   in Loop: Header=BB64_21 Depth=1
	s_or_b64 exec, exec, s[88:89]
	s_and_saveexec_b64 s[88:89], s[2:3]
	s_cbranch_execnz .LBB64_130
.LBB64_94:                              ;   in Loop: Header=BB64_21 Depth=1
	s_or_b64 exec, exec, s[88:89]
	s_and_saveexec_b64 s[88:89], s[74:75]
	s_cbranch_execnz .LBB64_131
.LBB64_95:                              ;   in Loop: Header=BB64_21 Depth=1
	s_or_b64 exec, exec, s[88:89]
	s_and_saveexec_b64 s[88:89], s[12:13]
	s_cbranch_execnz .LBB64_132
.LBB64_96:                              ;   in Loop: Header=BB64_21 Depth=1
	s_or_b64 exec, exec, s[88:89]
	v_add_u32_e32 v49, s39, v30
	s_and_saveexec_b64 s[88:89], s[76:77]
	s_cbranch_execnz .LBB64_133
.LBB64_97:                              ;   in Loop: Header=BB64_21 Depth=1
	s_or_b64 exec, exec, s[88:89]
	s_and_saveexec_b64 s[88:89], s[78:79]
	s_cbranch_execnz .LBB64_134
.LBB64_98:                              ;   in Loop: Header=BB64_21 Depth=1
	s_or_b64 exec, exec, s[88:89]
	s_and_saveexec_b64 s[88:89], s[80:81]
	s_cbranch_execnz .LBB64_135
.LBB64_99:                              ;   in Loop: Header=BB64_21 Depth=1
	s_or_b64 exec, exec, s[88:89]
	s_and_saveexec_b64 s[88:89], s[82:83]
	s_cbranch_execnz .LBB64_136
.LBB64_100:                             ;   in Loop: Header=BB64_21 Depth=1
	s_or_b64 exec, exec, s[88:89]
	s_and_saveexec_b64 s[88:89], s[84:85]
	s_cbranch_execnz .LBB64_137
.LBB64_101:                             ;   in Loop: Header=BB64_21 Depth=1
	s_or_b64 exec, exec, s[88:89]
	s_and_saveexec_b64 s[88:89], s[86:87]
	s_cbranch_execnz .LBB64_138
.LBB64_102:                             ;   in Loop: Header=BB64_21 Depth=1
	s_or_b64 exec, exec, s[88:89]
	s_and_saveexec_b64 s[88:89], s[6:7]
	s_cbranch_execnz .LBB64_139
.LBB64_103:                             ;   in Loop: Header=BB64_21 Depth=1
	s_or_b64 exec, exec, s[88:89]
	s_and_saveexec_b64 s[88:89], s[14:15]
	s_cbranch_execnz .LBB64_140
.LBB64_104:                             ;   in Loop: Header=BB64_21 Depth=1
	s_or_b64 exec, exec, s[88:89]
	v_add_u32_e32 v47, s39, v32
	s_and_saveexec_b64 s[88:89], s[18:19]
	s_cbranch_execnz .LBB64_141
.LBB64_105:                             ;   in Loop: Header=BB64_21 Depth=1
	s_or_b64 exec, exec, s[88:89]
	s_and_saveexec_b64 s[88:89], s[20:21]
	s_cbranch_execnz .LBB64_142
.LBB64_106:                             ;   in Loop: Header=BB64_21 Depth=1
	s_or_b64 exec, exec, s[88:89]
	s_and_saveexec_b64 s[88:89], s[22:23]
	s_cbranch_execnz .LBB64_143
.LBB64_107:                             ;   in Loop: Header=BB64_21 Depth=1
	s_or_b64 exec, exec, s[88:89]
	s_and_saveexec_b64 s[88:89], s[24:25]
	s_cbranch_execnz .LBB64_144
.LBB64_108:                             ;   in Loop: Header=BB64_21 Depth=1
	s_or_b64 exec, exec, s[88:89]
	s_and_saveexec_b64 s[88:89], s[26:27]
	s_cbranch_execnz .LBB64_145
.LBB64_109:                             ;   in Loop: Header=BB64_21 Depth=1
	s_or_b64 exec, exec, s[88:89]
	s_and_saveexec_b64 s[88:89], s[28:29]
	s_cbranch_execnz .LBB64_146
.LBB64_110:                             ;   in Loop: Header=BB64_21 Depth=1
	s_or_b64 exec, exec, s[88:89]
	s_and_saveexec_b64 s[88:89], s[30:31]
	s_cbranch_execnz .LBB64_147
.LBB64_111:                             ;   in Loop: Header=BB64_21 Depth=1
	s_or_b64 exec, exec, s[88:89]
	s_and_saveexec_b64 s[88:89], s[16:17]
	s_cbranch_execz .LBB64_20
	s_branch .LBB64_148
.LBB64_112:                             ;   in Loop: Header=BB64_21 Depth=1
	v_cndmask_b32_e32 v50, v14, v24, vcc
	v_add_u32_e32 v50, s39, v50
	v_add_u32_e32 v50, 0x60, v50
	v_ashrrev_i32_e32 v51, 31, v50
	v_lshlrev_b64 v[50:51], 3, v[50:51]
	v_mov_b32_e32 v52, s43
	v_add_co_u32_e64 v50, s[0:1], s42, v50
	v_addc_co_u32_e64 v51, s[0:1], v52, v51, s[0:1]
	global_load_dwordx2 v[50:51], v[50:51], off
	v_add3_u32 v52, v0, v11, s33
	v_ashrrev_i32_e32 v53, 31, v52
	v_lshlrev_b64 v[54:55], 2, v[52:53]
	v_mov_b32_e32 v56, s5
	v_add_co_u32_e64 v54, s[0:1], s4, v54
	v_addc_co_u32_e64 v55, s[0:1], v56, v55, s[0:1]
	v_lshlrev_b64 v[52:53], 3, v[52:53]
	global_store_dword v[54:55], v27, off
	v_mov_b32_e32 v54, s41
	v_add_co_u32_e64 v52, s[0:1], s40, v52
	v_addc_co_u32_e64 v53, s[0:1], v54, v53, s[0:1]
	s_waitcnt vmcnt(1)
	global_store_dwordx2 v[52:53], v[50:51], off
	s_or_b64 exec, exec, s[88:89]
	s_and_saveexec_b64 s[88:89], s[44:45]
	s_cbranch_execz .LBB64_77
.LBB64_113:                             ;   in Loop: Header=BB64_21 Depth=1
	v_add_u32_e32 v50, 0x80, v49
	v_add_u32_e32 v51, 0x60, v44
	v_cndmask_b32_e32 v50, v51, v50, vcc
	v_ashrrev_i32_e32 v51, 31, v50
	v_lshlrev_b64 v[50:51], 3, v[50:51]
	v_mov_b32_e32 v52, s43
	v_add_co_u32_e64 v50, s[0:1], s42, v50
	v_addc_co_u32_e64 v51, s[0:1], v52, v51, s[0:1]
	global_load_dwordx2 v[50:51], v[50:51], off
	v_add3_u32 v52, v0, v11, s90
	v_ashrrev_i32_e32 v53, 31, v52
	v_lshlrev_b64 v[54:55], 2, v[52:53]
	v_mov_b32_e32 v56, s5
	v_add_co_u32_e64 v54, s[0:1], s4, v54
	v_addc_co_u32_e64 v55, s[0:1], v56, v55, s[0:1]
	v_lshlrev_b64 v[52:53], 3, v[52:53]
	global_store_dword v[54:55], v29, off
	v_mov_b32_e32 v54, s41
	v_add_co_u32_e64 v52, s[0:1], s40, v52
	v_addc_co_u32_e64 v53, s[0:1], v54, v53, s[0:1]
	s_waitcnt vmcnt(1)
	global_store_dwordx2 v[52:53], v[50:51], off
	s_or_b64 exec, exec, s[88:89]
	s_and_saveexec_b64 s[88:89], s[46:47]
	s_cbranch_execz .LBB64_78
.LBB64_114:                             ;   in Loop: Header=BB64_21 Depth=1
	v_add_u32_e32 v50, 0xa0, v49
	v_add_u32_e32 v51, 0x60, v45
	v_cndmask_b32_e32 v50, v51, v50, vcc
	v_ashrrev_i32_e32 v51, 31, v50
	v_lshlrev_b64 v[50:51], 3, v[50:51]
	v_mov_b32_e32 v52, s43
	v_add_co_u32_e64 v50, s[0:1], s42, v50
	v_addc_co_u32_e64 v51, s[0:1], v52, v51, s[0:1]
	global_load_dwordx2 v[50:51], v[50:51], off
	v_add3_u32 v52, v0, v11, s91
	v_ashrrev_i32_e32 v53, 31, v52
	v_lshlrev_b64 v[54:55], 2, v[52:53]
	v_mov_b32_e32 v56, s5
	v_add_co_u32_e64 v54, s[0:1], s4, v54
	v_addc_co_u32_e64 v55, s[0:1], v56, v55, s[0:1]
	v_lshlrev_b64 v[52:53], 3, v[52:53]
	global_store_dword v[54:55], v31, off
	v_mov_b32_e32 v54, s41
	v_add_co_u32_e64 v52, s[0:1], s40, v52
	v_addc_co_u32_e64 v53, s[0:1], v54, v53, s[0:1]
	s_waitcnt vmcnt(1)
	global_store_dwordx2 v[52:53], v[50:51], off
	s_or_b64 exec, exec, s[88:89]
	s_and_saveexec_b64 s[88:89], s[48:49]
	s_cbranch_execz .LBB64_79
.LBB64_115:                             ;   in Loop: Header=BB64_21 Depth=1
	v_add_u32_e32 v50, 0xc0, v49
	v_add_u32_e32 v51, 0x60, v46
	v_cndmask_b32_e32 v50, v51, v50, vcc
	v_ashrrev_i32_e32 v51, 31, v50
	v_lshlrev_b64 v[50:51], 3, v[50:51]
	v_mov_b32_e32 v52, s43
	v_add_co_u32_e64 v50, s[0:1], s42, v50
	v_addc_co_u32_e64 v51, s[0:1], v52, v51, s[0:1]
	global_load_dwordx2 v[50:51], v[50:51], off
	v_add3_u32 v52, v0, v11, s92
	v_ashrrev_i32_e32 v53, 31, v52
	v_lshlrev_b64 v[54:55], 2, v[52:53]
	v_mov_b32_e32 v56, s5
	v_add_co_u32_e64 v54, s[0:1], s4, v54
	v_addc_co_u32_e64 v55, s[0:1], v56, v55, s[0:1]
	v_lshlrev_b64 v[52:53], 3, v[52:53]
	global_store_dword v[54:55], v33, off
	v_mov_b32_e32 v54, s41
	v_add_co_u32_e64 v52, s[0:1], s40, v52
	v_addc_co_u32_e64 v53, s[0:1], v54, v53, s[0:1]
	s_waitcnt vmcnt(1)
	global_store_dwordx2 v[52:53], v[50:51], off
	s_or_b64 exec, exec, s[88:89]
	s_and_saveexec_b64 s[88:89], s[8:9]
	s_cbranch_execz .LBB64_80
.LBB64_116:                             ;   in Loop: Header=BB64_21 Depth=1
	v_add_u32_e32 v49, 0xe0, v49
	v_add_u32_e32 v50, 0x60, v47
	v_cndmask_b32_e32 v50, v50, v49, vcc
	v_ashrrev_i32_e32 v51, 31, v50
	v_lshlrev_b64 v[50:51], 3, v[50:51]
	v_mov_b32_e32 v49, s43
	v_add_co_u32_e64 v50, s[0:1], s42, v50
	v_addc_co_u32_e64 v51, s[0:1], v49, v51, s[0:1]
	global_load_dwordx2 v[50:51], v[50:51], off
	v_add3_u32 v52, v0, v11, s93
	v_ashrrev_i32_e32 v53, 31, v52
	v_lshlrev_b64 v[54:55], 2, v[52:53]
	v_mov_b32_e32 v49, s5
	v_add_co_u32_e64 v54, s[0:1], s4, v54
	v_addc_co_u32_e64 v55, s[0:1], v49, v55, s[0:1]
	v_lshlrev_b64 v[52:53], 3, v[52:53]
	v_mov_b32_e32 v49, s41
	v_add_co_u32_e64 v52, s[0:1], s40, v52
	v_addc_co_u32_e64 v53, s[0:1], v49, v53, s[0:1]
	global_store_dword v[54:55], v40, off
	s_waitcnt vmcnt(1)
	global_store_dwordx2 v[52:53], v[50:51], off
	s_or_b64 exec, exec, s[88:89]
	v_add_u32_e32 v49, s39, v26
	s_and_saveexec_b64 s[88:89], s[50:51]
	s_cbranch_execz .LBB64_81
.LBB64_117:                             ;   in Loop: Header=BB64_21 Depth=1
	v_add_u32_e32 v50, 0x80, v48
	v_cndmask_b32_e32 v50, v50, v49, vcc
	v_ashrrev_i32_e32 v51, 31, v50
	v_lshlrev_b64 v[50:51], 3, v[50:51]
	v_mov_b32_e32 v52, s43
	v_add_co_u32_e64 v50, s[0:1], s42, v50
	v_addc_co_u32_e64 v51, s[0:1], v52, v51, s[0:1]
	global_load_dwordx2 v[50:51], v[50:51], off
	v_add_u32_e32 v52, v0, v9
	v_ashrrev_i32_e32 v53, 31, v52
	v_lshlrev_b64 v[54:55], 2, v[52:53]
	v_mov_b32_e32 v56, s5
	v_add_co_u32_e64 v54, s[0:1], s4, v54
	v_addc_co_u32_e64 v55, s[0:1], v56, v55, s[0:1]
	v_lshlrev_b64 v[52:53], 3, v[52:53]
	global_store_dword v[54:55], v21, off
	v_mov_b32_e32 v54, s41
	v_add_co_u32_e64 v52, s[0:1], s40, v52
	v_addc_co_u32_e64 v53, s[0:1], v54, v53, s[0:1]
	s_waitcnt vmcnt(1)
	global_store_dwordx2 v[52:53], v[50:51], off
	s_or_b64 exec, exec, s[88:89]
	s_and_saveexec_b64 s[88:89], s[52:53]
	s_cbranch_execz .LBB64_82
.LBB64_118:                             ;   in Loop: Header=BB64_21 Depth=1
	v_add3_u32 v50, v26, s39, 32
	v_add_u32_e32 v51, 0x80, v41
	v_cndmask_b32_e32 v50, v51, v50, vcc
	v_ashrrev_i32_e32 v51, 31, v50
	v_lshlrev_b64 v[50:51], 3, v[50:51]
	v_mov_b32_e32 v52, s43
	v_add_co_u32_e64 v50, s[0:1], s42, v50
	v_addc_co_u32_e64 v51, s[0:1], v52, v51, s[0:1]
	global_load_dwordx2 v[50:51], v[50:51], off
	v_add3_u32 v52, v0, v9, 32
	v_ashrrev_i32_e32 v53, 31, v52
	v_lshlrev_b64 v[54:55], 2, v[52:53]
	v_mov_b32_e32 v56, s5
	v_add_co_u32_e64 v54, s[0:1], s4, v54
	v_addc_co_u32_e64 v55, s[0:1], v56, v55, s[0:1]
	v_lshlrev_b64 v[52:53], 3, v[52:53]
	global_store_dword v[54:55], v23, off
	v_mov_b32_e32 v54, s41
	v_add_co_u32_e64 v52, s[0:1], s40, v52
	v_addc_co_u32_e64 v53, s[0:1], v54, v53, s[0:1]
	s_waitcnt vmcnt(1)
	global_store_dwordx2 v[52:53], v[50:51], off
	s_or_b64 exec, exec, s[88:89]
	s_and_saveexec_b64 s[88:89], s[54:55]
	s_cbranch_execz .LBB64_83
.LBB64_119:                             ;   in Loop: Header=BB64_21 Depth=1
	v_add3_u32 v50, v26, s39, 64
	v_add_u32_e32 v51, 0x80, v42
	v_cndmask_b32_e32 v50, v51, v50, vcc
	v_ashrrev_i32_e32 v51, 31, v50
	v_lshlrev_b64 v[50:51], 3, v[50:51]
	v_mov_b32_e32 v52, s43
	v_add_co_u32_e64 v50, s[0:1], s42, v50
	v_addc_co_u32_e64 v51, s[0:1], v52, v51, s[0:1]
	global_load_dwordx2 v[50:51], v[50:51], off
	v_add3_u32 v52, v0, v9, 64
	v_ashrrev_i32_e32 v53, 31, v52
	v_lshlrev_b64 v[54:55], 2, v[52:53]
	v_mov_b32_e32 v56, s5
	v_add_co_u32_e64 v54, s[0:1], s4, v54
	v_addc_co_u32_e64 v55, s[0:1], v56, v55, s[0:1]
	v_lshlrev_b64 v[52:53], 3, v[52:53]
	global_store_dword v[54:55], v25, off
	v_mov_b32_e32 v54, s41
	v_add_co_u32_e64 v52, s[0:1], s40, v52
	v_addc_co_u32_e64 v53, s[0:1], v54, v53, s[0:1]
	s_waitcnt vmcnt(1)
	global_store_dwordx2 v[52:53], v[50:51], off
	s_or_b64 exec, exec, s[88:89]
	s_and_saveexec_b64 s[88:89], s[56:57]
	s_cbranch_execz .LBB64_84
.LBB64_120:                             ;   in Loop: Header=BB64_21 Depth=1
	v_add_u32_e32 v50, 0x60, v49
	v_add_u32_e32 v51, 0x80, v43
	v_cndmask_b32_e32 v50, v51, v50, vcc
	v_ashrrev_i32_e32 v51, 31, v50
	v_lshlrev_b64 v[50:51], 3, v[50:51]
	v_mov_b32_e32 v52, s43
	v_add_co_u32_e64 v50, s[0:1], s42, v50
	v_addc_co_u32_e64 v51, s[0:1], v52, v51, s[0:1]
	global_load_dwordx2 v[50:51], v[50:51], off
	v_add3_u32 v52, v0, v9, s33
	v_ashrrev_i32_e32 v53, 31, v52
	v_lshlrev_b64 v[54:55], 2, v[52:53]
	v_mov_b32_e32 v56, s5
	v_add_co_u32_e64 v54, s[0:1], s4, v54
	v_addc_co_u32_e64 v55, s[0:1], v56, v55, s[0:1]
	v_lshlrev_b64 v[52:53], 3, v[52:53]
	global_store_dword v[54:55], v27, off
	v_mov_b32_e32 v54, s41
	v_add_co_u32_e64 v52, s[0:1], s40, v52
	v_addc_co_u32_e64 v53, s[0:1], v54, v53, s[0:1]
	s_waitcnt vmcnt(1)
	global_store_dwordx2 v[52:53], v[50:51], off
	s_or_b64 exec, exec, s[88:89]
	s_and_saveexec_b64 s[88:89], s[58:59]
	s_cbranch_execz .LBB64_85
.LBB64_121:                             ;   in Loop: Header=BB64_21 Depth=1
	v_cndmask_b32_e32 v50, v12, v26, vcc
	v_add_u32_e32 v50, s39, v50
	v_add_u32_e32 v50, 0x80, v50
	v_ashrrev_i32_e32 v51, 31, v50
	v_lshlrev_b64 v[50:51], 3, v[50:51]
	v_mov_b32_e32 v52, s43
	v_add_co_u32_e64 v50, s[0:1], s42, v50
	v_addc_co_u32_e64 v51, s[0:1], v52, v51, s[0:1]
	global_load_dwordx2 v[50:51], v[50:51], off
	v_add3_u32 v52, v0, v9, s90
	v_ashrrev_i32_e32 v53, 31, v52
	v_lshlrev_b64 v[54:55], 2, v[52:53]
	v_mov_b32_e32 v56, s5
	v_add_co_u32_e64 v54, s[0:1], s4, v54
	v_addc_co_u32_e64 v55, s[0:1], v56, v55, s[0:1]
	v_lshlrev_b64 v[52:53], 3, v[52:53]
	global_store_dword v[54:55], v29, off
	v_mov_b32_e32 v54, s41
	v_add_co_u32_e64 v52, s[0:1], s40, v52
	v_addc_co_u32_e64 v53, s[0:1], v54, v53, s[0:1]
	s_waitcnt vmcnt(1)
	global_store_dwordx2 v[52:53], v[50:51], off
	s_or_b64 exec, exec, s[88:89]
	s_and_saveexec_b64 s[88:89], s[60:61]
	s_cbranch_execz .LBB64_86
.LBB64_122:                             ;   in Loop: Header=BB64_21 Depth=1
	v_add_u32_e32 v50, 0xa0, v49
	v_add_u32_e32 v51, 0x80, v45
	v_cndmask_b32_e32 v50, v51, v50, vcc
	v_ashrrev_i32_e32 v51, 31, v50
	v_lshlrev_b64 v[50:51], 3, v[50:51]
	v_mov_b32_e32 v52, s43
	v_add_co_u32_e64 v50, s[0:1], s42, v50
	v_addc_co_u32_e64 v51, s[0:1], v52, v51, s[0:1]
	global_load_dwordx2 v[50:51], v[50:51], off
	v_add3_u32 v52, v0, v9, s91
	v_ashrrev_i32_e32 v53, 31, v52
	v_lshlrev_b64 v[54:55], 2, v[52:53]
	v_mov_b32_e32 v56, s5
	v_add_co_u32_e64 v54, s[0:1], s4, v54
	v_addc_co_u32_e64 v55, s[0:1], v56, v55, s[0:1]
	v_lshlrev_b64 v[52:53], 3, v[52:53]
	global_store_dword v[54:55], v31, off
	v_mov_b32_e32 v54, s41
	v_add_co_u32_e64 v52, s[0:1], s40, v52
	v_addc_co_u32_e64 v53, s[0:1], v54, v53, s[0:1]
	s_waitcnt vmcnt(1)
	global_store_dwordx2 v[52:53], v[50:51], off
	s_or_b64 exec, exec, s[88:89]
	s_and_saveexec_b64 s[88:89], s[62:63]
	s_cbranch_execz .LBB64_87
.LBB64_123:                             ;   in Loop: Header=BB64_21 Depth=1
	v_add_u32_e32 v50, 0xc0, v49
	v_add_u32_e32 v51, 0x80, v46
	v_cndmask_b32_e32 v50, v51, v50, vcc
	v_ashrrev_i32_e32 v51, 31, v50
	v_lshlrev_b64 v[50:51], 3, v[50:51]
	v_mov_b32_e32 v52, s43
	v_add_co_u32_e64 v50, s[0:1], s42, v50
	v_addc_co_u32_e64 v51, s[0:1], v52, v51, s[0:1]
	global_load_dwordx2 v[50:51], v[50:51], off
	v_add3_u32 v52, v0, v9, s92
	v_ashrrev_i32_e32 v53, 31, v52
	v_lshlrev_b64 v[54:55], 2, v[52:53]
	v_mov_b32_e32 v56, s5
	v_add_co_u32_e64 v54, s[0:1], s4, v54
	v_addc_co_u32_e64 v55, s[0:1], v56, v55, s[0:1]
	v_lshlrev_b64 v[52:53], 3, v[52:53]
	global_store_dword v[54:55], v33, off
	v_mov_b32_e32 v54, s41
	v_add_co_u32_e64 v52, s[0:1], s40, v52
	v_addc_co_u32_e64 v53, s[0:1], v54, v53, s[0:1]
	s_waitcnt vmcnt(1)
	global_store_dwordx2 v[52:53], v[50:51], off
	s_or_b64 exec, exec, s[88:89]
	s_and_saveexec_b64 s[88:89], s[10:11]
	s_cbranch_execz .LBB64_88
.LBB64_124:                             ;   in Loop: Header=BB64_21 Depth=1
	v_add_u32_e32 v49, 0xe0, v49
	v_add_u32_e32 v50, 0x80, v47
	v_cndmask_b32_e32 v50, v50, v49, vcc
	v_ashrrev_i32_e32 v51, 31, v50
	v_lshlrev_b64 v[50:51], 3, v[50:51]
	v_mov_b32_e32 v49, s43
	v_add_co_u32_e64 v50, s[0:1], s42, v50
	v_addc_co_u32_e64 v51, s[0:1], v49, v51, s[0:1]
	global_load_dwordx2 v[50:51], v[50:51], off
	v_add3_u32 v52, v0, v9, s93
	v_ashrrev_i32_e32 v53, 31, v52
	v_lshlrev_b64 v[54:55], 2, v[52:53]
	v_mov_b32_e32 v49, s5
	v_add_co_u32_e64 v54, s[0:1], s4, v54
	v_addc_co_u32_e64 v55, s[0:1], v49, v55, s[0:1]
	v_lshlrev_b64 v[52:53], 3, v[52:53]
	v_mov_b32_e32 v49, s41
	v_add_co_u32_e64 v52, s[0:1], s40, v52
	v_addc_co_u32_e64 v53, s[0:1], v49, v53, s[0:1]
	global_store_dword v[54:55], v40, off
	s_waitcnt vmcnt(1)
	global_store_dwordx2 v[52:53], v[50:51], off
	s_or_b64 exec, exec, s[88:89]
	v_add_u32_e32 v49, s39, v28
	s_and_saveexec_b64 s[88:89], s[64:65]
	s_cbranch_execz .LBB64_89
.LBB64_125:                             ;   in Loop: Header=BB64_21 Depth=1
	v_add_u32_e32 v50, 0xa0, v48
	v_cndmask_b32_e32 v50, v50, v49, vcc
	v_ashrrev_i32_e32 v51, 31, v50
	v_lshlrev_b64 v[50:51], 3, v[50:51]
	v_mov_b32_e32 v52, s43
	v_add_co_u32_e64 v50, s[0:1], s42, v50
	v_addc_co_u32_e64 v51, s[0:1], v52, v51, s[0:1]
	global_load_dwordx2 v[50:51], v[50:51], off
	v_add_u32_e32 v52, v0, v7
	v_ashrrev_i32_e32 v53, 31, v52
	v_lshlrev_b64 v[54:55], 2, v[52:53]
	v_mov_b32_e32 v56, s5
	v_add_co_u32_e64 v54, s[0:1], s4, v54
	v_addc_co_u32_e64 v55, s[0:1], v56, v55, s[0:1]
	v_lshlrev_b64 v[52:53], 3, v[52:53]
	global_store_dword v[54:55], v21, off
	v_mov_b32_e32 v54, s41
	v_add_co_u32_e64 v52, s[0:1], s40, v52
	v_addc_co_u32_e64 v53, s[0:1], v54, v53, s[0:1]
	s_waitcnt vmcnt(1)
	global_store_dwordx2 v[52:53], v[50:51], off
	s_or_b64 exec, exec, s[88:89]
	s_and_saveexec_b64 s[88:89], s[66:67]
	s_cbranch_execz .LBB64_90
.LBB64_126:                             ;   in Loop: Header=BB64_21 Depth=1
	v_add3_u32 v50, v28, s39, 32
	v_add_u32_e32 v51, 0xa0, v41
	v_cndmask_b32_e32 v50, v51, v50, vcc
	v_ashrrev_i32_e32 v51, 31, v50
	v_lshlrev_b64 v[50:51], 3, v[50:51]
	v_mov_b32_e32 v52, s43
	v_add_co_u32_e64 v50, s[0:1], s42, v50
	v_addc_co_u32_e64 v51, s[0:1], v52, v51, s[0:1]
	global_load_dwordx2 v[50:51], v[50:51], off
	v_add3_u32 v52, v0, v7, 32
	v_ashrrev_i32_e32 v53, 31, v52
	v_lshlrev_b64 v[54:55], 2, v[52:53]
	v_mov_b32_e32 v56, s5
	v_add_co_u32_e64 v54, s[0:1], s4, v54
	v_addc_co_u32_e64 v55, s[0:1], v56, v55, s[0:1]
	v_lshlrev_b64 v[52:53], 3, v[52:53]
	global_store_dword v[54:55], v23, off
	v_mov_b32_e32 v54, s41
	v_add_co_u32_e64 v52, s[0:1], s40, v52
	v_addc_co_u32_e64 v53, s[0:1], v54, v53, s[0:1]
	s_waitcnt vmcnt(1)
	global_store_dwordx2 v[52:53], v[50:51], off
	s_or_b64 exec, exec, s[88:89]
	s_and_saveexec_b64 s[88:89], s[68:69]
	s_cbranch_execz .LBB64_91
.LBB64_127:                             ;   in Loop: Header=BB64_21 Depth=1
	v_add3_u32 v50, v28, s39, 64
	v_add_u32_e32 v51, 0xa0, v42
	v_cndmask_b32_e32 v50, v51, v50, vcc
	v_ashrrev_i32_e32 v51, 31, v50
	v_lshlrev_b64 v[50:51], 3, v[50:51]
	v_mov_b32_e32 v52, s43
	v_add_co_u32_e64 v50, s[0:1], s42, v50
	v_addc_co_u32_e64 v51, s[0:1], v52, v51, s[0:1]
	global_load_dwordx2 v[50:51], v[50:51], off
	v_add3_u32 v52, v0, v7, 64
	v_ashrrev_i32_e32 v53, 31, v52
	v_lshlrev_b64 v[54:55], 2, v[52:53]
	v_mov_b32_e32 v56, s5
	v_add_co_u32_e64 v54, s[0:1], s4, v54
	v_addc_co_u32_e64 v55, s[0:1], v56, v55, s[0:1]
	v_lshlrev_b64 v[52:53], 3, v[52:53]
	global_store_dword v[54:55], v25, off
	v_mov_b32_e32 v54, s41
	v_add_co_u32_e64 v52, s[0:1], s40, v52
	v_addc_co_u32_e64 v53, s[0:1], v54, v53, s[0:1]
	s_waitcnt vmcnt(1)
	global_store_dwordx2 v[52:53], v[50:51], off
	s_or_b64 exec, exec, s[88:89]
	s_and_saveexec_b64 s[88:89], s[70:71]
	s_cbranch_execz .LBB64_92
.LBB64_128:                             ;   in Loop: Header=BB64_21 Depth=1
	v_add_u32_e32 v50, 0x60, v49
	v_add_u32_e32 v51, 0xa0, v43
	v_cndmask_b32_e32 v50, v51, v50, vcc
	v_ashrrev_i32_e32 v51, 31, v50
	v_lshlrev_b64 v[50:51], 3, v[50:51]
	v_mov_b32_e32 v52, s43
	v_add_co_u32_e64 v50, s[0:1], s42, v50
	v_addc_co_u32_e64 v51, s[0:1], v52, v51, s[0:1]
	global_load_dwordx2 v[50:51], v[50:51], off
	v_add3_u32 v52, v0, v7, s33
	v_ashrrev_i32_e32 v53, 31, v52
	v_lshlrev_b64 v[54:55], 2, v[52:53]
	v_mov_b32_e32 v56, s5
	v_add_co_u32_e64 v54, s[0:1], s4, v54
	v_addc_co_u32_e64 v55, s[0:1], v56, v55, s[0:1]
	v_lshlrev_b64 v[52:53], 3, v[52:53]
	global_store_dword v[54:55], v27, off
	v_mov_b32_e32 v54, s41
	v_add_co_u32_e64 v52, s[0:1], s40, v52
	v_addc_co_u32_e64 v53, s[0:1], v54, v53, s[0:1]
	s_waitcnt vmcnt(1)
	global_store_dwordx2 v[52:53], v[50:51], off
	s_or_b64 exec, exec, s[88:89]
	s_and_saveexec_b64 s[88:89], s[72:73]
	s_cbranch_execz .LBB64_93
.LBB64_129:                             ;   in Loop: Header=BB64_21 Depth=1
	v_add_u32_e32 v50, 0x80, v49
	v_add_u32_e32 v51, 0xa0, v44
	v_cndmask_b32_e32 v50, v51, v50, vcc
	v_ashrrev_i32_e32 v51, 31, v50
	v_lshlrev_b64 v[50:51], 3, v[50:51]
	v_mov_b32_e32 v52, s43
	v_add_co_u32_e64 v50, s[0:1], s42, v50
	v_addc_co_u32_e64 v51, s[0:1], v52, v51, s[0:1]
	global_load_dwordx2 v[50:51], v[50:51], off
	v_add3_u32 v52, v0, v7, s90
	v_ashrrev_i32_e32 v53, 31, v52
	v_lshlrev_b64 v[54:55], 2, v[52:53]
	v_mov_b32_e32 v56, s5
	v_add_co_u32_e64 v54, s[0:1], s4, v54
	v_addc_co_u32_e64 v55, s[0:1], v56, v55, s[0:1]
	v_lshlrev_b64 v[52:53], 3, v[52:53]
	global_store_dword v[54:55], v29, off
	v_mov_b32_e32 v54, s41
	v_add_co_u32_e64 v52, s[0:1], s40, v52
	v_addc_co_u32_e64 v53, s[0:1], v54, v53, s[0:1]
	s_waitcnt vmcnt(1)
	global_store_dwordx2 v[52:53], v[50:51], off
	s_or_b64 exec, exec, s[88:89]
	s_and_saveexec_b64 s[88:89], s[2:3]
	s_cbranch_execz .LBB64_94
.LBB64_130:                             ;   in Loop: Header=BB64_21 Depth=1
	v_cndmask_b32_e32 v50, v10, v28, vcc
	v_add_u32_e32 v50, s39, v50
	v_add_u32_e32 v50, 0xa0, v50
	v_ashrrev_i32_e32 v51, 31, v50
	v_lshlrev_b64 v[50:51], 3, v[50:51]
	v_mov_b32_e32 v52, s43
	v_add_co_u32_e64 v50, s[0:1], s42, v50
	v_addc_co_u32_e64 v51, s[0:1], v52, v51, s[0:1]
	global_load_dwordx2 v[50:51], v[50:51], off
	v_add3_u32 v52, v0, v7, s91
	v_ashrrev_i32_e32 v53, 31, v52
	v_lshlrev_b64 v[54:55], 2, v[52:53]
	v_mov_b32_e32 v56, s5
	v_add_co_u32_e64 v54, s[0:1], s4, v54
	v_addc_co_u32_e64 v55, s[0:1], v56, v55, s[0:1]
	v_lshlrev_b64 v[52:53], 3, v[52:53]
	global_store_dword v[54:55], v31, off
	v_mov_b32_e32 v54, s41
	v_add_co_u32_e64 v52, s[0:1], s40, v52
	v_addc_co_u32_e64 v53, s[0:1], v54, v53, s[0:1]
	s_waitcnt vmcnt(1)
	global_store_dwordx2 v[52:53], v[50:51], off
	s_or_b64 exec, exec, s[88:89]
	s_and_saveexec_b64 s[88:89], s[74:75]
	s_cbranch_execz .LBB64_95
.LBB64_131:                             ;   in Loop: Header=BB64_21 Depth=1
	v_add_u32_e32 v50, 0xc0, v49
	v_add_u32_e32 v51, 0xa0, v46
	v_cndmask_b32_e32 v50, v51, v50, vcc
	v_ashrrev_i32_e32 v51, 31, v50
	v_lshlrev_b64 v[50:51], 3, v[50:51]
	v_mov_b32_e32 v52, s43
	v_add_co_u32_e64 v50, s[0:1], s42, v50
	v_addc_co_u32_e64 v51, s[0:1], v52, v51, s[0:1]
	global_load_dwordx2 v[50:51], v[50:51], off
	v_add3_u32 v52, v0, v7, s92
	v_ashrrev_i32_e32 v53, 31, v52
	v_lshlrev_b64 v[54:55], 2, v[52:53]
	v_mov_b32_e32 v56, s5
	v_add_co_u32_e64 v54, s[0:1], s4, v54
	v_addc_co_u32_e64 v55, s[0:1], v56, v55, s[0:1]
	v_lshlrev_b64 v[52:53], 3, v[52:53]
	global_store_dword v[54:55], v33, off
	v_mov_b32_e32 v54, s41
	v_add_co_u32_e64 v52, s[0:1], s40, v52
	v_addc_co_u32_e64 v53, s[0:1], v54, v53, s[0:1]
	s_waitcnt vmcnt(1)
	global_store_dwordx2 v[52:53], v[50:51], off
	s_or_b64 exec, exec, s[88:89]
	s_and_saveexec_b64 s[88:89], s[12:13]
	s_cbranch_execz .LBB64_96
.LBB64_132:                             ;   in Loop: Header=BB64_21 Depth=1
	v_add_u32_e32 v49, 0xe0, v49
	v_add_u32_e32 v50, 0xa0, v47
	v_cndmask_b32_e32 v50, v50, v49, vcc
	v_ashrrev_i32_e32 v51, 31, v50
	v_lshlrev_b64 v[50:51], 3, v[50:51]
	v_mov_b32_e32 v49, s43
	v_add_co_u32_e64 v50, s[0:1], s42, v50
	v_addc_co_u32_e64 v51, s[0:1], v49, v51, s[0:1]
	global_load_dwordx2 v[50:51], v[50:51], off
	v_add3_u32 v52, v0, v7, s93
	v_ashrrev_i32_e32 v53, 31, v52
	v_lshlrev_b64 v[54:55], 2, v[52:53]
	v_mov_b32_e32 v49, s5
	v_add_co_u32_e64 v54, s[0:1], s4, v54
	v_addc_co_u32_e64 v55, s[0:1], v49, v55, s[0:1]
	v_lshlrev_b64 v[52:53], 3, v[52:53]
	v_mov_b32_e32 v49, s41
	v_add_co_u32_e64 v52, s[0:1], s40, v52
	v_addc_co_u32_e64 v53, s[0:1], v49, v53, s[0:1]
	global_store_dword v[54:55], v40, off
	s_waitcnt vmcnt(1)
	global_store_dwordx2 v[52:53], v[50:51], off
	s_or_b64 exec, exec, s[88:89]
	v_add_u32_e32 v49, s39, v30
	s_and_saveexec_b64 s[88:89], s[76:77]
	s_cbranch_execz .LBB64_97
.LBB64_133:                             ;   in Loop: Header=BB64_21 Depth=1
	v_add_u32_e32 v50, 0xc0, v48
	v_cndmask_b32_e32 v50, v50, v49, vcc
	v_ashrrev_i32_e32 v51, 31, v50
	v_lshlrev_b64 v[50:51], 3, v[50:51]
	v_mov_b32_e32 v52, s43
	v_add_co_u32_e64 v50, s[0:1], s42, v50
	v_addc_co_u32_e64 v51, s[0:1], v52, v51, s[0:1]
	global_load_dwordx2 v[50:51], v[50:51], off
	v_add_u32_e32 v52, v0, v5
	v_ashrrev_i32_e32 v53, 31, v52
	v_lshlrev_b64 v[54:55], 2, v[52:53]
	v_mov_b32_e32 v56, s5
	v_add_co_u32_e64 v54, s[0:1], s4, v54
	v_addc_co_u32_e64 v55, s[0:1], v56, v55, s[0:1]
	v_lshlrev_b64 v[52:53], 3, v[52:53]
	global_store_dword v[54:55], v21, off
	v_mov_b32_e32 v54, s41
	v_add_co_u32_e64 v52, s[0:1], s40, v52
	v_addc_co_u32_e64 v53, s[0:1], v54, v53, s[0:1]
	s_waitcnt vmcnt(1)
	global_store_dwordx2 v[52:53], v[50:51], off
	s_or_b64 exec, exec, s[88:89]
	s_and_saveexec_b64 s[88:89], s[78:79]
	s_cbranch_execz .LBB64_98
.LBB64_134:                             ;   in Loop: Header=BB64_21 Depth=1
	v_add3_u32 v50, v30, s39, 32
	v_add_u32_e32 v51, 0xc0, v41
	v_cndmask_b32_e32 v50, v51, v50, vcc
	v_ashrrev_i32_e32 v51, 31, v50
	v_lshlrev_b64 v[50:51], 3, v[50:51]
	v_mov_b32_e32 v52, s43
	v_add_co_u32_e64 v50, s[0:1], s42, v50
	v_addc_co_u32_e64 v51, s[0:1], v52, v51, s[0:1]
	global_load_dwordx2 v[50:51], v[50:51], off
	v_add3_u32 v52, v0, v5, 32
	v_ashrrev_i32_e32 v53, 31, v52
	v_lshlrev_b64 v[54:55], 2, v[52:53]
	v_mov_b32_e32 v56, s5
	v_add_co_u32_e64 v54, s[0:1], s4, v54
	v_addc_co_u32_e64 v55, s[0:1], v56, v55, s[0:1]
	v_lshlrev_b64 v[52:53], 3, v[52:53]
	global_store_dword v[54:55], v23, off
	v_mov_b32_e32 v54, s41
	v_add_co_u32_e64 v52, s[0:1], s40, v52
	v_addc_co_u32_e64 v53, s[0:1], v54, v53, s[0:1]
	s_waitcnt vmcnt(1)
	global_store_dwordx2 v[52:53], v[50:51], off
	s_or_b64 exec, exec, s[88:89]
	s_and_saveexec_b64 s[88:89], s[80:81]
	s_cbranch_execz .LBB64_99
.LBB64_135:                             ;   in Loop: Header=BB64_21 Depth=1
	v_add3_u32 v50, v30, s39, 64
	v_add_u32_e32 v51, 0xc0, v42
	v_cndmask_b32_e32 v50, v51, v50, vcc
	v_ashrrev_i32_e32 v51, 31, v50
	v_lshlrev_b64 v[50:51], 3, v[50:51]
	v_mov_b32_e32 v52, s43
	v_add_co_u32_e64 v50, s[0:1], s42, v50
	v_addc_co_u32_e64 v51, s[0:1], v52, v51, s[0:1]
	global_load_dwordx2 v[50:51], v[50:51], off
	v_add3_u32 v52, v0, v5, 64
	v_ashrrev_i32_e32 v53, 31, v52
	v_lshlrev_b64 v[54:55], 2, v[52:53]
	v_mov_b32_e32 v56, s5
	v_add_co_u32_e64 v54, s[0:1], s4, v54
	v_addc_co_u32_e64 v55, s[0:1], v56, v55, s[0:1]
	v_lshlrev_b64 v[52:53], 3, v[52:53]
	global_store_dword v[54:55], v25, off
	v_mov_b32_e32 v54, s41
	v_add_co_u32_e64 v52, s[0:1], s40, v52
	v_addc_co_u32_e64 v53, s[0:1], v54, v53, s[0:1]
	s_waitcnt vmcnt(1)
	global_store_dwordx2 v[52:53], v[50:51], off
	s_or_b64 exec, exec, s[88:89]
	s_and_saveexec_b64 s[88:89], s[82:83]
	s_cbranch_execz .LBB64_100
.LBB64_136:                             ;   in Loop: Header=BB64_21 Depth=1
	v_add_u32_e32 v50, 0x60, v49
	v_add_u32_e32 v51, 0xc0, v43
	v_cndmask_b32_e32 v50, v51, v50, vcc
	v_ashrrev_i32_e32 v51, 31, v50
	v_lshlrev_b64 v[50:51], 3, v[50:51]
	v_mov_b32_e32 v52, s43
	v_add_co_u32_e64 v50, s[0:1], s42, v50
	v_addc_co_u32_e64 v51, s[0:1], v52, v51, s[0:1]
	global_load_dwordx2 v[50:51], v[50:51], off
	v_add3_u32 v52, v0, v5, s33
	v_ashrrev_i32_e32 v53, 31, v52
	v_lshlrev_b64 v[54:55], 2, v[52:53]
	v_mov_b32_e32 v56, s5
	v_add_co_u32_e64 v54, s[0:1], s4, v54
	v_addc_co_u32_e64 v55, s[0:1], v56, v55, s[0:1]
	v_lshlrev_b64 v[52:53], 3, v[52:53]
	global_store_dword v[54:55], v27, off
	v_mov_b32_e32 v54, s41
	v_add_co_u32_e64 v52, s[0:1], s40, v52
	v_addc_co_u32_e64 v53, s[0:1], v54, v53, s[0:1]
	s_waitcnt vmcnt(1)
	global_store_dwordx2 v[52:53], v[50:51], off
	s_or_b64 exec, exec, s[88:89]
	s_and_saveexec_b64 s[88:89], s[84:85]
	s_cbranch_execz .LBB64_101
.LBB64_137:                             ;   in Loop: Header=BB64_21 Depth=1
	v_add_u32_e32 v50, 0x80, v49
	v_add_u32_e32 v51, 0xc0, v44
	v_cndmask_b32_e32 v50, v51, v50, vcc
	v_ashrrev_i32_e32 v51, 31, v50
	v_lshlrev_b64 v[50:51], 3, v[50:51]
	v_mov_b32_e32 v52, s43
	v_add_co_u32_e64 v50, s[0:1], s42, v50
	v_addc_co_u32_e64 v51, s[0:1], v52, v51, s[0:1]
	global_load_dwordx2 v[50:51], v[50:51], off
	v_add3_u32 v52, v0, v5, s90
	v_ashrrev_i32_e32 v53, 31, v52
	v_lshlrev_b64 v[54:55], 2, v[52:53]
	v_mov_b32_e32 v56, s5
	v_add_co_u32_e64 v54, s[0:1], s4, v54
	v_addc_co_u32_e64 v55, s[0:1], v56, v55, s[0:1]
	v_lshlrev_b64 v[52:53], 3, v[52:53]
	global_store_dword v[54:55], v29, off
	v_mov_b32_e32 v54, s41
	v_add_co_u32_e64 v52, s[0:1], s40, v52
	v_addc_co_u32_e64 v53, s[0:1], v54, v53, s[0:1]
	s_waitcnt vmcnt(1)
	global_store_dwordx2 v[52:53], v[50:51], off
	s_or_b64 exec, exec, s[88:89]
	s_and_saveexec_b64 s[88:89], s[86:87]
	s_cbranch_execz .LBB64_102
.LBB64_138:                             ;   in Loop: Header=BB64_21 Depth=1
	v_add_u32_e32 v50, 0xa0, v49
	v_add_u32_e32 v51, 0xc0, v45
	v_cndmask_b32_e32 v50, v51, v50, vcc
	v_ashrrev_i32_e32 v51, 31, v50
	v_lshlrev_b64 v[50:51], 3, v[50:51]
	v_mov_b32_e32 v52, s43
	v_add_co_u32_e64 v50, s[0:1], s42, v50
	v_addc_co_u32_e64 v51, s[0:1], v52, v51, s[0:1]
	global_load_dwordx2 v[50:51], v[50:51], off
	v_add3_u32 v52, v0, v5, s91
	v_ashrrev_i32_e32 v53, 31, v52
	v_lshlrev_b64 v[54:55], 2, v[52:53]
	v_mov_b32_e32 v56, s5
	v_add_co_u32_e64 v54, s[0:1], s4, v54
	v_addc_co_u32_e64 v55, s[0:1], v56, v55, s[0:1]
	v_lshlrev_b64 v[52:53], 3, v[52:53]
	global_store_dword v[54:55], v31, off
	v_mov_b32_e32 v54, s41
	v_add_co_u32_e64 v52, s[0:1], s40, v52
	v_addc_co_u32_e64 v53, s[0:1], v54, v53, s[0:1]
	s_waitcnt vmcnt(1)
	global_store_dwordx2 v[52:53], v[50:51], off
	s_or_b64 exec, exec, s[88:89]
	s_and_saveexec_b64 s[88:89], s[6:7]
	s_cbranch_execz .LBB64_103
.LBB64_139:                             ;   in Loop: Header=BB64_21 Depth=1
	v_cndmask_b32_e32 v50, v8, v30, vcc
	v_add_u32_e32 v50, s39, v50
	v_add_u32_e32 v50, 0xc0, v50
	v_ashrrev_i32_e32 v51, 31, v50
	v_lshlrev_b64 v[50:51], 3, v[50:51]
	v_mov_b32_e32 v52, s43
	v_add_co_u32_e64 v50, s[0:1], s42, v50
	v_addc_co_u32_e64 v51, s[0:1], v52, v51, s[0:1]
	global_load_dwordx2 v[50:51], v[50:51], off
	v_add3_u32 v52, v0, v5, s92
	v_ashrrev_i32_e32 v53, 31, v52
	v_lshlrev_b64 v[54:55], 2, v[52:53]
	v_mov_b32_e32 v56, s5
	v_add_co_u32_e64 v54, s[0:1], s4, v54
	v_addc_co_u32_e64 v55, s[0:1], v56, v55, s[0:1]
	v_lshlrev_b64 v[52:53], 3, v[52:53]
	global_store_dword v[54:55], v33, off
	v_mov_b32_e32 v54, s41
	v_add_co_u32_e64 v52, s[0:1], s40, v52
	v_addc_co_u32_e64 v53, s[0:1], v54, v53, s[0:1]
	s_waitcnt vmcnt(1)
	global_store_dwordx2 v[52:53], v[50:51], off
	s_or_b64 exec, exec, s[88:89]
	s_and_saveexec_b64 s[88:89], s[14:15]
	s_cbranch_execz .LBB64_104
.LBB64_140:                             ;   in Loop: Header=BB64_21 Depth=1
	v_add_u32_e32 v49, 0xe0, v49
	v_add_u32_e32 v47, 0xc0, v47
	v_cndmask_b32_e32 v50, v47, v49, vcc
	v_ashrrev_i32_e32 v51, 31, v50
	v_lshlrev_b64 v[50:51], 3, v[50:51]
	v_mov_b32_e32 v47, s43
	v_add_co_u32_e64 v50, s[0:1], s42, v50
	v_addc_co_u32_e64 v51, s[0:1], v47, v51, s[0:1]
	global_load_dwordx2 v[50:51], v[50:51], off
	v_add3_u32 v52, v0, v5, s93
	v_ashrrev_i32_e32 v53, 31, v52
	v_lshlrev_b64 v[54:55], 2, v[52:53]
	v_mov_b32_e32 v47, s5
	v_add_co_u32_e64 v54, s[0:1], s4, v54
	v_addc_co_u32_e64 v55, s[0:1], v47, v55, s[0:1]
	v_lshlrev_b64 v[52:53], 3, v[52:53]
	v_mov_b32_e32 v47, s41
	v_add_co_u32_e64 v52, s[0:1], s40, v52
	v_addc_co_u32_e64 v53, s[0:1], v47, v53, s[0:1]
	global_store_dword v[54:55], v40, off
	s_waitcnt vmcnt(1)
	global_store_dwordx2 v[52:53], v[50:51], off
	s_or_b64 exec, exec, s[88:89]
	v_add_u32_e32 v47, s39, v32
	s_and_saveexec_b64 s[88:89], s[18:19]
	s_cbranch_execz .LBB64_105
.LBB64_141:                             ;   in Loop: Header=BB64_21 Depth=1
	v_add_u32_e32 v48, 0xe0, v48
	v_cndmask_b32_e32 v48, v48, v47, vcc
	v_ashrrev_i32_e32 v49, 31, v48
	v_lshlrev_b64 v[48:49], 3, v[48:49]
	v_mov_b32_e32 v50, s43
	v_add_co_u32_e64 v48, s[0:1], s42, v48
	v_addc_co_u32_e64 v49, s[0:1], v50, v49, s[0:1]
	global_load_dwordx2 v[48:49], v[48:49], off
	v_add_u32_e32 v50, v0, v3
	v_ashrrev_i32_e32 v51, 31, v50
	v_lshlrev_b64 v[52:53], 2, v[50:51]
	v_mov_b32_e32 v54, s5
	v_add_co_u32_e64 v52, s[0:1], s4, v52
	v_addc_co_u32_e64 v53, s[0:1], v54, v53, s[0:1]
	v_lshlrev_b64 v[50:51], 3, v[50:51]
	global_store_dword v[52:53], v21, off
	v_mov_b32_e32 v21, s41
	v_add_co_u32_e64 v50, s[0:1], s40, v50
	v_addc_co_u32_e64 v51, s[0:1], v21, v51, s[0:1]
	s_waitcnt vmcnt(1)
	global_store_dwordx2 v[50:51], v[48:49], off
	s_or_b64 exec, exec, s[88:89]
	s_and_saveexec_b64 s[88:89], s[20:21]
	s_cbranch_execz .LBB64_106
.LBB64_142:                             ;   in Loop: Header=BB64_21 Depth=1
	v_add3_u32 v21, v32, s39, 32
	v_add_u32_e32 v41, 0xe0, v41
	v_cndmask_b32_e32 v48, v41, v21, vcc
	v_ashrrev_i32_e32 v49, 31, v48
	v_lshlrev_b64 v[48:49], 3, v[48:49]
	v_mov_b32_e32 v21, s43
	v_add_co_u32_e64 v48, s[0:1], s42, v48
	v_addc_co_u32_e64 v49, s[0:1], v21, v49, s[0:1]
	global_load_dwordx2 v[48:49], v[48:49], off
	v_add3_u32 v50, v0, v3, 32
	v_ashrrev_i32_e32 v51, 31, v50
	v_lshlrev_b64 v[52:53], 2, v[50:51]
	v_mov_b32_e32 v21, s5
	v_add_co_u32_e64 v52, s[0:1], s4, v52
	v_addc_co_u32_e64 v53, s[0:1], v21, v53, s[0:1]
	v_lshlrev_b64 v[50:51], 3, v[50:51]
	v_mov_b32_e32 v21, s41
	v_add_co_u32_e64 v50, s[0:1], s40, v50
	v_addc_co_u32_e64 v51, s[0:1], v21, v51, s[0:1]
	global_store_dword v[52:53], v23, off
	s_waitcnt vmcnt(1)
	global_store_dwordx2 v[50:51], v[48:49], off
	s_or_b64 exec, exec, s[88:89]
	s_and_saveexec_b64 s[88:89], s[22:23]
	s_cbranch_execz .LBB64_107
.LBB64_143:                             ;   in Loop: Header=BB64_21 Depth=1
	v_add3_u32 v21, v32, s39, 64
	v_add_u32_e32 v23, 0xe0, v42
	v_cndmask_b32_e32 v48, v23, v21, vcc
	v_ashrrev_i32_e32 v49, 31, v48
	v_lshlrev_b64 v[48:49], 3, v[48:49]
	v_mov_b32_e32 v21, s43
	v_add_co_u32_e64 v48, s[0:1], s42, v48
	v_addc_co_u32_e64 v49, s[0:1], v21, v49, s[0:1]
	global_load_dwordx2 v[48:49], v[48:49], off
	v_add3_u32 v50, v0, v3, 64
	v_ashrrev_i32_e32 v51, 31, v50
	v_lshlrev_b64 v[52:53], 2, v[50:51]
	v_mov_b32_e32 v21, s5
	v_add_co_u32_e64 v52, s[0:1], s4, v52
	v_addc_co_u32_e64 v53, s[0:1], v21, v53, s[0:1]
	v_lshlrev_b64 v[50:51], 3, v[50:51]
	v_mov_b32_e32 v21, s41
	v_add_co_u32_e64 v50, s[0:1], s40, v50
	v_addc_co_u32_e64 v51, s[0:1], v21, v51, s[0:1]
	global_store_dword v[52:53], v25, off
	s_waitcnt vmcnt(1)
	global_store_dwordx2 v[50:51], v[48:49], off
	s_or_b64 exec, exec, s[88:89]
	s_and_saveexec_b64 s[88:89], s[24:25]
	s_cbranch_execz .LBB64_108
.LBB64_144:                             ;   in Loop: Header=BB64_21 Depth=1
	v_add_u32_e32 v21, 0x60, v47
	v_add_u32_e32 v23, 0xe0, v43
	v_cndmask_b32_e32 v42, v23, v21, vcc
	v_ashrrev_i32_e32 v43, 31, v42
	v_lshlrev_b64 v[42:43], 3, v[42:43]
	v_mov_b32_e32 v21, s43
	v_add_co_u32_e64 v42, s[0:1], s42, v42
	v_addc_co_u32_e64 v43, s[0:1], v21, v43, s[0:1]
	global_load_dwordx2 v[42:43], v[42:43], off
	v_add3_u32 v48, v0, v3, s33
	v_ashrrev_i32_e32 v49, 31, v48
	v_lshlrev_b64 v[50:51], 2, v[48:49]
	v_mov_b32_e32 v21, s5
	v_add_co_u32_e64 v50, s[0:1], s4, v50
	v_addc_co_u32_e64 v51, s[0:1], v21, v51, s[0:1]
	v_lshlrev_b64 v[48:49], 3, v[48:49]
	v_mov_b32_e32 v21, s41
	v_add_co_u32_e64 v48, s[0:1], s40, v48
	v_addc_co_u32_e64 v49, s[0:1], v21, v49, s[0:1]
	global_store_dword v[50:51], v27, off
	s_waitcnt vmcnt(1)
	global_store_dwordx2 v[48:49], v[42:43], off
	s_or_b64 exec, exec, s[88:89]
	s_and_saveexec_b64 s[88:89], s[26:27]
	s_cbranch_execz .LBB64_109
.LBB64_145:                             ;   in Loop: Header=BB64_21 Depth=1
	v_add_u32_e32 v21, 0x80, v47
	v_add_u32_e32 v23, 0xe0, v44
	v_cndmask_b32_e32 v42, v23, v21, vcc
	v_ashrrev_i32_e32 v43, 31, v42
	v_lshlrev_b64 v[42:43], 3, v[42:43]
	v_mov_b32_e32 v21, s43
	v_add_co_u32_e64 v42, s[0:1], s42, v42
	v_addc_co_u32_e64 v43, s[0:1], v21, v43, s[0:1]
	global_load_dwordx2 v[42:43], v[42:43], off
	v_add3_u32 v48, v0, v3, s90
	v_ashrrev_i32_e32 v49, 31, v48
	v_lshlrev_b64 v[50:51], 2, v[48:49]
	v_mov_b32_e32 v21, s5
	v_add_co_u32_e64 v50, s[0:1], s4, v50
	v_addc_co_u32_e64 v51, s[0:1], v21, v51, s[0:1]
	v_lshlrev_b64 v[48:49], 3, v[48:49]
	v_mov_b32_e32 v21, s41
	v_add_co_u32_e64 v48, s[0:1], s40, v48
	v_addc_co_u32_e64 v49, s[0:1], v21, v49, s[0:1]
	global_store_dword v[50:51], v29, off
	s_waitcnt vmcnt(1)
	global_store_dwordx2 v[48:49], v[42:43], off
	s_or_b64 exec, exec, s[88:89]
	s_and_saveexec_b64 s[88:89], s[28:29]
	s_cbranch_execz .LBB64_110
.LBB64_146:                             ;   in Loop: Header=BB64_21 Depth=1
	v_add_u32_e32 v21, 0xa0, v47
	v_add_u32_e32 v23, 0xe0, v45
	v_cndmask_b32_e32 v42, v23, v21, vcc
	v_ashrrev_i32_e32 v43, 31, v42
	v_lshlrev_b64 v[42:43], 3, v[42:43]
	v_mov_b32_e32 v21, s43
	v_add_co_u32_e64 v42, s[0:1], s42, v42
	v_addc_co_u32_e64 v43, s[0:1], v21, v43, s[0:1]
	global_load_dwordx2 v[42:43], v[42:43], off
	v_add3_u32 v44, v0, v3, s91
	v_ashrrev_i32_e32 v45, 31, v44
	v_lshlrev_b64 v[48:49], 2, v[44:45]
	v_mov_b32_e32 v21, s5
	v_add_co_u32_e64 v48, s[0:1], s4, v48
	v_addc_co_u32_e64 v49, s[0:1], v21, v49, s[0:1]
	v_lshlrev_b64 v[44:45], 3, v[44:45]
	v_mov_b32_e32 v21, s41
	v_add_co_u32_e64 v44, s[0:1], s40, v44
	v_addc_co_u32_e64 v45, s[0:1], v21, v45, s[0:1]
	global_store_dword v[48:49], v31, off
	s_waitcnt vmcnt(1)
	global_store_dwordx2 v[44:45], v[42:43], off
	s_or_b64 exec, exec, s[88:89]
	s_and_saveexec_b64 s[88:89], s[30:31]
	s_cbranch_execz .LBB64_111
.LBB64_147:                             ;   in Loop: Header=BB64_21 Depth=1
	v_add_u32_e32 v21, 0xc0, v47
	v_add_u32_e32 v23, 0xe0, v46
	v_cndmask_b32_e32 v42, v23, v21, vcc
	v_ashrrev_i32_e32 v43, 31, v42
	v_lshlrev_b64 v[42:43], 3, v[42:43]
	v_mov_b32_e32 v21, s43
	v_add_co_u32_e64 v42, s[0:1], s42, v42
	v_addc_co_u32_e64 v43, s[0:1], v21, v43, s[0:1]
	global_load_dwordx2 v[42:43], v[42:43], off
	v_add3_u32 v44, v0, v3, s92
	v_ashrrev_i32_e32 v45, 31, v44
	v_lshlrev_b64 v[46:47], 2, v[44:45]
	v_mov_b32_e32 v21, s5
	v_add_co_u32_e64 v46, s[0:1], s4, v46
	v_addc_co_u32_e64 v47, s[0:1], v21, v47, s[0:1]
	v_lshlrev_b64 v[44:45], 3, v[44:45]
	v_mov_b32_e32 v21, s41
	v_add_co_u32_e64 v44, s[0:1], s40, v44
	v_addc_co_u32_e64 v45, s[0:1], v21, v45, s[0:1]
	global_store_dword v[46:47], v33, off
	s_waitcnt vmcnt(1)
	global_store_dwordx2 v[44:45], v[42:43], off
	s_or_b64 exec, exec, s[88:89]
	s_and_saveexec_b64 s[88:89], s[16:17]
	s_cbranch_execz .LBB64_20
.LBB64_148:                             ;   in Loop: Header=BB64_21 Depth=1
	v_cndmask_b32_e32 v21, v6, v32, vcc
	v_add_u32_e32 v21, s39, v21
	v_add_u32_e32 v42, 0xe0, v21
	v_ashrrev_i32_e32 v43, 31, v42
	v_lshlrev_b64 v[42:43], 3, v[42:43]
	v_mov_b32_e32 v21, s43
	v_add_co_u32_e64 v42, s[0:1], s42, v42
	v_addc_co_u32_e64 v43, s[0:1], v21, v43, s[0:1]
	global_load_dwordx2 v[42:43], v[42:43], off
	v_add3_u32 v44, v0, v3, s93
	v_ashrrev_i32_e32 v45, 31, v44
	v_lshlrev_b64 v[46:47], 2, v[44:45]
	v_mov_b32_e32 v21, s5
	v_add_co_u32_e64 v46, s[0:1], s4, v46
	v_addc_co_u32_e64 v47, s[0:1], v21, v47, s[0:1]
	global_store_dword v[46:47], v40, off
	v_lshlrev_b64 v[40:41], 3, v[44:45]
	v_mov_b32_e32 v21, s41
	v_add_co_u32_e64 v40, s[0:1], s40, v40
	v_addc_co_u32_e64 v41, s[0:1], v21, v41, s[0:1]
	s_waitcnt vmcnt(1)
	global_store_dwordx2 v[40:41], v[42:43], off
	s_branch .LBB64_20
.LBB64_149:
	s_endpgm
	.section	.rodata,"a",@progbits
	.p2align	6, 0x0
	.amdhsa_kernel _ZN9rocsparseL35bsr2csr_block_per_row_33_256_kernelILj1024ELj256ELj32EliiEEv20rocsparse_direction_T4_S2_21rocsparse_index_base_PKT2_PKT3_PKS2_S2_S3_PS4_PS7_PS2_
		.amdhsa_group_segment_fixed_size 0
		.amdhsa_private_segment_fixed_size 0
		.amdhsa_kernarg_size 72
		.amdhsa_user_sgpr_count 6
		.amdhsa_user_sgpr_private_segment_buffer 1
		.amdhsa_user_sgpr_dispatch_ptr 0
		.amdhsa_user_sgpr_queue_ptr 0
		.amdhsa_user_sgpr_kernarg_segment_ptr 1
		.amdhsa_user_sgpr_dispatch_id 0
		.amdhsa_user_sgpr_flat_scratch_init 0
		.amdhsa_user_sgpr_kernarg_preload_length 0
		.amdhsa_user_sgpr_kernarg_preload_offset 0
		.amdhsa_user_sgpr_private_segment_size 0
		.amdhsa_uses_dynamic_stack 0
		.amdhsa_system_sgpr_private_segment_wavefront_offset 0
		.amdhsa_system_sgpr_workgroup_id_x 1
		.amdhsa_system_sgpr_workgroup_id_y 0
		.amdhsa_system_sgpr_workgroup_id_z 0
		.amdhsa_system_sgpr_workgroup_info 0
		.amdhsa_system_vgpr_workitem_id 0
		.amdhsa_next_free_vgpr 58
		.amdhsa_next_free_sgpr 96
		.amdhsa_accum_offset 60
		.amdhsa_reserve_vcc 1
		.amdhsa_reserve_flat_scratch 0
		.amdhsa_float_round_mode_32 0
		.amdhsa_float_round_mode_16_64 0
		.amdhsa_float_denorm_mode_32 3
		.amdhsa_float_denorm_mode_16_64 3
		.amdhsa_dx10_clamp 1
		.amdhsa_ieee_mode 1
		.amdhsa_fp16_overflow 0
		.amdhsa_tg_split 0
		.amdhsa_exception_fp_ieee_invalid_op 0
		.amdhsa_exception_fp_denorm_src 0
		.amdhsa_exception_fp_ieee_div_zero 0
		.amdhsa_exception_fp_ieee_overflow 0
		.amdhsa_exception_fp_ieee_underflow 0
		.amdhsa_exception_fp_ieee_inexact 0
		.amdhsa_exception_int_div_zero 0
	.end_amdhsa_kernel
	.section	.text._ZN9rocsparseL35bsr2csr_block_per_row_33_256_kernelILj1024ELj256ELj32EliiEEv20rocsparse_direction_T4_S2_21rocsparse_index_base_PKT2_PKT3_PKS2_S2_S3_PS4_PS7_PS2_,"axG",@progbits,_ZN9rocsparseL35bsr2csr_block_per_row_33_256_kernelILj1024ELj256ELj32EliiEEv20rocsparse_direction_T4_S2_21rocsparse_index_base_PKT2_PKT3_PKS2_S2_S3_PS4_PS7_PS2_,comdat
.Lfunc_end64:
	.size	_ZN9rocsparseL35bsr2csr_block_per_row_33_256_kernelILj1024ELj256ELj32EliiEEv20rocsparse_direction_T4_S2_21rocsparse_index_base_PKT2_PKT3_PKS2_S2_S3_PS4_PS7_PS2_, .Lfunc_end64-_ZN9rocsparseL35bsr2csr_block_per_row_33_256_kernelILj1024ELj256ELj32EliiEEv20rocsparse_direction_T4_S2_21rocsparse_index_base_PKT2_PKT3_PKS2_S2_S3_PS4_PS7_PS2_
                                        ; -- End function
	.section	.AMDGPU.csdata,"",@progbits
; Kernel info:
; codeLenInByte = 13556
; NumSgprs: 100
; NumVgprs: 58
; NumAgprs: 0
; TotalNumVgprs: 58
; ScratchSize: 0
; MemoryBound: 0
; FloatMode: 240
; IeeeMode: 1
; LDSByteSize: 0 bytes/workgroup (compile time only)
; SGPRBlocks: 12
; VGPRBlocks: 7
; NumSGPRsForWavesPerEU: 100
; NumVGPRsForWavesPerEU: 58
; AccumOffset: 60
; Occupancy: 8
; WaveLimiterHint : 1
; COMPUTE_PGM_RSRC2:SCRATCH_EN: 0
; COMPUTE_PGM_RSRC2:USER_SGPR: 6
; COMPUTE_PGM_RSRC2:TRAP_HANDLER: 0
; COMPUTE_PGM_RSRC2:TGID_X_EN: 1
; COMPUTE_PGM_RSRC2:TGID_Y_EN: 0
; COMPUTE_PGM_RSRC2:TGID_Z_EN: 0
; COMPUTE_PGM_RSRC2:TIDIG_COMP_CNT: 0
; COMPUTE_PGM_RSRC3_GFX90A:ACCUM_OFFSET: 14
; COMPUTE_PGM_RSRC3_GFX90A:TG_SPLIT: 0
	.section	.text._ZN9rocsparseL35bsr2csr_block_dim_equals_one_kernelILj1024ElliEEvT2_S1_21rocsparse_index_base_PKT0_PKT1_PKS1_S2_PS3_PS6_PS1_,"axG",@progbits,_ZN9rocsparseL35bsr2csr_block_dim_equals_one_kernelILj1024ElliEEvT2_S1_21rocsparse_index_base_PKT0_PKT1_PKS1_S2_PS3_PS6_PS1_,comdat
	.globl	_ZN9rocsparseL35bsr2csr_block_dim_equals_one_kernelILj1024ElliEEvT2_S1_21rocsparse_index_base_PKT0_PKT1_PKS1_S2_PS3_PS6_PS1_ ; -- Begin function _ZN9rocsparseL35bsr2csr_block_dim_equals_one_kernelILj1024ElliEEvT2_S1_21rocsparse_index_base_PKT0_PKT1_PKS1_S2_PS3_PS6_PS1_
	.p2align	8
	.type	_ZN9rocsparseL35bsr2csr_block_dim_equals_one_kernelILj1024ElliEEvT2_S1_21rocsparse_index_base_PKT0_PKT1_PKS1_S2_PS3_PS6_PS1_,@function
_ZN9rocsparseL35bsr2csr_block_dim_equals_one_kernelILj1024ElliEEvT2_S1_21rocsparse_index_base_PKT0_PKT1_PKS1_S2_PS3_PS6_PS1_: ; @_ZN9rocsparseL35bsr2csr_block_dim_equals_one_kernelILj1024ElliEEvT2_S1_21rocsparse_index_base_PKT0_PKT1_PKS1_S2_PS3_PS6_PS1_
; %bb.0:
	s_load_dword s12, s[4:5], 0x0
	s_load_dwordx2 s[10:11], s[4:5], 0x18
	s_lshl_b32 s22, s6, 10
	v_or_b32_e32 v2, s22, v0
	v_ashrrev_i32_e32 v3, 31, v2
	s_waitcnt lgkmcnt(0)
	v_cmp_le_i32_e32 vcc, s12, v2
	s_and_saveexec_b64 s[0:1], vcc
	s_xor_b64 s[0:1], exec, s[0:1]
	s_or_saveexec_b64 s[14:15], s[0:1]
	s_load_dwordx2 s[0:1], s[4:5], 0x40
	s_load_dwordx2 s[2:3], s[4:5], 0x30
	;; [unrolled: 1-line block ×3, first 2 shown]
	s_load_dword s23, s[4:5], 0x28
	s_load_dwordx2 s[8:9], s[4:5], 0x10
	s_load_dword s24, s[4:5], 0x8
	s_xor_b64 exec, exec, s[14:15]
	s_cbranch_execz .LBB65_6
; %bb.1:
	s_load_dwordx2 s[16:17], s[4:5], 0x38
	v_cmp_ne_u32_e32 vcc, 0, v2
                                        ; implicit-def: $sgpr20_sgpr21
	s_and_saveexec_b64 s[18:19], vcc
	s_xor_b64 s[18:19], exec, s[18:19]
	s_cbranch_execz .LBB65_3
; %bb.2:
	s_waitcnt lgkmcnt(0)
	s_sub_u32 s20, s23, s24
	s_subb_u32 s21, 0, 0
.LBB65_3:
	s_or_saveexec_b64 s[18:19], s[18:19]
	v_pk_mov_b32 v[4:5], s[20:21], s[20:21] op_sel:[0,1]
	s_xor_b64 exec, exec, s[18:19]
	s_cbranch_execz .LBB65_5
; %bb.4:
	s_load_dwordx2 s[20:21], s[10:11], 0x0
	s_waitcnt lgkmcnt(0)
	s_sub_u32 s26, s23, s24
	s_subb_u32 s27, 0, 0
	v_mov_b32_e32 v1, 0
	s_add_u32 s20, s26, s20
	s_addc_u32 s21, s27, s21
	v_pk_mov_b32 v[4:5], s[20:21], s[20:21] op_sel:[0,1]
	global_store_dwordx2 v1, v[4:5], s[16:17]
	v_pk_mov_b32 v[4:5], s[26:27], s[26:27] op_sel:[0,1]
.LBB65_5:
	s_or_b64 exec, exec, s[18:19]
	v_lshlrev_b64 v[6:7], 3, v[2:3]
	v_mov_b32_e32 v1, s11
	v_add_co_u32_e32 v8, vcc, s10, v6
	v_addc_co_u32_e32 v9, vcc, v1, v7, vcc
	global_load_dwordx2 v[8:9], v[8:9], off offset:8
	s_waitcnt lgkmcnt(0)
	v_mov_b32_e32 v1, s17
	s_waitcnt vmcnt(0)
	v_add_co_u32_e32 v4, vcc, v4, v8
	v_addc_co_u32_e32 v5, vcc, v5, v9, vcc
	v_add_co_u32_e32 v6, vcc, s16, v6
	v_addc_co_u32_e32 v7, vcc, v1, v7, vcc
	global_store_dwordx2 v[6:7], v[4:5], off offset:8
.LBB65_6:
	s_or_b64 exec, exec, s[14:15]
	s_ashr_i32 s13, s12, 31
	s_lshl_b64 s[12:13], s[12:13], 3
	s_add_u32 s12, s10, s12
	s_addc_u32 s13, s11, s13
	s_load_dwordx2 s[14:15], s[12:13], 0x0
	s_load_dwordx2 s[16:17], s[10:11], 0x0
	s_waitcnt lgkmcnt(0)
	s_sub_u32 s10, s14, s16
	s_subb_u32 s11, s15, s17
	v_cmp_gt_i64_e32 vcc, s[10:11], v[2:3]
	s_and_saveexec_b64 s[12:13], vcc
	s_cbranch_execz .LBB65_9
; %bb.7:
	s_load_dword s13, s[4:5], 0x48
	v_mov_b32_e32 v5, s1
	v_mov_b32_e32 v4, s7
	s_sub_i32 s12, s23, s24
	s_mov_b64 s[4:5], 0
	s_waitcnt lgkmcnt(0)
	s_lshl_b32 s1, s13, 10
	s_add_i32 s7, s1, s22
	v_add_u32_e32 v0, s7, v0
	v_mov_b32_e32 v6, s9
	v_mov_b32_e32 v7, s3
.LBB65_8:                               ; =>This Inner Loop Header: Depth=1
	v_lshlrev_b64 v[8:9], 2, v[2:3]
	v_add_co_u32_e32 v10, vcc, s6, v8
	v_lshlrev_b64 v[2:3], 3, v[2:3]
	v_addc_co_u32_e32 v11, vcc, v4, v9, vcc
	v_add_co_u32_e32 v12, vcc, s8, v2
	v_addc_co_u32_e32 v13, vcc, v6, v3, vcc
	global_load_dword v16, v[10:11], off
	global_load_dwordx2 v[14:15], v[12:13], off
	v_add_co_u32_e32 v8, vcc, s0, v8
	v_addc_co_u32_e32 v9, vcc, v5, v9, vcc
	v_add_co_u32_e32 v10, vcc, s2, v2
	v_ashrrev_i32_e32 v1, 31, v0
	v_addc_co_u32_e32 v11, vcc, v7, v3, vcc
	v_cmp_le_i64_e32 vcc, s[10:11], v[0:1]
	v_pk_mov_b32 v[2:3], v[0:1], v[0:1] op_sel:[0,1]
	v_add_u32_e32 v0, s1, v0
	s_or_b64 s[4:5], vcc, s[4:5]
	s_waitcnt vmcnt(1)
	v_add_u32_e32 v1, s12, v16
	s_waitcnt vmcnt(0)
	global_store_dwordx2 v[10:11], v[14:15], off
	global_store_dword v[8:9], v1, off
	s_andn2_b64 exec, exec, s[4:5]
	s_cbranch_execnz .LBB65_8
.LBB65_9:
	s_endpgm
	.section	.rodata,"a",@progbits
	.p2align	6, 0x0
	.amdhsa_kernel _ZN9rocsparseL35bsr2csr_block_dim_equals_one_kernelILj1024ElliEEvT2_S1_21rocsparse_index_base_PKT0_PKT1_PKS1_S2_PS3_PS6_PS1_
		.amdhsa_group_segment_fixed_size 0
		.amdhsa_private_segment_fixed_size 0
		.amdhsa_kernarg_size 328
		.amdhsa_user_sgpr_count 6
		.amdhsa_user_sgpr_private_segment_buffer 1
		.amdhsa_user_sgpr_dispatch_ptr 0
		.amdhsa_user_sgpr_queue_ptr 0
		.amdhsa_user_sgpr_kernarg_segment_ptr 1
		.amdhsa_user_sgpr_dispatch_id 0
		.amdhsa_user_sgpr_flat_scratch_init 0
		.amdhsa_user_sgpr_kernarg_preload_length 0
		.amdhsa_user_sgpr_kernarg_preload_offset 0
		.amdhsa_user_sgpr_private_segment_size 0
		.amdhsa_uses_dynamic_stack 0
		.amdhsa_system_sgpr_private_segment_wavefront_offset 0
		.amdhsa_system_sgpr_workgroup_id_x 1
		.amdhsa_system_sgpr_workgroup_id_y 0
		.amdhsa_system_sgpr_workgroup_id_z 0
		.amdhsa_system_sgpr_workgroup_info 0
		.amdhsa_system_vgpr_workitem_id 0
		.amdhsa_next_free_vgpr 17
		.amdhsa_next_free_sgpr 28
		.amdhsa_accum_offset 20
		.amdhsa_reserve_vcc 1
		.amdhsa_reserve_flat_scratch 0
		.amdhsa_float_round_mode_32 0
		.amdhsa_float_round_mode_16_64 0
		.amdhsa_float_denorm_mode_32 3
		.amdhsa_float_denorm_mode_16_64 3
		.amdhsa_dx10_clamp 1
		.amdhsa_ieee_mode 1
		.amdhsa_fp16_overflow 0
		.amdhsa_tg_split 0
		.amdhsa_exception_fp_ieee_invalid_op 0
		.amdhsa_exception_fp_denorm_src 0
		.amdhsa_exception_fp_ieee_div_zero 0
		.amdhsa_exception_fp_ieee_overflow 0
		.amdhsa_exception_fp_ieee_underflow 0
		.amdhsa_exception_fp_ieee_inexact 0
		.amdhsa_exception_int_div_zero 0
	.end_amdhsa_kernel
	.section	.text._ZN9rocsparseL35bsr2csr_block_dim_equals_one_kernelILj1024ElliEEvT2_S1_21rocsparse_index_base_PKT0_PKT1_PKS1_S2_PS3_PS6_PS1_,"axG",@progbits,_ZN9rocsparseL35bsr2csr_block_dim_equals_one_kernelILj1024ElliEEvT2_S1_21rocsparse_index_base_PKT0_PKT1_PKS1_S2_PS3_PS6_PS1_,comdat
.Lfunc_end65:
	.size	_ZN9rocsparseL35bsr2csr_block_dim_equals_one_kernelILj1024ElliEEvT2_S1_21rocsparse_index_base_PKT0_PKT1_PKS1_S2_PS3_PS6_PS1_, .Lfunc_end65-_ZN9rocsparseL35bsr2csr_block_dim_equals_one_kernelILj1024ElliEEvT2_S1_21rocsparse_index_base_PKT0_PKT1_PKS1_S2_PS3_PS6_PS1_
                                        ; -- End function
	.section	.AMDGPU.csdata,"",@progbits
; Kernel info:
; codeLenInByte = 520
; NumSgprs: 32
; NumVgprs: 17
; NumAgprs: 0
; TotalNumVgprs: 17
; ScratchSize: 0
; MemoryBound: 0
; FloatMode: 240
; IeeeMode: 1
; LDSByteSize: 0 bytes/workgroup (compile time only)
; SGPRBlocks: 3
; VGPRBlocks: 2
; NumSGPRsForWavesPerEU: 32
; NumVGPRsForWavesPerEU: 17
; AccumOffset: 20
; Occupancy: 8
; WaveLimiterHint : 0
; COMPUTE_PGM_RSRC2:SCRATCH_EN: 0
; COMPUTE_PGM_RSRC2:USER_SGPR: 6
; COMPUTE_PGM_RSRC2:TRAP_HANDLER: 0
; COMPUTE_PGM_RSRC2:TGID_X_EN: 1
; COMPUTE_PGM_RSRC2:TGID_Y_EN: 0
; COMPUTE_PGM_RSRC2:TGID_Z_EN: 0
; COMPUTE_PGM_RSRC2:TIDIG_COMP_CNT: 0
; COMPUTE_PGM_RSRC3_GFX90A:ACCUM_OFFSET: 4
; COMPUTE_PGM_RSRC3_GFX90A:TG_SPLIT: 0
	.section	.text._ZN9rocsparseL32bsr2csr_block_per_row_2_7_kernelILj256ELj2ElliEEv20rocsparse_direction_T3_S2_21rocsparse_index_base_PKT1_PKT2_PKS2_S2_S3_PS4_PS7_PS2_,"axG",@progbits,_ZN9rocsparseL32bsr2csr_block_per_row_2_7_kernelILj256ELj2ElliEEv20rocsparse_direction_T3_S2_21rocsparse_index_base_PKT1_PKT2_PKS2_S2_S3_PS4_PS7_PS2_,comdat
	.globl	_ZN9rocsparseL32bsr2csr_block_per_row_2_7_kernelILj256ELj2ElliEEv20rocsparse_direction_T3_S2_21rocsparse_index_base_PKT1_PKT2_PKS2_S2_S3_PS4_PS7_PS2_ ; -- Begin function _ZN9rocsparseL32bsr2csr_block_per_row_2_7_kernelILj256ELj2ElliEEv20rocsparse_direction_T3_S2_21rocsparse_index_base_PKT1_PKT2_PKS2_S2_S3_PS4_PS7_PS2_
	.p2align	8
	.type	_ZN9rocsparseL32bsr2csr_block_per_row_2_7_kernelILj256ELj2ElliEEv20rocsparse_direction_T3_S2_21rocsparse_index_base_PKT1_PKT2_PKS2_S2_S3_PS4_PS7_PS2_,@function
_ZN9rocsparseL32bsr2csr_block_per_row_2_7_kernelILj256ELj2ElliEEv20rocsparse_direction_T3_S2_21rocsparse_index_base_PKT1_PKT2_PKS2_S2_S3_PS4_PS7_PS2_: ; @_ZN9rocsparseL32bsr2csr_block_per_row_2_7_kernelILj256ELj2ElliEEv20rocsparse_direction_T3_S2_21rocsparse_index_base_PKT1_PKT2_PKS2_S2_S3_PS4_PS7_PS2_
; %bb.0:
	s_load_dwordx2 s[2:3], s[4:5], 0x18
	s_load_dword s12, s[4:5], 0x2c
	s_load_dwordx2 s[0:1], s[4:5], 0x38
	s_ashr_i32 s7, s6, 31
	s_lshl_b64 s[8:9], s[6:7], 3
	s_waitcnt lgkmcnt(0)
	s_add_u32 s2, s2, s8
	s_addc_u32 s3, s3, s9
	s_load_dwordx4 s[8:11], s[2:3], 0x0
	v_or_b32_e32 v1, s6, v0
	s_mov_b32 s15, 0
	v_cmp_eq_u32_e32 vcc, 0, v1
	s_and_saveexec_b64 s[2:3], vcc
	s_cbranch_execz .LBB66_2
; %bb.1:
	s_mov_b32 s13, s15
	v_mov_b32_e32 v1, 0
	v_pk_mov_b32 v[2:3], s[12:13], s[12:13] op_sel:[0,1]
	global_store_dwordx2 v1, v[2:3], s[0:1]
.LBB66_2:
	s_or_b64 exec, exec, s[2:3]
	s_load_dword s14, s[4:5], 0xc
	v_and_b32_e32 v16, 1, v0
	v_lshrrev_b32_e32 v6, 1, v0
	v_mov_b32_e32 v1, 0
	v_mov_b32_e32 v4, s1
	s_waitcnt lgkmcnt(0)
	s_sub_u32 s16, s8, s14
	s_subb_u32 s17, s9, 0
	s_sub_u32 s10, s10, s14
	s_subb_u32 s11, s11, 0
	s_lshl_b64 s[18:19], s[16:17], 2
	s_sub_u32 s20, s10, s16
	s_subb_u32 s21, s11, s17
	s_lshl_b64 s[2:3], s[20:21], 1
	v_mov_b32_e32 v0, s20
	s_add_u32 s7, s2, s12
	v_alignbit_b32 v0, s21, v0, 31
	s_addc_u32 s3, s3, 0
	v_mul_lo_u32 v7, v0, v16
	s_add_u32 s18, s7, s18
	v_lshl_or_b32 v0, s6, 1, v16
	s_addc_u32 s19, s3, s19
	v_add_u32_e32 v0, 1, v0
	v_pk_mov_b32 v[2:3], s[18:19], s[18:19] op_sel:[0,1]
	v_lshlrev_b64 v[0:1], 3, v[0:1]
	v_mad_u64_u32 v[2:3], s[18:19], s2, v16, v[2:3]
	v_add_co_u32_e32 v0, vcc, s0, v0
	v_add_u32_e32 v3, v7, v3
	v_addc_co_u32_e32 v1, vcc, v4, v1, vcc
	global_store_dwordx2 v[0:1], v[2:3], off
	v_mov_b32_e32 v1, s17
	v_add_co_u32_e32 v0, vcc, s16, v6
	v_addc_co_u32_e32 v1, vcc, 0, v1, vcc
	v_cmp_gt_i64_e32 vcc, s[10:11], v[0:1]
	s_and_saveexec_b64 s[0:1], vcc
	s_cbranch_execz .LBB66_7
; %bb.3:
	s_load_dwordx2 s[18:19], s[4:5], 0x20
	s_load_dwordx2 s[20:21], s[4:5], 0x30
	s_load_dword s3, s[4:5], 0x0
	s_load_dwordx2 s[6:7], s[4:5], 0x10
	s_load_dwordx2 s[22:23], s[4:5], 0x40
	v_lshlrev_b64 v[2:3], 2, v[0:1]
	v_mul_lo_u32 v8, s2, v16
	s_waitcnt lgkmcnt(0)
	s_cmp_eq_u32 s3, 0
	s_cselect_b64 s[0:1], -1, 0
	s_cmp_lg_u32 s3, 0
	s_cselect_b64 s[2:3], -1, 0
	s_add_u32 s13, s6, 16
	v_mov_b32_e32 v5, s19
	v_add_co_u32_e32 v4, vcc, s18, v2
	s_addc_u32 s16, s7, 0
	v_addc_co_u32_e32 v5, vcc, v5, v3, vcc
	s_lshl_b64 s[4:5], s[8:9], 2
	v_mov_b32_e32 v9, s5
	v_add_co_u32_e32 v8, vcc, s4, v8
	v_addc_co_u32_e32 v7, vcc, v7, v9, vcc
	v_lshlrev_b32_e32 v6, 1, v6
	v_add_co_u32_e32 v6, vcc, v8, v6
	v_addc_co_u32_e32 v7, vcc, 0, v7, vcc
	s_lshl_b64 s[4:5], s[14:15], 2
	v_mov_b32_e32 v8, s5
	v_subrev_co_u32_e32 v10, vcc, s4, v6
	v_subb_co_u32_e32 v11, vcc, v7, v8, vcc
	v_lshlrev_b64 v[6:7], 3, v[10:11]
	v_mov_b32_e32 v8, s21
	v_add_co_u32_e32 v6, vcc, s20, v6
	v_addc_co_u32_e32 v7, vcc, v7, v8, vcc
	v_add_co_u32_e32 v6, vcc, 8, v6
	v_addc_co_u32_e32 v7, vcc, 0, v7, vcc
	v_lshlrev_b64 v[10:11], 2, v[10:11]
	v_mov_b32_e32 v12, s23
	v_add_co_u32_e32 v10, vcc, s22, v10
	v_addc_co_u32_e32 v11, vcc, v11, v12, vcc
	v_add_co_u32_e32 v10, vcc, 4, v10
	v_lshlrev_b64 v[12:13], 5, v[0:1]
	v_addc_co_u32_e32 v11, vcc, 0, v11, vcc
	v_lshl_or_b32 v12, v16, 4, v12
	v_mov_b32_e32 v17, s7
	v_add_co_u32_e32 v12, vcc, s6, v12
	v_addc_co_u32_e32 v13, vcc, v13, v17, vcc
	v_add_co_u32_e32 v12, vcc, 8, v12
	v_cndmask_b32_e64 v14, 0, 1, s[2:3]
	v_or_b32_e32 v8, v2, v16
	v_mov_b32_e32 v9, v3
	v_addc_co_u32_e32 v13, vcc, 0, v13, vcc
	v_lshl_or_b32 v2, v16, 1, v2
	s_mov_b64 s[4:5], 0
	v_cmp_ne_u32_e64 s[2:3], 1, v14
	s_branch .LBB66_5
.LBB66_4:                               ;   in Loop: Header=BB66_5 Depth=1
	global_load_dwordx2 v[14:15], v[14:15], off
	v_add_co_u32_e32 v0, vcc, 0x80, v0
	v_addc_co_u32_e32 v1, vcc, 0, v1, vcc
	v_add_co_u32_e32 v4, vcc, 0x200, v4
	v_addc_co_u32_e32 v5, vcc, 0, v5, vcc
	v_cmp_le_i64_e32 vcc, s[10:11], v[0:1]
	s_or_b64 s[4:5], vcc, s[4:5]
	s_waitcnt vmcnt(0)
	global_store_dwordx2 v[6:7], v[14:15], off
	v_add_co_u32_e32 v6, vcc, 0x800, v6
	v_addc_co_u32_e32 v7, vcc, 0, v7, vcc
	v_add_co_u32_e32 v8, vcc, 0x200, v8
	v_addc_co_u32_e32 v9, vcc, 0, v9, vcc
	;; [unrolled: 2-line block ×5, first 2 shown]
	s_andn2_b64 exec, exec, s[4:5]
	s_cbranch_execz .LBB66_7
.LBB66_5:                               ; =>This Inner Loop Header: Depth=1
	v_cndmask_b32_e64 v15, v9, v3, s[0:1]
	v_cndmask_b32_e64 v14, v8, v2, s[0:1]
	v_lshlrev_b64 v[14:15], 3, v[14:15]
	global_load_dword v18, v[4:5], off
	v_add_co_u32_e32 v14, vcc, s6, v14
	v_addc_co_u32_e32 v15, vcc, v17, v15, vcc
	global_load_dwordx2 v[14:15], v[14:15], off
	s_and_b64 vcc, exec, s[2:3]
	s_waitcnt vmcnt(1)
	v_subrev_u32_e32 v18, s14, v18
	v_lshl_add_u32 v18, v18, 1, s12
	v_add_u32_e32 v19, 1, v18
	s_waitcnt vmcnt(0)
	global_store_dwordx2 v[6:7], v[14:15], off offset:-8
	global_store_dwordx2 v[10:11], v[18:19], off offset:-4
	v_pk_mov_b32 v[14:15], v[12:13], v[12:13] op_sel:[0,1]
	s_cbranch_vccnz .LBB66_4
; %bb.6:                                ;   in Loop: Header=BB66_5 Depth=1
	v_lshlrev_b64 v[14:15], 5, v[0:1]
	v_lshl_or_b32 v14, v16, 3, v14
	v_mov_b32_e32 v18, s16
	v_add_co_u32_e32 v14, vcc, s13, v14
	v_addc_co_u32_e32 v15, vcc, v18, v15, vcc
	s_branch .LBB66_4
.LBB66_7:
	s_endpgm
	.section	.rodata,"a",@progbits
	.p2align	6, 0x0
	.amdhsa_kernel _ZN9rocsparseL32bsr2csr_block_per_row_2_7_kernelILj256ELj2ElliEEv20rocsparse_direction_T3_S2_21rocsparse_index_base_PKT1_PKT2_PKS2_S2_S3_PS4_PS7_PS2_
		.amdhsa_group_segment_fixed_size 0
		.amdhsa_private_segment_fixed_size 0
		.amdhsa_kernarg_size 72
		.amdhsa_user_sgpr_count 6
		.amdhsa_user_sgpr_private_segment_buffer 1
		.amdhsa_user_sgpr_dispatch_ptr 0
		.amdhsa_user_sgpr_queue_ptr 0
		.amdhsa_user_sgpr_kernarg_segment_ptr 1
		.amdhsa_user_sgpr_dispatch_id 0
		.amdhsa_user_sgpr_flat_scratch_init 0
		.amdhsa_user_sgpr_kernarg_preload_length 0
		.amdhsa_user_sgpr_kernarg_preload_offset 0
		.amdhsa_user_sgpr_private_segment_size 0
		.amdhsa_uses_dynamic_stack 0
		.amdhsa_system_sgpr_private_segment_wavefront_offset 0
		.amdhsa_system_sgpr_workgroup_id_x 1
		.amdhsa_system_sgpr_workgroup_id_y 0
		.amdhsa_system_sgpr_workgroup_id_z 0
		.amdhsa_system_sgpr_workgroup_info 0
		.amdhsa_system_vgpr_workitem_id 0
		.amdhsa_next_free_vgpr 20
		.amdhsa_next_free_sgpr 24
		.amdhsa_accum_offset 20
		.amdhsa_reserve_vcc 1
		.amdhsa_reserve_flat_scratch 0
		.amdhsa_float_round_mode_32 0
		.amdhsa_float_round_mode_16_64 0
		.amdhsa_float_denorm_mode_32 3
		.amdhsa_float_denorm_mode_16_64 3
		.amdhsa_dx10_clamp 1
		.amdhsa_ieee_mode 1
		.amdhsa_fp16_overflow 0
		.amdhsa_tg_split 0
		.amdhsa_exception_fp_ieee_invalid_op 0
		.amdhsa_exception_fp_denorm_src 0
		.amdhsa_exception_fp_ieee_div_zero 0
		.amdhsa_exception_fp_ieee_overflow 0
		.amdhsa_exception_fp_ieee_underflow 0
		.amdhsa_exception_fp_ieee_inexact 0
		.amdhsa_exception_int_div_zero 0
	.end_amdhsa_kernel
	.section	.text._ZN9rocsparseL32bsr2csr_block_per_row_2_7_kernelILj256ELj2ElliEEv20rocsparse_direction_T3_S2_21rocsparse_index_base_PKT1_PKT2_PKS2_S2_S3_PS4_PS7_PS2_,"axG",@progbits,_ZN9rocsparseL32bsr2csr_block_per_row_2_7_kernelILj256ELj2ElliEEv20rocsparse_direction_T3_S2_21rocsparse_index_base_PKT1_PKT2_PKS2_S2_S3_PS4_PS7_PS2_,comdat
.Lfunc_end66:
	.size	_ZN9rocsparseL32bsr2csr_block_per_row_2_7_kernelILj256ELj2ElliEEv20rocsparse_direction_T3_S2_21rocsparse_index_base_PKT1_PKT2_PKS2_S2_S3_PS4_PS7_PS2_, .Lfunc_end66-_ZN9rocsparseL32bsr2csr_block_per_row_2_7_kernelILj256ELj2ElliEEv20rocsparse_direction_T3_S2_21rocsparse_index_base_PKT1_PKT2_PKS2_S2_S3_PS4_PS7_PS2_
                                        ; -- End function
	.section	.AMDGPU.csdata,"",@progbits
; Kernel info:
; codeLenInByte = 808
; NumSgprs: 28
; NumVgprs: 20
; NumAgprs: 0
; TotalNumVgprs: 20
; ScratchSize: 0
; MemoryBound: 0
; FloatMode: 240
; IeeeMode: 1
; LDSByteSize: 0 bytes/workgroup (compile time only)
; SGPRBlocks: 3
; VGPRBlocks: 2
; NumSGPRsForWavesPerEU: 28
; NumVGPRsForWavesPerEU: 20
; AccumOffset: 20
; Occupancy: 8
; WaveLimiterHint : 0
; COMPUTE_PGM_RSRC2:SCRATCH_EN: 0
; COMPUTE_PGM_RSRC2:USER_SGPR: 6
; COMPUTE_PGM_RSRC2:TRAP_HANDLER: 0
; COMPUTE_PGM_RSRC2:TGID_X_EN: 1
; COMPUTE_PGM_RSRC2:TGID_Y_EN: 0
; COMPUTE_PGM_RSRC2:TGID_Z_EN: 0
; COMPUTE_PGM_RSRC2:TIDIG_COMP_CNT: 0
; COMPUTE_PGM_RSRC3_GFX90A:ACCUM_OFFSET: 4
; COMPUTE_PGM_RSRC3_GFX90A:TG_SPLIT: 0
	.section	.text._ZN9rocsparseL32bsr2csr_block_per_row_2_7_kernelILj256ELj3ElliEEv20rocsparse_direction_T3_S2_21rocsparse_index_base_PKT1_PKT2_PKS2_S2_S3_PS4_PS7_PS2_,"axG",@progbits,_ZN9rocsparseL32bsr2csr_block_per_row_2_7_kernelILj256ELj3ElliEEv20rocsparse_direction_T3_S2_21rocsparse_index_base_PKT1_PKT2_PKS2_S2_S3_PS4_PS7_PS2_,comdat
	.globl	_ZN9rocsparseL32bsr2csr_block_per_row_2_7_kernelILj256ELj3ElliEEv20rocsparse_direction_T3_S2_21rocsparse_index_base_PKT1_PKT2_PKS2_S2_S3_PS4_PS7_PS2_ ; -- Begin function _ZN9rocsparseL32bsr2csr_block_per_row_2_7_kernelILj256ELj3ElliEEv20rocsparse_direction_T3_S2_21rocsparse_index_base_PKT1_PKT2_PKS2_S2_S3_PS4_PS7_PS2_
	.p2align	8
	.type	_ZN9rocsparseL32bsr2csr_block_per_row_2_7_kernelILj256ELj3ElliEEv20rocsparse_direction_T3_S2_21rocsparse_index_base_PKT1_PKT2_PKS2_S2_S3_PS4_PS7_PS2_,@function
_ZN9rocsparseL32bsr2csr_block_per_row_2_7_kernelILj256ELj3ElliEEv20rocsparse_direction_T3_S2_21rocsparse_index_base_PKT1_PKT2_PKS2_S2_S3_PS4_PS7_PS2_: ; @_ZN9rocsparseL32bsr2csr_block_per_row_2_7_kernelILj256ELj3ElliEEv20rocsparse_direction_T3_S2_21rocsparse_index_base_PKT1_PKT2_PKS2_S2_S3_PS4_PS7_PS2_
; %bb.0:
	s_load_dwordx2 s[2:3], s[4:5], 0x18
	s_load_dword s12, s[4:5], 0x2c
	s_load_dwordx2 s[0:1], s[4:5], 0x38
	s_ashr_i32 s7, s6, 31
	s_lshl_b64 s[8:9], s[6:7], 3
	s_waitcnt lgkmcnt(0)
	s_add_u32 s2, s2, s8
	v_or_b32_e32 v1, s6, v0
	s_addc_u32 s3, s3, s9
	v_cmp_eq_u32_e32 vcc, 0, v1
	s_and_saveexec_b64 s[8:9], vcc
	s_cbranch_execz .LBB67_2
; %bb.1:
	v_mov_b32_e32 v2, s12
	v_mov_b32_e32 v3, 0
	global_store_dwordx2 v3, v[2:3], s[0:1]
.LBB67_2:
	s_or_b64 exec, exec, s[8:9]
	v_and_b32_e32 v4, 3, v0
	v_cmp_ne_u32_e32 vcc, 3, v4
	s_and_saveexec_b64 s[8:9], vcc
	s_cbranch_execz .LBB67_6
; %bb.3:
	s_load_dwordx4 s[8:11], s[2:3], 0x0
	s_load_dword s7, s[4:5], 0xc
	s_mul_i32 s6, s6, 3
	v_lshrrev_b32_e32 v8, 2, v0
	v_mov_b32_e32 v1, 0
	v_add3_u32 v0, v4, s6, 1
	s_waitcnt lgkmcnt(0)
	s_sub_u32 s3, s8, s7
	s_subb_u32 s13, s9, 0
	s_mul_hi_u32 s2, s3, 9
	s_sub_u32 s10, s10, s7
	s_mul_i32 s14, s13, 9
	s_subb_u32 s11, s11, 0
	s_add_i32 s15, s2, s14
	s_sub_u32 s2, s10, s3
	s_subb_u32 s16, s11, s13
	s_mul_i32 s16, s16, 3
	s_mul_hi_u32 s17, s2, 3
	s_add_i32 s17, s17, s16
	s_mul_i32 s2, s2, 3
	s_add_u32 s16, s2, s12
	s_mul_i32 s14, s3, 9
	v_mul_lo_u32 v2, s17, v4
	s_addc_u32 s17, s17, 0
	s_add_u32 s14, s16, s14
	s_addc_u32 s15, s17, s15
	v_pk_mov_b32 v[6:7], s[14:15], s[14:15] op_sel:[0,1]
	v_lshlrev_b64 v[0:1], 3, v[0:1]
	v_mad_u64_u32 v[6:7], s[14:15], s2, v4, v[6:7]
	v_mov_b32_e32 v3, s1
	v_add_co_u32_e32 v0, vcc, s0, v0
	v_add_u32_e32 v7, v2, v7
	v_addc_co_u32_e32 v1, vcc, v3, v1, vcc
	global_store_dwordx2 v[0:1], v[6:7], off
	v_mov_b32_e32 v1, s13
	v_add_co_u32_e32 v0, vcc, s3, v8
	v_addc_co_u32_e32 v1, vcc, 0, v1, vcc
	v_cmp_gt_i64_e32 vcc, s[10:11], v[0:1]
	s_and_b64 exec, exec, vcc
	s_cbranch_execz .LBB67_6
; %bb.4:
	s_load_dwordx2 s[14:15], s[4:5], 0x20
	s_load_dwordx2 s[16:17], s[4:5], 0x30
	s_load_dwordx2 s[18:19], s[4:5], 0x10
	s_load_dword s3, s[4:5], 0x0
	s_load_dwordx2 s[20:21], s[4:5], 0x40
	s_movk_i32 s4, 0x48
	v_mad_u64_u32 v[10:11], s[0:1], s2, v4, 0
	s_waitcnt lgkmcnt(0)
	v_pk_mov_b32 v[6:7], s[18:19], s[18:19] op_sel:[0,1]
	s_cmp_eq_u32 s3, 0
	v_mad_u64_u32 v[6:7], s[2:3], v0, s4, v[6:7]
	v_add_u32_e32 v11, v11, v2
	v_lshlrev_b64 v[2:3], 2, v[0:1]
	v_mov_b32_e32 v12, v7
	v_mov_b32_e32 v5, s15
	v_add_co_u32_e32 v2, vcc, s14, v2
	v_mad_u64_u32 v[12:13], s[2:3], v1, s4, v[12:13]
	v_mad_u64_u32 v[10:11], s[2:3], s8, 9, v[10:11]
	v_addc_co_u32_e32 v3, vcc, v5, v3, vcc
	v_mov_b32_e32 v5, v12
	v_mov_b32_e32 v12, v11
	v_mad_u64_u32 v[12:13], s[2:3], s9, 9, v[12:13]
	v_mov_b32_e32 v11, v12
	v_mad_u64_u32 v[8:9], s[2:3], v8, 3, v[10:11]
	s_mul_hi_u32 s2, s7, 9
	s_mul_i32 s3, s7, 9
	v_mov_b32_e32 v7, s2
	v_subrev_co_u32_e32 v10, vcc, s3, v8
	v_subb_co_u32_e32 v11, vcc, v9, v7, vcc
	v_lshlrev_b64 v[8:9], 3, v[10:11]
	v_mov_b32_e32 v7, s17
	v_add_co_u32_e32 v8, vcc, s16, v8
	v_addc_co_u32_e32 v7, vcc, v9, v7, vcc
	v_add_co_u32_e32 v8, vcc, 8, v8
	v_addc_co_u32_e32 v9, vcc, 0, v7, vcc
	v_lshlrev_b64 v[10:11], 2, v[10:11]
	v_mov_b32_e32 v7, s21
	v_add_co_u32_e32 v10, vcc, s20, v10
	v_addc_co_u32_e32 v7, vcc, v11, v7, vcc
	v_mul_u32_u24_e32 v14, 3, v4
	v_add_co_u32_e32 v10, vcc, 4, v10
	s_cselect_b64 s[0:1], -1, 0
	v_lshlrev_b32_e32 v4, 3, v4
	v_addc_co_u32_e32 v11, vcc, 0, v7, vcc
	v_lshlrev_b32_e32 v12, 3, v14
	s_mov_b64 s[4:5], 0
	v_mov_b32_e32 v14, s12
	s_movk_i32 s6, 0x100
	s_movk_i32 s8, 0x1200
.LBB67_5:                               ; =>This Inner Loop Header: Depth=1
	v_add_co_u32_e32 v13, vcc, v6, v4
	v_addc_co_u32_e32 v15, vcc, 0, v5, vcc
	v_add_co_u32_e32 v18, vcc, v6, v12
	v_addc_co_u32_e32 v19, vcc, 0, v5, vcc
	;; [unrolled: 2-line block ×4, first 2 shown]
	v_cndmask_b32_e64 v16, v13, v18, s[0:1]
	v_add_co_u32_e32 v18, vcc, 16, v18
	v_cndmask_b32_e64 v17, v15, v19, s[0:1]
	v_addc_co_u32_e32 v19, vcc, 0, v19, vcc
	global_load_dword v7, v[2:3], off
	v_add_co_u32_e32 v13, vcc, 48, v13
	v_addc_co_u32_e32 v15, vcc, 0, v15, vcc
	v_cndmask_b32_e64 v21, v23, v21, s[0:1]
	v_cndmask_b32_e64 v20, v22, v20, s[0:1]
	global_load_dwordx2 v[16:17], v[16:17], off
	v_cndmask_b32_e64 v23, v15, v19, s[0:1]
	v_cndmask_b32_e64 v22, v13, v18, s[0:1]
	global_load_dwordx2 v[18:19], v[20:21], off
	global_load_dwordx2 v[24:25], v[22:23], off
	v_add_co_u32_e32 v0, vcc, 64, v0
	v_addc_co_u32_e32 v1, vcc, 0, v1, vcc
	v_add_co_u32_e32 v2, vcc, s6, v2
	v_addc_co_u32_e32 v3, vcc, 0, v3, vcc
	v_add_co_u32_e32 v6, vcc, s8, v6
	v_cmp_le_i64_e64 s[2:3], s[10:11], v[0:1]
	v_addc_co_u32_e32 v5, vcc, 0, v5, vcc
	s_or_b64 s[4:5], s[2:3], s[4:5]
	s_waitcnt vmcnt(3)
	v_subrev_u32_e32 v7, s7, v7
	v_mad_u64_u32 v[20:21], s[2:3], v7, 3, v[14:15]
	v_add_u32_e32 v22, 2, v20
	v_add_u32_e32 v21, 1, v20
	s_waitcnt vmcnt(1)
	global_store_dwordx4 v[8:9], v[16:19], off offset:-8
	global_store_dwordx3 v[10:11], v[20:22], off offset:-4
	s_waitcnt vmcnt(2)
	global_store_dwordx2 v[8:9], v[24:25], off offset:8
	v_add_co_u32_e32 v8, vcc, 0x600, v8
	v_addc_co_u32_e32 v9, vcc, 0, v9, vcc
	v_add_co_u32_e32 v10, vcc, 0x300, v10
	v_addc_co_u32_e32 v11, vcc, 0, v11, vcc
	s_andn2_b64 exec, exec, s[4:5]
	s_cbranch_execnz .LBB67_5
.LBB67_6:
	s_endpgm
	.section	.rodata,"a",@progbits
	.p2align	6, 0x0
	.amdhsa_kernel _ZN9rocsparseL32bsr2csr_block_per_row_2_7_kernelILj256ELj3ElliEEv20rocsparse_direction_T3_S2_21rocsparse_index_base_PKT1_PKT2_PKS2_S2_S3_PS4_PS7_PS2_
		.amdhsa_group_segment_fixed_size 0
		.amdhsa_private_segment_fixed_size 0
		.amdhsa_kernarg_size 72
		.amdhsa_user_sgpr_count 6
		.amdhsa_user_sgpr_private_segment_buffer 1
		.amdhsa_user_sgpr_dispatch_ptr 0
		.amdhsa_user_sgpr_queue_ptr 0
		.amdhsa_user_sgpr_kernarg_segment_ptr 1
		.amdhsa_user_sgpr_dispatch_id 0
		.amdhsa_user_sgpr_flat_scratch_init 0
		.amdhsa_user_sgpr_kernarg_preload_length 0
		.amdhsa_user_sgpr_kernarg_preload_offset 0
		.amdhsa_user_sgpr_private_segment_size 0
		.amdhsa_uses_dynamic_stack 0
		.amdhsa_system_sgpr_private_segment_wavefront_offset 0
		.amdhsa_system_sgpr_workgroup_id_x 1
		.amdhsa_system_sgpr_workgroup_id_y 0
		.amdhsa_system_sgpr_workgroup_id_z 0
		.amdhsa_system_sgpr_workgroup_info 0
		.amdhsa_system_vgpr_workitem_id 0
		.amdhsa_next_free_vgpr 26
		.amdhsa_next_free_sgpr 22
		.amdhsa_accum_offset 28
		.amdhsa_reserve_vcc 1
		.amdhsa_reserve_flat_scratch 0
		.amdhsa_float_round_mode_32 0
		.amdhsa_float_round_mode_16_64 0
		.amdhsa_float_denorm_mode_32 3
		.amdhsa_float_denorm_mode_16_64 3
		.amdhsa_dx10_clamp 1
		.amdhsa_ieee_mode 1
		.amdhsa_fp16_overflow 0
		.amdhsa_tg_split 0
		.amdhsa_exception_fp_ieee_invalid_op 0
		.amdhsa_exception_fp_denorm_src 0
		.amdhsa_exception_fp_ieee_div_zero 0
		.amdhsa_exception_fp_ieee_overflow 0
		.amdhsa_exception_fp_ieee_underflow 0
		.amdhsa_exception_fp_ieee_inexact 0
		.amdhsa_exception_int_div_zero 0
	.end_amdhsa_kernel
	.section	.text._ZN9rocsparseL32bsr2csr_block_per_row_2_7_kernelILj256ELj3ElliEEv20rocsparse_direction_T3_S2_21rocsparse_index_base_PKT1_PKT2_PKS2_S2_S3_PS4_PS7_PS2_,"axG",@progbits,_ZN9rocsparseL32bsr2csr_block_per_row_2_7_kernelILj256ELj3ElliEEv20rocsparse_direction_T3_S2_21rocsparse_index_base_PKT1_PKT2_PKS2_S2_S3_PS4_PS7_PS2_,comdat
.Lfunc_end67:
	.size	_ZN9rocsparseL32bsr2csr_block_per_row_2_7_kernelILj256ELj3ElliEEv20rocsparse_direction_T3_S2_21rocsparse_index_base_PKT1_PKT2_PKS2_S2_S3_PS4_PS7_PS2_, .Lfunc_end67-_ZN9rocsparseL32bsr2csr_block_per_row_2_7_kernelILj256ELj3ElliEEv20rocsparse_direction_T3_S2_21rocsparse_index_base_PKT1_PKT2_PKS2_S2_S3_PS4_PS7_PS2_
                                        ; -- End function
	.section	.AMDGPU.csdata,"",@progbits
; Kernel info:
; codeLenInByte = 800
; NumSgprs: 26
; NumVgprs: 26
; NumAgprs: 0
; TotalNumVgprs: 26
; ScratchSize: 0
; MemoryBound: 0
; FloatMode: 240
; IeeeMode: 1
; LDSByteSize: 0 bytes/workgroup (compile time only)
; SGPRBlocks: 3
; VGPRBlocks: 3
; NumSGPRsForWavesPerEU: 26
; NumVGPRsForWavesPerEU: 26
; AccumOffset: 28
; Occupancy: 8
; WaveLimiterHint : 0
; COMPUTE_PGM_RSRC2:SCRATCH_EN: 0
; COMPUTE_PGM_RSRC2:USER_SGPR: 6
; COMPUTE_PGM_RSRC2:TRAP_HANDLER: 0
; COMPUTE_PGM_RSRC2:TGID_X_EN: 1
; COMPUTE_PGM_RSRC2:TGID_Y_EN: 0
; COMPUTE_PGM_RSRC2:TGID_Z_EN: 0
; COMPUTE_PGM_RSRC2:TIDIG_COMP_CNT: 0
; COMPUTE_PGM_RSRC3_GFX90A:ACCUM_OFFSET: 6
; COMPUTE_PGM_RSRC3_GFX90A:TG_SPLIT: 0
	.section	.text._ZN9rocsparseL32bsr2csr_block_per_row_2_7_kernelILj256ELj4ElliEEv20rocsparse_direction_T3_S2_21rocsparse_index_base_PKT1_PKT2_PKS2_S2_S3_PS4_PS7_PS2_,"axG",@progbits,_ZN9rocsparseL32bsr2csr_block_per_row_2_7_kernelILj256ELj4ElliEEv20rocsparse_direction_T3_S2_21rocsparse_index_base_PKT1_PKT2_PKS2_S2_S3_PS4_PS7_PS2_,comdat
	.globl	_ZN9rocsparseL32bsr2csr_block_per_row_2_7_kernelILj256ELj4ElliEEv20rocsparse_direction_T3_S2_21rocsparse_index_base_PKT1_PKT2_PKS2_S2_S3_PS4_PS7_PS2_ ; -- Begin function _ZN9rocsparseL32bsr2csr_block_per_row_2_7_kernelILj256ELj4ElliEEv20rocsparse_direction_T3_S2_21rocsparse_index_base_PKT1_PKT2_PKS2_S2_S3_PS4_PS7_PS2_
	.p2align	8
	.type	_ZN9rocsparseL32bsr2csr_block_per_row_2_7_kernelILj256ELj4ElliEEv20rocsparse_direction_T3_S2_21rocsparse_index_base_PKT1_PKT2_PKS2_S2_S3_PS4_PS7_PS2_,@function
_ZN9rocsparseL32bsr2csr_block_per_row_2_7_kernelILj256ELj4ElliEEv20rocsparse_direction_T3_S2_21rocsparse_index_base_PKT1_PKT2_PKS2_S2_S3_PS4_PS7_PS2_: ; @_ZN9rocsparseL32bsr2csr_block_per_row_2_7_kernelILj256ELj4ElliEEv20rocsparse_direction_T3_S2_21rocsparse_index_base_PKT1_PKT2_PKS2_S2_S3_PS4_PS7_PS2_
; %bb.0:
	s_load_dwordx2 s[2:3], s[4:5], 0x18
	s_load_dword s12, s[4:5], 0x2c
	s_load_dwordx2 s[0:1], s[4:5], 0x38
	s_ashr_i32 s7, s6, 31
	s_lshl_b64 s[8:9], s[6:7], 3
	s_waitcnt lgkmcnt(0)
	s_add_u32 s2, s2, s8
	s_addc_u32 s3, s3, s9
	s_load_dwordx4 s[8:11], s[2:3], 0x0
	v_or_b32_e32 v1, s6, v0
	s_mov_b32 s15, 0
	v_cmp_eq_u32_e32 vcc, 0, v1
	s_and_saveexec_b64 s[2:3], vcc
	s_cbranch_execz .LBB68_2
; %bb.1:
	s_mov_b32 s13, s15
	v_mov_b32_e32 v1, 0
	v_pk_mov_b32 v[2:3], s[12:13], s[12:13] op_sel:[0,1]
	global_store_dwordx2 v1, v[2:3], s[0:1]
.LBB68_2:
	s_or_b64 exec, exec, s[2:3]
	s_load_dword s14, s[4:5], 0xc
	v_and_b32_e32 v20, 3, v0
	v_lshrrev_b32_e32 v8, 2, v0
	v_mov_b32_e32 v1, 0
	v_mov_b32_e32 v3, s1
	s_waitcnt lgkmcnt(0)
	s_sub_u32 s16, s8, s14
	s_subb_u32 s17, s9, 0
	s_sub_u32 s10, s10, s14
	s_subb_u32 s11, s11, 0
	s_lshl_b64 s[18:19], s[16:17], 4
	s_sub_u32 s20, s10, s16
	s_subb_u32 s21, s11, s17
	s_lshl_b64 s[2:3], s[20:21], 2
	v_mov_b32_e32 v0, s20
	s_add_u32 s7, s2, s12
	v_alignbit_b32 v0, s21, v0, 30
	s_addc_u32 s3, s3, 0
	v_mul_lo_u32 v2, v0, v20
	s_add_u32 s18, s7, s18
	v_lshl_or_b32 v0, s6, 2, v20
	s_addc_u32 s19, s3, s19
	v_add_u32_e32 v0, 1, v0
	v_pk_mov_b32 v[4:5], s[18:19], s[18:19] op_sel:[0,1]
	v_lshlrev_b64 v[0:1], 3, v[0:1]
	v_mad_u64_u32 v[4:5], s[18:19], s2, v20, v[4:5]
	v_add_co_u32_e32 v0, vcc, s0, v0
	v_add_u32_e32 v5, v2, v5
	v_addc_co_u32_e32 v1, vcc, v3, v1, vcc
	global_store_dwordx2 v[0:1], v[4:5], off
	v_mov_b32_e32 v1, s17
	v_add_co_u32_e32 v0, vcc, s16, v8
	v_addc_co_u32_e32 v1, vcc, 0, v1, vcc
	v_cmp_gt_i64_e32 vcc, s[10:11], v[0:1]
	s_and_saveexec_b64 s[0:1], vcc
	s_cbranch_execz .LBB68_15
; %bb.3:
	s_load_dwordx2 s[16:17], s[4:5], 0x20
	s_load_dwordx2 s[24:25], s[4:5], 0x30
	;; [unrolled: 1-line block ×3, first 2 shown]
	s_load_dword s3, s[4:5], 0x0
	s_load_dwordx2 s[26:27], s[4:5], 0x40
	v_mad_u64_u32 v[10:11], s[0:1], s2, v20, 0
	v_add_u32_e32 v9, v11, v2
	s_waitcnt lgkmcnt(0)
	s_cmp_eq_u32 s3, 0
	s_cselect_b64 s[0:1], -1, 0
	s_cmp_lg_u32 s3, 0
	s_cselect_b64 s[4:5], -1, 0
	s_add_u32 s13, s6, 32
	s_addc_u32 s18, s7, 0
	s_add_u32 s19, s6, 64
	s_addc_u32 s20, s7, 0
	v_lshlrev_b64 v[2:3], 2, v[0:1]
	s_add_u32 s21, s6, 0x60
	v_mov_b32_e32 v4, s17
	v_add_co_u32_e32 v2, vcc, s16, v2
	s_addc_u32 s22, s7, 0
	v_addc_co_u32_e32 v3, vcc, v4, v3, vcc
	s_lshl_b64 s[2:3], s[8:9], 4
	v_mov_b32_e32 v11, s3
	v_add_co_u32_e32 v10, vcc, s2, v10
	v_addc_co_u32_e32 v9, vcc, v9, v11, vcc
	v_lshlrev_b32_e32 v8, 2, v8
	v_add_co_u32_e32 v8, vcc, v10, v8
	v_addc_co_u32_e32 v9, vcc, 0, v9, vcc
	s_lshl_b64 s[2:3], s[14:15], 4
	v_mov_b32_e32 v10, s3
	v_subrev_co_u32_e32 v12, vcc, s2, v8
	v_subb_co_u32_e32 v13, vcc, v9, v10, vcc
	v_lshlrev_b64 v[8:9], 3, v[12:13]
	v_mov_b32_e32 v10, s25
	v_add_co_u32_e32 v8, vcc, s24, v8
	v_addc_co_u32_e32 v9, vcc, v9, v10, vcc
	v_add_co_u32_e32 v8, vcc, 16, v8
	v_lshlrev_b64 v[10:11], 7, v[0:1]
	v_addc_co_u32_e32 v9, vcc, 0, v9, vcc
	v_lshl_or_b32 v10, v20, 5, v10
	v_mov_b32_e32 v21, s7
	v_add_co_u32_e32 v10, vcc, s6, v10
	v_addc_co_u32_e32 v11, vcc, v11, v21, vcc
	v_add_co_u32_e32 v10, vcc, 24, v10
	v_addc_co_u32_e32 v11, vcc, 0, v11, vcc
	v_lshlrev_b64 v[12:13], 2, v[12:13]
	v_mov_b32_e32 v14, s27
	v_add_co_u32_e32 v12, vcc, s26, v12
	v_addc_co_u32_e32 v13, vcc, v13, v14, vcc
	v_lshlrev_b64 v[4:5], 4, v[0:1]
	v_add_co_u32_e32 v12, vcc, 8, v12
	v_or_b32_e32 v6, v4, v20
	v_mov_b32_e32 v7, v5
	v_lshl_or_b32 v4, v20, 2, v4
	v_addc_co_u32_e32 v13, vcc, 0, v13, vcc
	s_mov_b64 s[8:9], 0
	v_cndmask_b32_e64 v22, 0, 1, s[4:5]
	s_branch .LBB68_5
.LBB68_4:                               ;   in Loop: Header=BB68_5 Depth=1
	global_load_dwordx2 v[14:15], v[16:17], off
	v_add_co_u32_e32 v0, vcc, 64, v0
	v_addc_co_u32_e32 v1, vcc, 0, v1, vcc
	v_add_co_u32_e32 v2, vcc, 0x100, v2
	v_addc_co_u32_e32 v3, vcc, 0, v3, vcc
	;; [unrolled: 2-line block ×4, first 2 shown]
	v_cmp_le_i64_e64 s[2:3], s[10:11], v[0:1]
	s_or_b64 s[8:9], s[2:3], s[8:9]
	s_waitcnt vmcnt(0)
	global_store_dwordx2 v[8:9], v[14:15], off offset:8
	v_add_co_u32_e32 v8, vcc, 0x800, v8
	v_addc_co_u32_e32 v9, vcc, 0, v9, vcc
	v_add_co_u32_e32 v10, vcc, 0x2000, v10
	v_addc_co_u32_e32 v11, vcc, 0, v11, vcc
	;; [unrolled: 2-line block ×3, first 2 shown]
	s_andn2_b64 exec, exec, s[8:9]
	s_cbranch_execz .LBB68_15
.LBB68_5:                               ; =>This Inner Loop Header: Depth=1
	v_cndmask_b32_e64 v15, v7, v5, s[0:1]
	v_cndmask_b32_e64 v14, v6, v4, s[0:1]
	v_lshlrev_b64 v[14:15], 3, v[14:15]
	global_load_dword v16, v[2:3], off
	v_add_co_u32_e32 v14, vcc, s6, v14
	v_addc_co_u32_e32 v15, vcc, v21, v15, vcc
	global_load_dwordx2 v[14:15], v[14:15], off
	v_lshlrev_b64 v[18:19], 4, v[0:1]
	v_or_b32_e32 v18, v18, v20
	v_cmp_ne_u32_e64 s[2:3], 1, v22
	s_andn2_b64 vcc, exec, s[4:5]
	s_waitcnt vmcnt(1)
	v_subrev_u32_e32 v16, s14, v16
	v_lshl_add_u32 v16, v16, 2, s12
	v_add_u32_e32 v17, 1, v16
	s_waitcnt vmcnt(0)
	global_store_dwordx2 v[8:9], v[14:15], off offset:-16
	global_store_dwordx2 v[12:13], v[16:17], off offset:-8
	v_lshlrev_b64 v[14:15], 3, v[18:19]
	s_cbranch_vccnz .LBB68_7
; %bb.6:                                ;   in Loop: Header=BB68_5 Depth=1
	v_mov_b32_e32 v17, s18
	v_add_co_u32_e32 v18, vcc, s13, v14
	v_addc_co_u32_e32 v19, vcc, v17, v15, vcc
	s_cbranch_execz .LBB68_8
	s_branch .LBB68_9
.LBB68_7:                               ;   in Loop: Header=BB68_5 Depth=1
                                        ; implicit-def: $vgpr18_vgpr19
.LBB68_8:                               ;   in Loop: Header=BB68_5 Depth=1
	v_add_co_u32_e32 v18, vcc, -16, v10
	v_addc_co_u32_e32 v19, vcc, -1, v11, vcc
.LBB68_9:                               ;   in Loop: Header=BB68_5 Depth=1
	global_load_dwordx2 v[18:19], v[18:19], off
	s_and_b64 vcc, exec, s[2:3]
	v_add_u32_e32 v17, 2, v16
	s_waitcnt vmcnt(0)
	global_store_dwordx2 v[8:9], v[18:19], off offset:-8
	global_store_dword v[12:13], v17, off
	s_cbranch_vccnz .LBB68_11
; %bb.10:                               ;   in Loop: Header=BB68_5 Depth=1
	v_mov_b32_e32 v17, s20
	v_add_co_u32_e32 v18, vcc, s19, v14
	v_addc_co_u32_e32 v19, vcc, v17, v15, vcc
	s_cbranch_execz .LBB68_12
	s_branch .LBB68_13
.LBB68_11:                              ;   in Loop: Header=BB68_5 Depth=1
                                        ; implicit-def: $vgpr18_vgpr19
.LBB68_12:                              ;   in Loop: Header=BB68_5 Depth=1
	v_add_co_u32_e32 v18, vcc, -8, v10
	v_addc_co_u32_e32 v19, vcc, -1, v11, vcc
.LBB68_13:                              ;   in Loop: Header=BB68_5 Depth=1
	global_load_dwordx2 v[18:19], v[18:19], off
	v_add_u32_e32 v16, 3, v16
	s_and_b64 vcc, exec, s[2:3]
	global_store_dword v[12:13], v16, off offset:4
	s_waitcnt vmcnt(1)
	global_store_dwordx2 v[8:9], v[18:19], off
	v_pk_mov_b32 v[16:17], v[10:11], v[10:11] op_sel:[0,1]
	s_cbranch_vccnz .LBB68_4
; %bb.14:                               ;   in Loop: Header=BB68_5 Depth=1
	v_mov_b32_e32 v17, s22
	v_add_co_u32_e32 v16, vcc, s21, v14
	v_addc_co_u32_e32 v17, vcc, v17, v15, vcc
	s_branch .LBB68_4
.LBB68_15:
	s_endpgm
	.section	.rodata,"a",@progbits
	.p2align	6, 0x0
	.amdhsa_kernel _ZN9rocsparseL32bsr2csr_block_per_row_2_7_kernelILj256ELj4ElliEEv20rocsparse_direction_T3_S2_21rocsparse_index_base_PKT1_PKT2_PKS2_S2_S3_PS4_PS7_PS2_
		.amdhsa_group_segment_fixed_size 0
		.amdhsa_private_segment_fixed_size 0
		.amdhsa_kernarg_size 72
		.amdhsa_user_sgpr_count 6
		.amdhsa_user_sgpr_private_segment_buffer 1
		.amdhsa_user_sgpr_dispatch_ptr 0
		.amdhsa_user_sgpr_queue_ptr 0
		.amdhsa_user_sgpr_kernarg_segment_ptr 1
		.amdhsa_user_sgpr_dispatch_id 0
		.amdhsa_user_sgpr_flat_scratch_init 0
		.amdhsa_user_sgpr_kernarg_preload_length 0
		.amdhsa_user_sgpr_kernarg_preload_offset 0
		.amdhsa_user_sgpr_private_segment_size 0
		.amdhsa_uses_dynamic_stack 0
		.amdhsa_system_sgpr_private_segment_wavefront_offset 0
		.amdhsa_system_sgpr_workgroup_id_x 1
		.amdhsa_system_sgpr_workgroup_id_y 0
		.amdhsa_system_sgpr_workgroup_id_z 0
		.amdhsa_system_sgpr_workgroup_info 0
		.amdhsa_system_vgpr_workitem_id 0
		.amdhsa_next_free_vgpr 23
		.amdhsa_next_free_sgpr 28
		.amdhsa_accum_offset 24
		.amdhsa_reserve_vcc 1
		.amdhsa_reserve_flat_scratch 0
		.amdhsa_float_round_mode_32 0
		.amdhsa_float_round_mode_16_64 0
		.amdhsa_float_denorm_mode_32 3
		.amdhsa_float_denorm_mode_16_64 3
		.amdhsa_dx10_clamp 1
		.amdhsa_ieee_mode 1
		.amdhsa_fp16_overflow 0
		.amdhsa_tg_split 0
		.amdhsa_exception_fp_ieee_invalid_op 0
		.amdhsa_exception_fp_denorm_src 0
		.amdhsa_exception_fp_ieee_div_zero 0
		.amdhsa_exception_fp_ieee_overflow 0
		.amdhsa_exception_fp_ieee_underflow 0
		.amdhsa_exception_fp_ieee_inexact 0
		.amdhsa_exception_int_div_zero 0
	.end_amdhsa_kernel
	.section	.text._ZN9rocsparseL32bsr2csr_block_per_row_2_7_kernelILj256ELj4ElliEEv20rocsparse_direction_T3_S2_21rocsparse_index_base_PKT1_PKT2_PKS2_S2_S3_PS4_PS7_PS2_,"axG",@progbits,_ZN9rocsparseL32bsr2csr_block_per_row_2_7_kernelILj256ELj4ElliEEv20rocsparse_direction_T3_S2_21rocsparse_index_base_PKT1_PKT2_PKS2_S2_S3_PS4_PS7_PS2_,comdat
.Lfunc_end68:
	.size	_ZN9rocsparseL32bsr2csr_block_per_row_2_7_kernelILj256ELj4ElliEEv20rocsparse_direction_T3_S2_21rocsparse_index_base_PKT1_PKT2_PKS2_S2_S3_PS4_PS7_PS2_, .Lfunc_end68-_ZN9rocsparseL32bsr2csr_block_per_row_2_7_kernelILj256ELj4ElliEEv20rocsparse_direction_T3_S2_21rocsparse_index_base_PKT1_PKT2_PKS2_S2_S3_PS4_PS7_PS2_
                                        ; -- End function
	.section	.AMDGPU.csdata,"",@progbits
; Kernel info:
; codeLenInByte = 980
; NumSgprs: 32
; NumVgprs: 23
; NumAgprs: 0
; TotalNumVgprs: 23
; ScratchSize: 0
; MemoryBound: 0
; FloatMode: 240
; IeeeMode: 1
; LDSByteSize: 0 bytes/workgroup (compile time only)
; SGPRBlocks: 3
; VGPRBlocks: 2
; NumSGPRsForWavesPerEU: 32
; NumVGPRsForWavesPerEU: 23
; AccumOffset: 24
; Occupancy: 8
; WaveLimiterHint : 0
; COMPUTE_PGM_RSRC2:SCRATCH_EN: 0
; COMPUTE_PGM_RSRC2:USER_SGPR: 6
; COMPUTE_PGM_RSRC2:TRAP_HANDLER: 0
; COMPUTE_PGM_RSRC2:TGID_X_EN: 1
; COMPUTE_PGM_RSRC2:TGID_Y_EN: 0
; COMPUTE_PGM_RSRC2:TGID_Z_EN: 0
; COMPUTE_PGM_RSRC2:TIDIG_COMP_CNT: 0
; COMPUTE_PGM_RSRC3_GFX90A:ACCUM_OFFSET: 5
; COMPUTE_PGM_RSRC3_GFX90A:TG_SPLIT: 0
	.section	.text._ZN9rocsparseL32bsr2csr_block_per_row_2_7_kernelILj256ELj5ElliEEv20rocsparse_direction_T3_S2_21rocsparse_index_base_PKT1_PKT2_PKS2_S2_S3_PS4_PS7_PS2_,"axG",@progbits,_ZN9rocsparseL32bsr2csr_block_per_row_2_7_kernelILj256ELj5ElliEEv20rocsparse_direction_T3_S2_21rocsparse_index_base_PKT1_PKT2_PKS2_S2_S3_PS4_PS7_PS2_,comdat
	.globl	_ZN9rocsparseL32bsr2csr_block_per_row_2_7_kernelILj256ELj5ElliEEv20rocsparse_direction_T3_S2_21rocsparse_index_base_PKT1_PKT2_PKS2_S2_S3_PS4_PS7_PS2_ ; -- Begin function _ZN9rocsparseL32bsr2csr_block_per_row_2_7_kernelILj256ELj5ElliEEv20rocsparse_direction_T3_S2_21rocsparse_index_base_PKT1_PKT2_PKS2_S2_S3_PS4_PS7_PS2_
	.p2align	8
	.type	_ZN9rocsparseL32bsr2csr_block_per_row_2_7_kernelILj256ELj5ElliEEv20rocsparse_direction_T3_S2_21rocsparse_index_base_PKT1_PKT2_PKS2_S2_S3_PS4_PS7_PS2_,@function
_ZN9rocsparseL32bsr2csr_block_per_row_2_7_kernelILj256ELj5ElliEEv20rocsparse_direction_T3_S2_21rocsparse_index_base_PKT1_PKT2_PKS2_S2_S3_PS4_PS7_PS2_: ; @_ZN9rocsparseL32bsr2csr_block_per_row_2_7_kernelILj256ELj5ElliEEv20rocsparse_direction_T3_S2_21rocsparse_index_base_PKT1_PKT2_PKS2_S2_S3_PS4_PS7_PS2_
; %bb.0:
	s_load_dwordx2 s[2:3], s[4:5], 0x18
	s_load_dword s12, s[4:5], 0x2c
	s_load_dwordx2 s[0:1], s[4:5], 0x38
	s_ashr_i32 s7, s6, 31
	s_lshl_b64 s[8:9], s[6:7], 3
	s_waitcnt lgkmcnt(0)
	s_add_u32 s2, s2, s8
	v_or_b32_e32 v1, s6, v0
	s_addc_u32 s3, s3, s9
	v_cmp_eq_u32_e32 vcc, 0, v1
	s_and_saveexec_b64 s[8:9], vcc
	s_cbranch_execz .LBB69_2
; %bb.1:
	v_mov_b32_e32 v2, s12
	v_mov_b32_e32 v3, 0
	global_store_dwordx2 v3, v[2:3], s[0:1]
.LBB69_2:
	s_or_b64 exec, exec, s[8:9]
	v_and_b32_e32 v4, 7, v0
	v_cmp_gt_u32_e32 vcc, 5, v4
	s_and_saveexec_b64 s[8:9], vcc
	s_cbranch_execz .LBB69_6
; %bb.3:
	s_load_dwordx4 s[8:11], s[2:3], 0x0
	s_load_dword s7, s[4:5], 0xc
	s_mul_i32 s6, s6, 5
	v_lshrrev_b32_e32 v8, 3, v0
	v_mov_b32_e32 v1, 0
	v_add3_u32 v0, v4, s6, 1
	s_waitcnt lgkmcnt(0)
	s_sub_u32 s3, s8, s7
	s_subb_u32 s13, s9, 0
	s_mul_hi_u32 s2, s3, 25
	s_sub_u32 s10, s10, s7
	s_mul_i32 s14, s13, 25
	s_subb_u32 s11, s11, 0
	s_add_i32 s15, s2, s14
	s_sub_u32 s2, s10, s3
	s_subb_u32 s16, s11, s13
	s_mul_i32 s16, s16, 5
	s_mul_hi_u32 s17, s2, 5
	s_add_i32 s17, s17, s16
	s_mul_i32 s2, s2, 5
	s_add_u32 s16, s2, s12
	s_mul_i32 s14, s3, 25
	v_mul_lo_u32 v2, s17, v4
	s_addc_u32 s17, s17, 0
	s_add_u32 s14, s16, s14
	s_addc_u32 s15, s17, s15
	v_pk_mov_b32 v[6:7], s[14:15], s[14:15] op_sel:[0,1]
	v_lshlrev_b64 v[0:1], 3, v[0:1]
	v_mad_u64_u32 v[6:7], s[14:15], s2, v4, v[6:7]
	v_mov_b32_e32 v3, s1
	v_add_co_u32_e32 v0, vcc, s0, v0
	v_add_u32_e32 v7, v2, v7
	v_addc_co_u32_e32 v1, vcc, v3, v1, vcc
	global_store_dwordx2 v[0:1], v[6:7], off
	v_mov_b32_e32 v1, s13
	v_add_co_u32_e32 v0, vcc, s3, v8
	v_addc_co_u32_e32 v1, vcc, 0, v1, vcc
	v_cmp_gt_i64_e32 vcc, s[10:11], v[0:1]
	s_and_b64 exec, exec, vcc
	s_cbranch_execz .LBB69_6
; %bb.4:
	s_load_dwordx2 s[14:15], s[4:5], 0x20
	s_load_dwordx2 s[16:17], s[4:5], 0x30
	;; [unrolled: 1-line block ×3, first 2 shown]
	s_load_dword s3, s[4:5], 0x0
	s_load_dwordx2 s[20:21], s[4:5], 0x40
	s_movk_i32 s4, 0xc8
	v_mad_u64_u32 v[10:11], s[0:1], s2, v4, 0
	s_waitcnt lgkmcnt(0)
	v_pk_mov_b32 v[6:7], s[18:19], s[18:19] op_sel:[0,1]
	s_cmp_eq_u32 s3, 0
	v_mad_u64_u32 v[6:7], s[2:3], v0, s4, v[6:7]
	v_add_u32_e32 v11, v11, v2
	v_lshlrev_b64 v[2:3], 2, v[0:1]
	v_mov_b32_e32 v12, v7
	v_mov_b32_e32 v5, s15
	v_add_co_u32_e32 v2, vcc, s14, v2
	v_mad_u64_u32 v[12:13], s[2:3], v1, s4, v[12:13]
	v_mad_u64_u32 v[10:11], s[2:3], s8, 25, v[10:11]
	v_addc_co_u32_e32 v3, vcc, v5, v3, vcc
	v_mov_b32_e32 v5, v12
	v_mov_b32_e32 v12, v11
	v_mad_u64_u32 v[12:13], s[2:3], s9, 25, v[12:13]
	v_mov_b32_e32 v11, v12
	v_mad_u64_u32 v[8:9], s[2:3], v8, 5, v[10:11]
	s_mul_hi_u32 s2, s7, 25
	s_mul_i32 s3, s7, 25
	v_mov_b32_e32 v7, s2
	v_subrev_co_u32_e32 v10, vcc, s3, v8
	v_subb_co_u32_e32 v11, vcc, v9, v7, vcc
	v_lshlrev_b64 v[8:9], 3, v[10:11]
	v_mov_b32_e32 v7, s17
	v_add_co_u32_e32 v8, vcc, s16, v8
	v_addc_co_u32_e32 v7, vcc, v9, v7, vcc
	v_add_co_u32_e32 v8, vcc, 16, v8
	v_addc_co_u32_e32 v9, vcc, 0, v7, vcc
	v_lshlrev_b64 v[10:11], 2, v[10:11]
	v_mov_b32_e32 v7, s21
	v_add_co_u32_e32 v10, vcc, s20, v10
	v_addc_co_u32_e32 v7, vcc, v11, v7, vcc
	v_mul_u32_u24_e32 v14, 5, v4
	v_add_co_u32_e32 v10, vcc, 12, v10
	s_cselect_b64 s[0:1], -1, 0
	v_lshlrev_b32_e32 v4, 3, v4
	v_addc_co_u32_e32 v11, vcc, 0, v7, vcc
	v_lshlrev_b32_e32 v12, 3, v14
	s_mov_b64 s[4:5], 0
	v_mov_b32_e32 v14, s12
	s_movk_i32 s6, 0x50
	s_movk_i32 s8, 0x78
	;; [unrolled: 1-line block ×5, first 2 shown]
.LBB69_5:                               ; =>This Inner Loop Header: Depth=1
	v_add_co_u32_e32 v13, vcc, v6, v4
	v_addc_co_u32_e32 v15, vcc, 0, v5, vcc
	v_add_co_u32_e32 v18, vcc, v6, v12
	v_addc_co_u32_e32 v19, vcc, 0, v5, vcc
	;; [unrolled: 2-line block ×8, first 2 shown]
	v_cndmask_b32_e64 v16, v13, v18, s[0:1]
	v_add_co_u32_e32 v18, vcc, 32, v18
	v_cndmask_b32_e64 v17, v15, v19, s[0:1]
	v_addc_co_u32_e32 v19, vcc, 0, v19, vcc
	global_load_dword v7, v[2:3], off
	v_add_co_u32_e32 v13, vcc, s9, v13
	v_addc_co_u32_e32 v15, vcc, 0, v15, vcc
	v_cndmask_b32_e64 v25, v23, v21, s[0:1]
	v_cndmask_b32_e64 v24, v22, v20, s[0:1]
	global_load_dwordx2 v[16:17], v[16:17], off
	v_cndmask_b32_e64 v27, v29, v27, s[0:1]
	v_cndmask_b32_e64 v26, v28, v26, s[0:1]
	;; [unrolled: 1-line block ×6, first 2 shown]
	global_load_dwordx2 v[18:19], v[24:25], off
	global_load_dwordx2 v[20:21], v[26:27], off
	;; [unrolled: 1-line block ×4, first 2 shown]
	v_add_co_u32_e32 v0, vcc, 32, v0
	v_addc_co_u32_e32 v1, vcc, 0, v1, vcc
	v_add_co_u32_e32 v2, vcc, s12, v2
	v_addc_co_u32_e32 v3, vcc, 0, v3, vcc
	v_add_co_u32_e32 v6, vcc, s13, v6
	v_cmp_le_i64_e64 s[2:3], s[10:11], v[0:1]
	v_addc_co_u32_e32 v5, vcc, 0, v5, vcc
	s_or_b64 s[4:5], s[2:3], s[4:5]
	s_waitcnt vmcnt(5)
	v_subrev_u32_e32 v7, s7, v7
	v_mad_u64_u32 v[24:25], s[2:3], v7, 5, v[14:15]
	v_add_u32_e32 v26, 2, v24
	v_add_u32_e32 v25, 1, v24
	;; [unrolled: 1-line block ×4, first 2 shown]
	s_waitcnt vmcnt(3)
	global_store_dwordx4 v[8:9], v[16:19], off offset:-16
	global_store_dwordx3 v[10:11], v[24:26], off offset:-12
	s_waitcnt vmcnt(3)
	global_store_dwordx4 v[8:9], v[20:23], off
	global_store_dwordx2 v[10:11], v[28:29], off
	s_waitcnt vmcnt(4)
	global_store_dwordx2 v[8:9], v[32:33], off offset:16
	v_add_co_u32_e32 v8, vcc, 0x500, v8
	v_addc_co_u32_e32 v9, vcc, 0, v9, vcc
	v_add_co_u32_e32 v10, vcc, 0x280, v10
	v_addc_co_u32_e32 v11, vcc, 0, v11, vcc
	s_andn2_b64 exec, exec, s[4:5]
	s_cbranch_execnz .LBB69_5
.LBB69_6:
	s_endpgm
	.section	.rodata,"a",@progbits
	.p2align	6, 0x0
	.amdhsa_kernel _ZN9rocsparseL32bsr2csr_block_per_row_2_7_kernelILj256ELj5ElliEEv20rocsparse_direction_T3_S2_21rocsparse_index_base_PKT1_PKT2_PKS2_S2_S3_PS4_PS7_PS2_
		.amdhsa_group_segment_fixed_size 0
		.amdhsa_private_segment_fixed_size 0
		.amdhsa_kernarg_size 72
		.amdhsa_user_sgpr_count 6
		.amdhsa_user_sgpr_private_segment_buffer 1
		.amdhsa_user_sgpr_dispatch_ptr 0
		.amdhsa_user_sgpr_queue_ptr 0
		.amdhsa_user_sgpr_kernarg_segment_ptr 1
		.amdhsa_user_sgpr_dispatch_id 0
		.amdhsa_user_sgpr_flat_scratch_init 0
		.amdhsa_user_sgpr_kernarg_preload_length 0
		.amdhsa_user_sgpr_kernarg_preload_offset 0
		.amdhsa_user_sgpr_private_segment_size 0
		.amdhsa_uses_dynamic_stack 0
		.amdhsa_system_sgpr_private_segment_wavefront_offset 0
		.amdhsa_system_sgpr_workgroup_id_x 1
		.amdhsa_system_sgpr_workgroup_id_y 0
		.amdhsa_system_sgpr_workgroup_id_z 0
		.amdhsa_system_sgpr_workgroup_info 0
		.amdhsa_system_vgpr_workitem_id 0
		.amdhsa_next_free_vgpr 34
		.amdhsa_next_free_sgpr 22
		.amdhsa_accum_offset 36
		.amdhsa_reserve_vcc 1
		.amdhsa_reserve_flat_scratch 0
		.amdhsa_float_round_mode_32 0
		.amdhsa_float_round_mode_16_64 0
		.amdhsa_float_denorm_mode_32 3
		.amdhsa_float_denorm_mode_16_64 3
		.amdhsa_dx10_clamp 1
		.amdhsa_ieee_mode 1
		.amdhsa_fp16_overflow 0
		.amdhsa_tg_split 0
		.amdhsa_exception_fp_ieee_invalid_op 0
		.amdhsa_exception_fp_denorm_src 0
		.amdhsa_exception_fp_ieee_div_zero 0
		.amdhsa_exception_fp_ieee_overflow 0
		.amdhsa_exception_fp_ieee_underflow 0
		.amdhsa_exception_fp_ieee_inexact 0
		.amdhsa_exception_int_div_zero 0
	.end_amdhsa_kernel
	.section	.text._ZN9rocsparseL32bsr2csr_block_per_row_2_7_kernelILj256ELj5ElliEEv20rocsparse_direction_T3_S2_21rocsparse_index_base_PKT1_PKT2_PKS2_S2_S3_PS4_PS7_PS2_,"axG",@progbits,_ZN9rocsparseL32bsr2csr_block_per_row_2_7_kernelILj256ELj5ElliEEv20rocsparse_direction_T3_S2_21rocsparse_index_base_PKT1_PKT2_PKS2_S2_S3_PS4_PS7_PS2_,comdat
.Lfunc_end69:
	.size	_ZN9rocsparseL32bsr2csr_block_per_row_2_7_kernelILj256ELj5ElliEEv20rocsparse_direction_T3_S2_21rocsparse_index_base_PKT1_PKT2_PKS2_S2_S3_PS4_PS7_PS2_, .Lfunc_end69-_ZN9rocsparseL32bsr2csr_block_per_row_2_7_kernelILj256ELj5ElliEEv20rocsparse_direction_T3_S2_21rocsparse_index_base_PKT1_PKT2_PKS2_S2_S3_PS4_PS7_PS2_
                                        ; -- End function
	.section	.AMDGPU.csdata,"",@progbits
; Kernel info:
; codeLenInByte = 920
; NumSgprs: 26
; NumVgprs: 34
; NumAgprs: 0
; TotalNumVgprs: 34
; ScratchSize: 0
; MemoryBound: 0
; FloatMode: 240
; IeeeMode: 1
; LDSByteSize: 0 bytes/workgroup (compile time only)
; SGPRBlocks: 3
; VGPRBlocks: 4
; NumSGPRsForWavesPerEU: 26
; NumVGPRsForWavesPerEU: 34
; AccumOffset: 36
; Occupancy: 8
; WaveLimiterHint : 0
; COMPUTE_PGM_RSRC2:SCRATCH_EN: 0
; COMPUTE_PGM_RSRC2:USER_SGPR: 6
; COMPUTE_PGM_RSRC2:TRAP_HANDLER: 0
; COMPUTE_PGM_RSRC2:TGID_X_EN: 1
; COMPUTE_PGM_RSRC2:TGID_Y_EN: 0
; COMPUTE_PGM_RSRC2:TGID_Z_EN: 0
; COMPUTE_PGM_RSRC2:TIDIG_COMP_CNT: 0
; COMPUTE_PGM_RSRC3_GFX90A:ACCUM_OFFSET: 8
; COMPUTE_PGM_RSRC3_GFX90A:TG_SPLIT: 0
	.section	.text._ZN9rocsparseL32bsr2csr_block_per_row_2_7_kernelILj256ELj6ElliEEv20rocsparse_direction_T3_S2_21rocsparse_index_base_PKT1_PKT2_PKS2_S2_S3_PS4_PS7_PS2_,"axG",@progbits,_ZN9rocsparseL32bsr2csr_block_per_row_2_7_kernelILj256ELj6ElliEEv20rocsparse_direction_T3_S2_21rocsparse_index_base_PKT1_PKT2_PKS2_S2_S3_PS4_PS7_PS2_,comdat
	.globl	_ZN9rocsparseL32bsr2csr_block_per_row_2_7_kernelILj256ELj6ElliEEv20rocsparse_direction_T3_S2_21rocsparse_index_base_PKT1_PKT2_PKS2_S2_S3_PS4_PS7_PS2_ ; -- Begin function _ZN9rocsparseL32bsr2csr_block_per_row_2_7_kernelILj256ELj6ElliEEv20rocsparse_direction_T3_S2_21rocsparse_index_base_PKT1_PKT2_PKS2_S2_S3_PS4_PS7_PS2_
	.p2align	8
	.type	_ZN9rocsparseL32bsr2csr_block_per_row_2_7_kernelILj256ELj6ElliEEv20rocsparse_direction_T3_S2_21rocsparse_index_base_PKT1_PKT2_PKS2_S2_S3_PS4_PS7_PS2_,@function
_ZN9rocsparseL32bsr2csr_block_per_row_2_7_kernelILj256ELj6ElliEEv20rocsparse_direction_T3_S2_21rocsparse_index_base_PKT1_PKT2_PKS2_S2_S3_PS4_PS7_PS2_: ; @_ZN9rocsparseL32bsr2csr_block_per_row_2_7_kernelILj256ELj6ElliEEv20rocsparse_direction_T3_S2_21rocsparse_index_base_PKT1_PKT2_PKS2_S2_S3_PS4_PS7_PS2_
; %bb.0:
	s_load_dwordx2 s[2:3], s[4:5], 0x18
	s_load_dword s12, s[4:5], 0x2c
	s_load_dwordx2 s[0:1], s[4:5], 0x38
	s_ashr_i32 s7, s6, 31
	s_lshl_b64 s[8:9], s[6:7], 3
	s_waitcnt lgkmcnt(0)
	s_add_u32 s2, s2, s8
	v_or_b32_e32 v1, s6, v0
	s_addc_u32 s3, s3, s9
	v_cmp_eq_u32_e32 vcc, 0, v1
	s_and_saveexec_b64 s[8:9], vcc
	s_cbranch_execz .LBB70_2
; %bb.1:
	v_mov_b32_e32 v2, s12
	v_mov_b32_e32 v3, 0
	global_store_dwordx2 v3, v[2:3], s[0:1]
.LBB70_2:
	s_or_b64 exec, exec, s[8:9]
	v_and_b32_e32 v4, 7, v0
	v_cmp_gt_u32_e32 vcc, 6, v4
	s_and_saveexec_b64 s[8:9], vcc
	s_cbranch_execz .LBB70_6
; %bb.3:
	s_load_dwordx4 s[8:11], s[2:3], 0x0
	s_load_dword s7, s[4:5], 0xc
	s_mul_i32 s6, s6, 6
	v_lshrrev_b32_e32 v8, 3, v0
	v_mov_b32_e32 v1, 0
	v_add3_u32 v0, v4, s6, 1
	s_waitcnt lgkmcnt(0)
	s_sub_u32 s3, s8, s7
	s_subb_u32 s13, s9, 0
	s_mul_hi_u32 s2, s3, 36
	s_sub_u32 s10, s10, s7
	s_mul_i32 s14, s13, 36
	s_subb_u32 s11, s11, 0
	s_add_i32 s15, s2, s14
	s_sub_u32 s2, s10, s3
	s_subb_u32 s16, s11, s13
	s_mul_i32 s16, s16, 6
	s_mul_hi_u32 s17, s2, 6
	s_add_i32 s17, s17, s16
	s_mul_i32 s2, s2, 6
	s_add_u32 s16, s2, s12
	s_mul_i32 s14, s3, 36
	v_mul_lo_u32 v2, s17, v4
	s_addc_u32 s17, s17, 0
	s_add_u32 s14, s16, s14
	s_addc_u32 s15, s17, s15
	v_pk_mov_b32 v[6:7], s[14:15], s[14:15] op_sel:[0,1]
	v_lshlrev_b64 v[0:1], 3, v[0:1]
	v_mad_u64_u32 v[6:7], s[14:15], s2, v4, v[6:7]
	v_mov_b32_e32 v3, s1
	v_add_co_u32_e32 v0, vcc, s0, v0
	v_add_u32_e32 v7, v2, v7
	v_addc_co_u32_e32 v1, vcc, v3, v1, vcc
	global_store_dwordx2 v[0:1], v[6:7], off
	v_mov_b32_e32 v1, s13
	v_add_co_u32_e32 v0, vcc, s3, v8
	v_addc_co_u32_e32 v1, vcc, 0, v1, vcc
	v_cmp_gt_i64_e32 vcc, s[10:11], v[0:1]
	s_and_b64 exec, exec, vcc
	s_cbranch_execz .LBB70_6
; %bb.4:
	s_load_dwordx2 s[14:15], s[4:5], 0x20
	s_load_dwordx2 s[16:17], s[4:5], 0x30
	;; [unrolled: 1-line block ×3, first 2 shown]
	s_load_dword s3, s[4:5], 0x0
	s_load_dwordx2 s[20:21], s[4:5], 0x40
	s_movk_i32 s4, 0x120
	v_mad_u64_u32 v[10:11], s[0:1], s2, v4, 0
	s_waitcnt lgkmcnt(0)
	v_pk_mov_b32 v[6:7], s[18:19], s[18:19] op_sel:[0,1]
	s_cmp_eq_u32 s3, 0
	v_mad_u64_u32 v[6:7], s[2:3], v0, s4, v[6:7]
	v_add_u32_e32 v11, v11, v2
	v_lshlrev_b64 v[2:3], 2, v[0:1]
	v_mov_b32_e32 v12, v7
	v_mov_b32_e32 v5, s15
	v_add_co_u32_e32 v2, vcc, s14, v2
	v_mad_u64_u32 v[12:13], s[2:3], v1, s4, v[12:13]
	v_mad_u64_u32 v[10:11], s[2:3], s8, 36, v[10:11]
	v_addc_co_u32_e32 v3, vcc, v5, v3, vcc
	v_mov_b32_e32 v5, v12
	v_mov_b32_e32 v12, v11
	v_mad_u64_u32 v[12:13], s[2:3], s9, 36, v[12:13]
	v_mov_b32_e32 v11, v12
	v_mad_u64_u32 v[8:9], s[2:3], v8, 6, v[10:11]
	s_mul_hi_u32 s2, s7, 36
	s_mul_i32 s3, s7, 36
	v_mov_b32_e32 v7, s2
	v_subrev_co_u32_e32 v10, vcc, s3, v8
	v_subb_co_u32_e32 v11, vcc, v9, v7, vcc
	v_lshlrev_b64 v[8:9], 3, v[10:11]
	v_mov_b32_e32 v7, s17
	v_add_co_u32_e32 v8, vcc, s16, v8
	v_addc_co_u32_e32 v7, vcc, v9, v7, vcc
	v_add_co_u32_e32 v8, vcc, 24, v8
	v_addc_co_u32_e32 v9, vcc, 0, v7, vcc
	v_lshlrev_b64 v[10:11], 2, v[10:11]
	v_mov_b32_e32 v7, s21
	v_add_co_u32_e32 v10, vcc, s20, v10
	v_addc_co_u32_e32 v7, vcc, v11, v7, vcc
	v_mul_u32_u24_e32 v14, 6, v4
	v_add_co_u32_e32 v10, vcc, 12, v10
	s_cselect_b64 s[0:1], -1, 0
	v_lshlrev_b32_e32 v4, 3, v4
	v_addc_co_u32_e32 v11, vcc, 0, v7, vcc
	v_lshlrev_b32_e32 v12, 3, v14
	s_mov_b64 s[4:5], 0
	v_mov_b32_e32 v14, s12
	s_movk_i32 s6, 0x60
	s_movk_i32 s8, 0x90
	;; [unrolled: 1-line block ×6, first 2 shown]
.LBB70_5:                               ; =>This Inner Loop Header: Depth=1
	v_add_co_u32_e32 v13, vcc, v6, v4
	v_addc_co_u32_e32 v15, vcc, 0, v5, vcc
	v_add_co_u32_e32 v18, vcc, v6, v12
	v_addc_co_u32_e32 v19, vcc, 0, v5, vcc
	;; [unrolled: 2-line block ×10, first 2 shown]
	v_cndmask_b32_e64 v16, v13, v18, s[0:1]
	v_add_co_u32_e32 v18, vcc, 40, v18
	v_cndmask_b32_e64 v17, v15, v19, s[0:1]
	v_addc_co_u32_e32 v19, vcc, 0, v19, vcc
	global_load_dword v7, v[2:3], off
	v_add_co_u32_e32 v13, vcc, s12, v13
	v_addc_co_u32_e32 v15, vcc, 0, v15, vcc
	v_cndmask_b32_e64 v29, v23, v21, s[0:1]
	v_cndmask_b32_e64 v28, v22, v20, s[0:1]
	global_load_dwordx2 v[16:17], v[16:17], off
	v_cndmask_b32_e64 v31, v27, v25, s[0:1]
	v_cndmask_b32_e64 v30, v26, v24, s[0:1]
	;; [unrolled: 1-line block ×8, first 2 shown]
	global_load_dwordx2 v[18:19], v[28:29], off
	global_load_dwordx2 v[20:21], v[30:31], off
	;; [unrolled: 1-line block ×5, first 2 shown]
	v_add_co_u32_e32 v0, vcc, 32, v0
	v_addc_co_u32_e32 v1, vcc, 0, v1, vcc
	v_add_co_u32_e32 v2, vcc, s13, v2
	v_addc_co_u32_e32 v3, vcc, 0, v3, vcc
	v_add_co_u32_e32 v6, vcc, s14, v6
	v_cmp_le_i64_e64 s[2:3], s[10:11], v[0:1]
	v_addc_co_u32_e32 v5, vcc, 0, v5, vcc
	s_or_b64 s[4:5], s[2:3], s[4:5]
	s_waitcnt vmcnt(6)
	v_subrev_u32_e32 v7, s7, v7
	v_mad_u64_u32 v[28:29], s[2:3], v7, 6, v[14:15]
	v_add_u32_e32 v30, 2, v28
	v_add_u32_e32 v29, 1, v28
	;; [unrolled: 1-line block ×5, first 2 shown]
	s_waitcnt vmcnt(4)
	global_store_dwordx4 v[8:9], v[16:19], off offset:-24
	global_store_dwordx3 v[10:11], v[28:30], off offset:-12
	s_waitcnt vmcnt(4)
	global_store_dwordx4 v[8:9], v[20:23], off offset:-8
	global_store_dwordx3 v[10:11], v[32:34], off
	s_waitcnt vmcnt(4)
	global_store_dwordx4 v[8:9], v[24:27], off offset:8
	v_add_co_u32_e32 v8, vcc, 0x600, v8
	v_addc_co_u32_e32 v9, vcc, 0, v9, vcc
	v_add_co_u32_e32 v10, vcc, 0x300, v10
	v_addc_co_u32_e32 v11, vcc, 0, v11, vcc
	s_andn2_b64 exec, exec, s[4:5]
	s_cbranch_execnz .LBB70_5
.LBB70_6:
	s_endpgm
	.section	.rodata,"a",@progbits
	.p2align	6, 0x0
	.amdhsa_kernel _ZN9rocsparseL32bsr2csr_block_per_row_2_7_kernelILj256ELj6ElliEEv20rocsparse_direction_T3_S2_21rocsparse_index_base_PKT1_PKT2_PKS2_S2_S3_PS4_PS7_PS2_
		.amdhsa_group_segment_fixed_size 0
		.amdhsa_private_segment_fixed_size 0
		.amdhsa_kernarg_size 72
		.amdhsa_user_sgpr_count 6
		.amdhsa_user_sgpr_private_segment_buffer 1
		.amdhsa_user_sgpr_dispatch_ptr 0
		.amdhsa_user_sgpr_queue_ptr 0
		.amdhsa_user_sgpr_kernarg_segment_ptr 1
		.amdhsa_user_sgpr_dispatch_id 0
		.amdhsa_user_sgpr_flat_scratch_init 0
		.amdhsa_user_sgpr_kernarg_preload_length 0
		.amdhsa_user_sgpr_kernarg_preload_offset 0
		.amdhsa_user_sgpr_private_segment_size 0
		.amdhsa_uses_dynamic_stack 0
		.amdhsa_system_sgpr_private_segment_wavefront_offset 0
		.amdhsa_system_sgpr_workgroup_id_x 1
		.amdhsa_system_sgpr_workgroup_id_y 0
		.amdhsa_system_sgpr_workgroup_id_z 0
		.amdhsa_system_sgpr_workgroup_info 0
		.amdhsa_system_vgpr_workitem_id 0
		.amdhsa_next_free_vgpr 40
		.amdhsa_next_free_sgpr 22
		.amdhsa_accum_offset 40
		.amdhsa_reserve_vcc 1
		.amdhsa_reserve_flat_scratch 0
		.amdhsa_float_round_mode_32 0
		.amdhsa_float_round_mode_16_64 0
		.amdhsa_float_denorm_mode_32 3
		.amdhsa_float_denorm_mode_16_64 3
		.amdhsa_dx10_clamp 1
		.amdhsa_ieee_mode 1
		.amdhsa_fp16_overflow 0
		.amdhsa_tg_split 0
		.amdhsa_exception_fp_ieee_invalid_op 0
		.amdhsa_exception_fp_denorm_src 0
		.amdhsa_exception_fp_ieee_div_zero 0
		.amdhsa_exception_fp_ieee_overflow 0
		.amdhsa_exception_fp_ieee_underflow 0
		.amdhsa_exception_fp_ieee_inexact 0
		.amdhsa_exception_int_div_zero 0
	.end_amdhsa_kernel
	.section	.text._ZN9rocsparseL32bsr2csr_block_per_row_2_7_kernelILj256ELj6ElliEEv20rocsparse_direction_T3_S2_21rocsparse_index_base_PKT1_PKT2_PKS2_S2_S3_PS4_PS7_PS2_,"axG",@progbits,_ZN9rocsparseL32bsr2csr_block_per_row_2_7_kernelILj256ELj6ElliEEv20rocsparse_direction_T3_S2_21rocsparse_index_base_PKT1_PKT2_PKS2_S2_S3_PS4_PS7_PS2_,comdat
.Lfunc_end70:
	.size	_ZN9rocsparseL32bsr2csr_block_per_row_2_7_kernelILj256ELj6ElliEEv20rocsparse_direction_T3_S2_21rocsparse_index_base_PKT1_PKT2_PKS2_S2_S3_PS4_PS7_PS2_, .Lfunc_end70-_ZN9rocsparseL32bsr2csr_block_per_row_2_7_kernelILj256ELj6ElliEEv20rocsparse_direction_T3_S2_21rocsparse_index_base_PKT1_PKT2_PKS2_S2_S3_PS4_PS7_PS2_
                                        ; -- End function
	.section	.AMDGPU.csdata,"",@progbits
; Kernel info:
; codeLenInByte = 968
; NumSgprs: 26
; NumVgprs: 40
; NumAgprs: 0
; TotalNumVgprs: 40
; ScratchSize: 0
; MemoryBound: 0
; FloatMode: 240
; IeeeMode: 1
; LDSByteSize: 0 bytes/workgroup (compile time only)
; SGPRBlocks: 3
; VGPRBlocks: 4
; NumSGPRsForWavesPerEU: 26
; NumVGPRsForWavesPerEU: 40
; AccumOffset: 40
; Occupancy: 8
; WaveLimiterHint : 0
; COMPUTE_PGM_RSRC2:SCRATCH_EN: 0
; COMPUTE_PGM_RSRC2:USER_SGPR: 6
; COMPUTE_PGM_RSRC2:TRAP_HANDLER: 0
; COMPUTE_PGM_RSRC2:TGID_X_EN: 1
; COMPUTE_PGM_RSRC2:TGID_Y_EN: 0
; COMPUTE_PGM_RSRC2:TGID_Z_EN: 0
; COMPUTE_PGM_RSRC2:TIDIG_COMP_CNT: 0
; COMPUTE_PGM_RSRC3_GFX90A:ACCUM_OFFSET: 9
; COMPUTE_PGM_RSRC3_GFX90A:TG_SPLIT: 0
	.section	.text._ZN9rocsparseL32bsr2csr_block_per_row_2_7_kernelILj256ELj7ElliEEv20rocsparse_direction_T3_S2_21rocsparse_index_base_PKT1_PKT2_PKS2_S2_S3_PS4_PS7_PS2_,"axG",@progbits,_ZN9rocsparseL32bsr2csr_block_per_row_2_7_kernelILj256ELj7ElliEEv20rocsparse_direction_T3_S2_21rocsparse_index_base_PKT1_PKT2_PKS2_S2_S3_PS4_PS7_PS2_,comdat
	.globl	_ZN9rocsparseL32bsr2csr_block_per_row_2_7_kernelILj256ELj7ElliEEv20rocsparse_direction_T3_S2_21rocsparse_index_base_PKT1_PKT2_PKS2_S2_S3_PS4_PS7_PS2_ ; -- Begin function _ZN9rocsparseL32bsr2csr_block_per_row_2_7_kernelILj256ELj7ElliEEv20rocsparse_direction_T3_S2_21rocsparse_index_base_PKT1_PKT2_PKS2_S2_S3_PS4_PS7_PS2_
	.p2align	8
	.type	_ZN9rocsparseL32bsr2csr_block_per_row_2_7_kernelILj256ELj7ElliEEv20rocsparse_direction_T3_S2_21rocsparse_index_base_PKT1_PKT2_PKS2_S2_S3_PS4_PS7_PS2_,@function
_ZN9rocsparseL32bsr2csr_block_per_row_2_7_kernelILj256ELj7ElliEEv20rocsparse_direction_T3_S2_21rocsparse_index_base_PKT1_PKT2_PKS2_S2_S3_PS4_PS7_PS2_: ; @_ZN9rocsparseL32bsr2csr_block_per_row_2_7_kernelILj256ELj7ElliEEv20rocsparse_direction_T3_S2_21rocsparse_index_base_PKT1_PKT2_PKS2_S2_S3_PS4_PS7_PS2_
; %bb.0:
	s_load_dwordx2 s[2:3], s[4:5], 0x18
	s_load_dword s12, s[4:5], 0x2c
	s_load_dwordx2 s[0:1], s[4:5], 0x38
	s_ashr_i32 s7, s6, 31
	s_lshl_b64 s[8:9], s[6:7], 3
	s_waitcnt lgkmcnt(0)
	s_add_u32 s2, s2, s8
	v_or_b32_e32 v1, s6, v0
	s_addc_u32 s3, s3, s9
	v_cmp_eq_u32_e32 vcc, 0, v1
	s_and_saveexec_b64 s[8:9], vcc
	s_cbranch_execz .LBB71_2
; %bb.1:
	v_mov_b32_e32 v2, s12
	v_mov_b32_e32 v3, 0
	global_store_dwordx2 v3, v[2:3], s[0:1]
.LBB71_2:
	s_or_b64 exec, exec, s[8:9]
	v_and_b32_e32 v4, 7, v0
	v_cmp_ne_u32_e32 vcc, 7, v4
	s_and_saveexec_b64 s[8:9], vcc
	s_cbranch_execz .LBB71_6
; %bb.3:
	s_load_dwordx4 s[8:11], s[2:3], 0x0
	s_load_dword s7, s[4:5], 0xc
	s_mul_i32 s6, s6, 7
	v_lshrrev_b32_e32 v8, 3, v0
	v_mov_b32_e32 v1, 0
	v_add3_u32 v0, v4, s6, 1
	s_waitcnt lgkmcnt(0)
	s_sub_u32 s3, s8, s7
	s_subb_u32 s13, s9, 0
	s_mul_hi_u32 s2, s3, 49
	s_sub_u32 s10, s10, s7
	s_mul_i32 s14, s13, 49
	s_subb_u32 s11, s11, 0
	s_add_i32 s15, s2, s14
	s_sub_u32 s2, s10, s3
	s_subb_u32 s16, s11, s13
	s_mul_i32 s16, s16, 7
	s_mul_hi_u32 s17, s2, 7
	s_add_i32 s17, s17, s16
	s_mul_i32 s2, s2, 7
	s_add_u32 s16, s2, s12
	s_mul_i32 s14, s3, 49
	v_mul_lo_u32 v2, s17, v4
	s_addc_u32 s17, s17, 0
	s_add_u32 s14, s16, s14
	s_addc_u32 s15, s17, s15
	v_pk_mov_b32 v[6:7], s[14:15], s[14:15] op_sel:[0,1]
	v_lshlrev_b64 v[0:1], 3, v[0:1]
	v_mad_u64_u32 v[6:7], s[14:15], s2, v4, v[6:7]
	v_mov_b32_e32 v3, s1
	v_add_co_u32_e32 v0, vcc, s0, v0
	v_add_u32_e32 v7, v2, v7
	v_addc_co_u32_e32 v1, vcc, v3, v1, vcc
	global_store_dwordx2 v[0:1], v[6:7], off
	v_mov_b32_e32 v1, s13
	v_add_co_u32_e32 v0, vcc, s3, v8
	v_addc_co_u32_e32 v1, vcc, 0, v1, vcc
	v_cmp_gt_i64_e32 vcc, s[10:11], v[0:1]
	s_and_b64 exec, exec, vcc
	s_cbranch_execz .LBB71_6
; %bb.4:
	s_load_dwordx2 s[14:15], s[4:5], 0x20
	s_load_dwordx2 s[16:17], s[4:5], 0x30
	;; [unrolled: 1-line block ×3, first 2 shown]
	s_load_dword s3, s[4:5], 0x0
	s_load_dwordx2 s[20:21], s[4:5], 0x40
	s_movk_i32 s4, 0x188
	v_mad_u64_u32 v[10:11], s[0:1], s2, v4, 0
	s_waitcnt lgkmcnt(0)
	v_pk_mov_b32 v[6:7], s[18:19], s[18:19] op_sel:[0,1]
	s_cmp_eq_u32 s3, 0
	v_mad_u64_u32 v[6:7], s[2:3], v0, s4, v[6:7]
	v_add_u32_e32 v11, v11, v2
	v_lshlrev_b64 v[2:3], 2, v[0:1]
	v_mov_b32_e32 v12, v7
	v_mov_b32_e32 v5, s15
	v_add_co_u32_e32 v2, vcc, s14, v2
	v_mad_u64_u32 v[12:13], s[2:3], v1, s4, v[12:13]
	v_mad_u64_u32 v[10:11], s[2:3], s8, 49, v[10:11]
	v_addc_co_u32_e32 v3, vcc, v5, v3, vcc
	v_mov_b32_e32 v5, v12
	v_mov_b32_e32 v12, v11
	v_mad_u64_u32 v[12:13], s[2:3], s9, 49, v[12:13]
	v_mov_b32_e32 v11, v12
	v_mad_u64_u32 v[8:9], s[2:3], v8, 7, v[10:11]
	s_mul_hi_u32 s2, s7, 49
	s_mul_i32 s3, s7, 49
	v_mov_b32_e32 v7, s2
	v_subrev_co_u32_e32 v10, vcc, s3, v8
	v_subb_co_u32_e32 v11, vcc, v9, v7, vcc
	v_lshlrev_b64 v[8:9], 3, v[10:11]
	v_mov_b32_e32 v7, s17
	v_add_co_u32_e32 v8, vcc, s16, v8
	v_addc_co_u32_e32 v7, vcc, v9, v7, vcc
	v_add_co_u32_e32 v8, vcc, 24, v8
	v_addc_co_u32_e32 v9, vcc, 0, v7, vcc
	v_lshlrev_b64 v[10:11], 2, v[10:11]
	v_mov_b32_e32 v7, s21
	v_add_co_u32_e32 v10, vcc, s20, v10
	v_addc_co_u32_e32 v7, vcc, v11, v7, vcc
	v_mul_u32_u24_e32 v14, 7, v4
	v_add_co_u32_e32 v10, vcc, 20, v10
	s_cselect_b64 s[0:1], -1, 0
	v_lshlrev_b32_e32 v4, 3, v4
	v_addc_co_u32_e32 v11, vcc, 0, v7, vcc
	v_lshlrev_b32_e32 v12, 3, v14
	s_mov_b64 s[4:5], 0
	v_mov_b32_e32 v14, s12
	s_movk_i32 s6, 0x70
	s_movk_i32 s8, 0xa8
	s_movk_i32 s9, 0xe0
	s_movk_i32 s12, 0x118
	s_movk_i32 s13, 0x150
	s_movk_i32 s14, 0x80
	s_movk_i32 s15, 0x3100
.LBB71_5:                               ; =>This Inner Loop Header: Depth=1
	v_add_co_u32_e32 v13, vcc, v6, v4
	v_addc_co_u32_e32 v15, vcc, 0, v5, vcc
	v_add_co_u32_e32 v18, vcc, v6, v12
	v_addc_co_u32_e32 v19, vcc, 0, v5, vcc
	;; [unrolled: 2-line block ×12, first 2 shown]
	v_cndmask_b32_e64 v16, v13, v18, s[0:1]
	v_add_co_u32_e32 v18, vcc, 48, v18
	v_cndmask_b32_e64 v17, v15, v19, s[0:1]
	v_addc_co_u32_e32 v19, vcc, 0, v19, vcc
	global_load_dword v7, v[2:3], off
	v_add_co_u32_e32 v13, vcc, s13, v13
	v_addc_co_u32_e32 v15, vcc, 0, v15, vcc
	v_cndmask_b32_e64 v29, v23, v21, s[0:1]
	v_cndmask_b32_e64 v28, v22, v20, s[0:1]
	global_load_dwordx2 v[16:17], v[16:17], off
	v_cndmask_b32_e64 v31, v27, v25, s[0:1]
	v_cndmask_b32_e64 v30, v26, v24, s[0:1]
	;; [unrolled: 1-line block ×10, first 2 shown]
	global_load_dwordx2 v[18:19], v[28:29], off
	global_load_dwordx2 v[20:21], v[30:31], off
	;; [unrolled: 1-line block ×6, first 2 shown]
	v_add_co_u32_e32 v0, vcc, 32, v0
	v_addc_co_u32_e32 v1, vcc, 0, v1, vcc
	v_add_co_u32_e32 v2, vcc, s14, v2
	v_addc_co_u32_e32 v3, vcc, 0, v3, vcc
	v_add_co_u32_e32 v6, vcc, s15, v6
	v_cmp_le_i64_e64 s[2:3], s[10:11], v[0:1]
	v_addc_co_u32_e32 v5, vcc, 0, v5, vcc
	s_or_b64 s[4:5], s[2:3], s[4:5]
	s_waitcnt vmcnt(7)
	v_subrev_u32_e32 v7, s7, v7
	v_mad_u64_u32 v[32:33], s[2:3], v7, 7, v[14:15]
	v_add_u32_e32 v34, 2, v32
	v_add_u32_e32 v33, 1, v32
	;; [unrolled: 1-line block ×6, first 2 shown]
	s_waitcnt vmcnt(5)
	global_store_dwordx4 v[8:9], v[16:19], off offset:-24
	global_store_dwordx3 v[10:11], v[32:34], off offset:-20
	s_waitcnt vmcnt(5)
	global_store_dwordx4 v[8:9], v[20:23], off offset:-8
	s_waitcnt vmcnt(4)
	global_store_dwordx4 v[8:9], v[24:27], off offset:8
	global_store_dwordx4 v[10:11], v[28:31], off offset:-8
	s_waitcnt vmcnt(5)
	global_store_dwordx2 v[8:9], v[40:41], off offset:24
	v_add_co_u32_e32 v8, vcc, 0x700, v8
	v_addc_co_u32_e32 v9, vcc, 0, v9, vcc
	v_add_co_u32_e32 v10, vcc, 0x380, v10
	v_addc_co_u32_e32 v11, vcc, 0, v11, vcc
	s_andn2_b64 exec, exec, s[4:5]
	s_cbranch_execnz .LBB71_5
.LBB71_6:
	s_endpgm
	.section	.rodata,"a",@progbits
	.p2align	6, 0x0
	.amdhsa_kernel _ZN9rocsparseL32bsr2csr_block_per_row_2_7_kernelILj256ELj7ElliEEv20rocsparse_direction_T3_S2_21rocsparse_index_base_PKT1_PKT2_PKS2_S2_S3_PS4_PS7_PS2_
		.amdhsa_group_segment_fixed_size 0
		.amdhsa_private_segment_fixed_size 0
		.amdhsa_kernarg_size 72
		.amdhsa_user_sgpr_count 6
		.amdhsa_user_sgpr_private_segment_buffer 1
		.amdhsa_user_sgpr_dispatch_ptr 0
		.amdhsa_user_sgpr_queue_ptr 0
		.amdhsa_user_sgpr_kernarg_segment_ptr 1
		.amdhsa_user_sgpr_dispatch_id 0
		.amdhsa_user_sgpr_flat_scratch_init 0
		.amdhsa_user_sgpr_kernarg_preload_length 0
		.amdhsa_user_sgpr_kernarg_preload_offset 0
		.amdhsa_user_sgpr_private_segment_size 0
		.amdhsa_uses_dynamic_stack 0
		.amdhsa_system_sgpr_private_segment_wavefront_offset 0
		.amdhsa_system_sgpr_workgroup_id_x 1
		.amdhsa_system_sgpr_workgroup_id_y 0
		.amdhsa_system_sgpr_workgroup_id_z 0
		.amdhsa_system_sgpr_workgroup_info 0
		.amdhsa_system_vgpr_workitem_id 0
		.amdhsa_next_free_vgpr 44
		.amdhsa_next_free_sgpr 22
		.amdhsa_accum_offset 44
		.amdhsa_reserve_vcc 1
		.amdhsa_reserve_flat_scratch 0
		.amdhsa_float_round_mode_32 0
		.amdhsa_float_round_mode_16_64 0
		.amdhsa_float_denorm_mode_32 3
		.amdhsa_float_denorm_mode_16_64 3
		.amdhsa_dx10_clamp 1
		.amdhsa_ieee_mode 1
		.amdhsa_fp16_overflow 0
		.amdhsa_tg_split 0
		.amdhsa_exception_fp_ieee_invalid_op 0
		.amdhsa_exception_fp_denorm_src 0
		.amdhsa_exception_fp_ieee_div_zero 0
		.amdhsa_exception_fp_ieee_overflow 0
		.amdhsa_exception_fp_ieee_underflow 0
		.amdhsa_exception_fp_ieee_inexact 0
		.amdhsa_exception_int_div_zero 0
	.end_amdhsa_kernel
	.section	.text._ZN9rocsparseL32bsr2csr_block_per_row_2_7_kernelILj256ELj7ElliEEv20rocsparse_direction_T3_S2_21rocsparse_index_base_PKT1_PKT2_PKS2_S2_S3_PS4_PS7_PS2_,"axG",@progbits,_ZN9rocsparseL32bsr2csr_block_per_row_2_7_kernelILj256ELj7ElliEEv20rocsparse_direction_T3_S2_21rocsparse_index_base_PKT1_PKT2_PKS2_S2_S3_PS4_PS7_PS2_,comdat
.Lfunc_end71:
	.size	_ZN9rocsparseL32bsr2csr_block_per_row_2_7_kernelILj256ELj7ElliEEv20rocsparse_direction_T3_S2_21rocsparse_index_base_PKT1_PKT2_PKS2_S2_S3_PS4_PS7_PS2_, .Lfunc_end71-_ZN9rocsparseL32bsr2csr_block_per_row_2_7_kernelILj256ELj7ElliEEv20rocsparse_direction_T3_S2_21rocsparse_index_base_PKT1_PKT2_PKS2_S2_S3_PS4_PS7_PS2_
                                        ; -- End function
	.section	.AMDGPU.csdata,"",@progbits
; Kernel info:
; codeLenInByte = 1028
; NumSgprs: 26
; NumVgprs: 44
; NumAgprs: 0
; TotalNumVgprs: 44
; ScratchSize: 0
; MemoryBound: 0
; FloatMode: 240
; IeeeMode: 1
; LDSByteSize: 0 bytes/workgroup (compile time only)
; SGPRBlocks: 3
; VGPRBlocks: 5
; NumSGPRsForWavesPerEU: 26
; NumVGPRsForWavesPerEU: 44
; AccumOffset: 44
; Occupancy: 8
; WaveLimiterHint : 0
; COMPUTE_PGM_RSRC2:SCRATCH_EN: 0
; COMPUTE_PGM_RSRC2:USER_SGPR: 6
; COMPUTE_PGM_RSRC2:TRAP_HANDLER: 0
; COMPUTE_PGM_RSRC2:TGID_X_EN: 1
; COMPUTE_PGM_RSRC2:TGID_Y_EN: 0
; COMPUTE_PGM_RSRC2:TGID_Z_EN: 0
; COMPUTE_PGM_RSRC2:TIDIG_COMP_CNT: 0
; COMPUTE_PGM_RSRC3_GFX90A:ACCUM_OFFSET: 10
; COMPUTE_PGM_RSRC3_GFX90A:TG_SPLIT: 0
	.section	.text._ZN9rocsparseL33bsr2csr_block_per_row_8_32_kernelILj1024ELj8ElliEEv20rocsparse_direction_T3_S2_21rocsparse_index_base_PKT1_PKT2_PKS2_S2_S3_PS4_PS7_PS2_,"axG",@progbits,_ZN9rocsparseL33bsr2csr_block_per_row_8_32_kernelILj1024ELj8ElliEEv20rocsparse_direction_T3_S2_21rocsparse_index_base_PKT1_PKT2_PKS2_S2_S3_PS4_PS7_PS2_,comdat
	.globl	_ZN9rocsparseL33bsr2csr_block_per_row_8_32_kernelILj1024ELj8ElliEEv20rocsparse_direction_T3_S2_21rocsparse_index_base_PKT1_PKT2_PKS2_S2_S3_PS4_PS7_PS2_ ; -- Begin function _ZN9rocsparseL33bsr2csr_block_per_row_8_32_kernelILj1024ELj8ElliEEv20rocsparse_direction_T3_S2_21rocsparse_index_base_PKT1_PKT2_PKS2_S2_S3_PS4_PS7_PS2_
	.p2align	8
	.type	_ZN9rocsparseL33bsr2csr_block_per_row_8_32_kernelILj1024ELj8ElliEEv20rocsparse_direction_T3_S2_21rocsparse_index_base_PKT1_PKT2_PKS2_S2_S3_PS4_PS7_PS2_,@function
_ZN9rocsparseL33bsr2csr_block_per_row_8_32_kernelILj1024ELj8ElliEEv20rocsparse_direction_T3_S2_21rocsparse_index_base_PKT1_PKT2_PKS2_S2_S3_PS4_PS7_PS2_: ; @_ZN9rocsparseL33bsr2csr_block_per_row_8_32_kernelILj1024ELj8ElliEEv20rocsparse_direction_T3_S2_21rocsparse_index_base_PKT1_PKT2_PKS2_S2_S3_PS4_PS7_PS2_
; %bb.0:
	s_load_dwordx2 s[2:3], s[4:5], 0x18
	s_load_dwordx2 s[0:1], s[4:5], 0x28
	;; [unrolled: 1-line block ×3, first 2 shown]
	s_ashr_i32 s7, s6, 31
	s_lshl_b64 s[8:9], s[6:7], 3
	s_waitcnt lgkmcnt(0)
	s_add_u32 s2, s2, s8
	v_or_b32_e32 v1, s6, v0
	s_addc_u32 s3, s3, s9
	v_cmp_eq_u32_e32 vcc, 0, v1
	s_and_saveexec_b64 s[8:9], vcc
	s_cbranch_execz .LBB72_2
; %bb.1:
	v_mov_b32_e32 v2, s1
	v_mov_b32_e32 v3, 0
	global_store_dwordx2 v3, v[2:3], s[12:13]
.LBB72_2:
	s_or_b64 exec, exec, s[8:9]
	v_and_b32_e32 v3, 7, v0
	v_bfe_u32 v8, v0, 3, 3
	v_max_i32_e32 v1, v8, v3
	v_cmp_gt_i32_e32 vcc, s0, v1
	s_and_saveexec_b64 s[8:9], vcc
	s_cbranch_execz .LBB72_6
; %bb.3:
	s_load_dwordx4 s[16:19], s[2:3], 0x0
	s_load_dword s14, s[4:5], 0xc
	s_mul_i32 s8, s0, s0
	v_lshrrev_b32_e32 v4, 6, v0
	s_mul_i32 s6, s6, s0
	s_mov_b32 s9, 0
	s_waitcnt lgkmcnt(0)
	s_sub_u32 s20, s16, s14
	s_subb_u32 s21, s17, 0
	s_sub_u32 s2, s18, s14
	s_mul_i32 s7, s21, s8
	s_mul_hi_u32 s10, s20, s8
	s_subb_u32 s3, s19, 0
	s_add_i32 s11, s10, s7
	s_sub_u32 s15, s2, s20
	s_subb_u32 s7, s3, s21
	s_mul_i32 s16, s7, s0
	s_mul_hi_u32 s17, s15, s0
	s_add_i32 s18, s17, s16
	s_mul_i32 s19, s15, s0
	s_add_u32 s16, s19, s1
	s_mul_i32 s10, s20, s8
	s_addc_u32 s17, s18, 0
	s_add_u32 s16, s16, s10
	s_addc_u32 s17, s17, s11
	v_pk_mov_b32 v[0:1], s[16:17], s[16:17] op_sel:[0,1]
	v_mad_u64_u32 v[0:1], s[16:17], s19, v8, v[0:1]
	v_mov_b32_e32 v2, v1
	v_mad_u64_u32 v[6:7], s[16:17], s18, v8, v[2:3]
	v_mov_b32_e32 v1, v6
	v_add_u32_e32 v6, s6, v8
	v_ashrrev_i32_e32 v7, 31, v6
	v_lshlrev_b64 v[6:7], 3, v[6:7]
	v_mov_b32_e32 v2, s13
	v_add_co_u32_e32 v6, vcc, s12, v6
	v_addc_co_u32_e32 v7, vcc, v2, v7, vcc
	global_store_dwordx2 v[6:7], v[0:1], off offset:8
	v_mov_b32_e32 v1, s21
	v_add_co_u32_e32 v0, vcc, s20, v4
	v_addc_co_u32_e32 v1, vcc, 0, v1, vcc
	v_mov_b32_e32 v5, 0
	v_cmp_gt_i64_e32 vcc, s[2:3], v[0:1]
	s_and_b64 exec, exec, vcc
	s_cbranch_execz .LBB72_6
; %bb.4:
	s_load_dwordx2 s[12:13], s[4:5], 0x20
	s_load_dwordx2 s[16:17], s[4:5], 0x30
	;; [unrolled: 1-line block ×3, first 2 shown]
	s_load_dword s6, s[4:5], 0x0
	s_load_dwordx2 s[20:21], s[4:5], 0x40
	v_mul_lo_u32 v6, v3, s0
	v_mov_b32_e32 v7, v5
	v_lshlrev_b64 v[6:7], 3, v[6:7]
	s_waitcnt lgkmcnt(0)
	v_mov_b32_e32 v9, s19
	v_add_co_u32_e32 v6, vcc, s18, v6
	v_addc_co_u32_e32 v7, vcc, v9, v7, vcc
	v_lshlrev_b32_e32 v10, 3, v8
	v_add_co_u32_e32 v10, vcc, v6, v10
	v_addc_co_u32_e32 v11, vcc, 0, v7, vcc
	v_mul_lo_u32 v6, v8, s0
	v_mov_b32_e32 v7, v5
	v_lshlrev_b64 v[6:7], 3, v[6:7]
	v_add_co_u32_e32 v6, vcc, s18, v6
	v_addc_co_u32_e32 v7, vcc, v9, v7, vcc
	v_lshlrev_b32_e32 v9, 3, v3
	v_add_co_u32_e32 v6, vcc, v6, v9
	s_cmp_eq_u32 s6, 0
	v_addc_co_u32_e32 v7, vcc, 0, v7, vcc
	s_cselect_b64 vcc, -1, 0
	v_cndmask_b32_e32 v9, v11, v7, vcc
	v_cndmask_b32_e32 v12, v10, v6, vcc
	v_mad_u64_u32 v[6:7], s[4:5], v0, s8, 0
	v_mov_b32_e32 v10, v7
	v_mad_u64_u32 v[10:11], s[4:5], v1, s8, v[10:11]
	v_mov_b32_e32 v7, v10
	s_mov_b32 s23, s9
	v_lshlrev_b64 v[6:7], 3, v[6:7]
	s_lshl_b64 s[4:5], s[8:9], 7
	v_mad_u64_u32 v[4:5], s[8:9], s15, v8, v[4:5]
	v_add_co_u32_e32 v6, vcc, v12, v6
	v_mov_b32_e32 v10, v5
	s_mov_b32 s22, s0
	v_addc_co_u32_e32 v7, vcc, v9, v7, vcc
	v_mad_u64_u32 v[8:9], s[6:7], s7, v8, v[10:11]
	v_pk_mov_b32 v[10:11], s[10:11], s[10:11] op_sel:[0,1]
	v_mad_u64_u32 v[4:5], s[6:7], v4, s22, v[10:11]
	v_mov_b32_e32 v10, v5
	v_mad_u64_u32 v[8:9], s[6:7], v8, s22, v[10:11]
	v_mov_b32_e32 v5, v8
	v_add_co_u32_e32 v8, vcc, v4, v3
	v_addc_co_u32_e32 v9, vcc, 0, v5, vcc
	v_lshlrev_b64 v[4:5], 3, v[8:9]
	v_add_u32_e32 v2, s1, v3
	v_mov_b32_e32 v3, s17
	v_add_co_u32_e32 v4, vcc, s16, v4
	v_addc_co_u32_e32 v5, vcc, v3, v5, vcc
	v_lshlrev_b64 v[8:9], 2, v[8:9]
	v_mov_b32_e32 v3, s21
	v_add_co_u32_e32 v8, vcc, s20, v8
	v_addc_co_u32_e32 v9, vcc, v3, v9, vcc
	v_lshlrev_b64 v[10:11], 2, v[0:1]
	v_mov_b32_e32 v3, s13
	v_add_co_u32_e32 v10, vcc, s12, v10
	s_lshl_b64 s[6:7], s[22:23], 7
	s_lshl_b64 s[8:9], s[22:23], 6
	v_addc_co_u32_e32 v11, vcc, v3, v11, vcc
	s_mov_b64 s[10:11], 0
.LBB72_5:                               ; =>This Inner Loop Header: Depth=1
	global_load_dword v3, v[10:11], off
	global_load_dwordx2 v[12:13], v[6:7], off
	v_add_co_u32_e32 v0, vcc, 16, v0
	v_addc_co_u32_e32 v1, vcc, 0, v1, vcc
	v_add_co_u32_e32 v10, vcc, 64, v10
	v_addc_co_u32_e32 v11, vcc, 0, v11, vcc
	v_mov_b32_e32 v14, s5
	v_add_co_u32_e32 v6, vcc, s4, v6
	v_addc_co_u32_e32 v7, vcc, v7, v14, vcc
	v_cmp_le_i64_e32 vcc, s[2:3], v[0:1]
	v_mov_b32_e32 v15, s7
	s_or_b64 s[10:11], vcc, s[10:11]
	v_mov_b32_e32 v16, s9
	s_waitcnt vmcnt(1)
	v_subrev_u32_e32 v3, s14, v3
	s_waitcnt vmcnt(0)
	global_store_dwordx2 v[4:5], v[12:13], off
	v_add_co_u32_e32 v4, vcc, s6, v4
	v_addc_co_u32_e32 v5, vcc, v5, v15, vcc
	v_mad_u64_u32 v[12:13], s[12:13], v3, s0, v[2:3]
	global_store_dword v[8:9], v12, off
	v_add_co_u32_e32 v8, vcc, s8, v8
	v_addc_co_u32_e32 v9, vcc, v9, v16, vcc
	s_andn2_b64 exec, exec, s[10:11]
	s_cbranch_execnz .LBB72_5
.LBB72_6:
	s_endpgm
	.section	.rodata,"a",@progbits
	.p2align	6, 0x0
	.amdhsa_kernel _ZN9rocsparseL33bsr2csr_block_per_row_8_32_kernelILj1024ELj8ElliEEv20rocsparse_direction_T3_S2_21rocsparse_index_base_PKT1_PKT2_PKS2_S2_S3_PS4_PS7_PS2_
		.amdhsa_group_segment_fixed_size 0
		.amdhsa_private_segment_fixed_size 0
		.amdhsa_kernarg_size 72
		.amdhsa_user_sgpr_count 6
		.amdhsa_user_sgpr_private_segment_buffer 1
		.amdhsa_user_sgpr_dispatch_ptr 0
		.amdhsa_user_sgpr_queue_ptr 0
		.amdhsa_user_sgpr_kernarg_segment_ptr 1
		.amdhsa_user_sgpr_dispatch_id 0
		.amdhsa_user_sgpr_flat_scratch_init 0
		.amdhsa_user_sgpr_kernarg_preload_length 0
		.amdhsa_user_sgpr_kernarg_preload_offset 0
		.amdhsa_user_sgpr_private_segment_size 0
		.amdhsa_uses_dynamic_stack 0
		.amdhsa_system_sgpr_private_segment_wavefront_offset 0
		.amdhsa_system_sgpr_workgroup_id_x 1
		.amdhsa_system_sgpr_workgroup_id_y 0
		.amdhsa_system_sgpr_workgroup_id_z 0
		.amdhsa_system_sgpr_workgroup_info 0
		.amdhsa_system_vgpr_workitem_id 0
		.amdhsa_next_free_vgpr 17
		.amdhsa_next_free_sgpr 24
		.amdhsa_accum_offset 20
		.amdhsa_reserve_vcc 1
		.amdhsa_reserve_flat_scratch 0
		.amdhsa_float_round_mode_32 0
		.amdhsa_float_round_mode_16_64 0
		.amdhsa_float_denorm_mode_32 3
		.amdhsa_float_denorm_mode_16_64 3
		.amdhsa_dx10_clamp 1
		.amdhsa_ieee_mode 1
		.amdhsa_fp16_overflow 0
		.amdhsa_tg_split 0
		.amdhsa_exception_fp_ieee_invalid_op 0
		.amdhsa_exception_fp_denorm_src 0
		.amdhsa_exception_fp_ieee_div_zero 0
		.amdhsa_exception_fp_ieee_overflow 0
		.amdhsa_exception_fp_ieee_underflow 0
		.amdhsa_exception_fp_ieee_inexact 0
		.amdhsa_exception_int_div_zero 0
	.end_amdhsa_kernel
	.section	.text._ZN9rocsparseL33bsr2csr_block_per_row_8_32_kernelILj1024ELj8ElliEEv20rocsparse_direction_T3_S2_21rocsparse_index_base_PKT1_PKT2_PKS2_S2_S3_PS4_PS7_PS2_,"axG",@progbits,_ZN9rocsparseL33bsr2csr_block_per_row_8_32_kernelILj1024ELj8ElliEEv20rocsparse_direction_T3_S2_21rocsparse_index_base_PKT1_PKT2_PKS2_S2_S3_PS4_PS7_PS2_,comdat
.Lfunc_end72:
	.size	_ZN9rocsparseL33bsr2csr_block_per_row_8_32_kernelILj1024ELj8ElliEEv20rocsparse_direction_T3_S2_21rocsparse_index_base_PKT1_PKT2_PKS2_S2_S3_PS4_PS7_PS2_, .Lfunc_end72-_ZN9rocsparseL33bsr2csr_block_per_row_8_32_kernelILj1024ELj8ElliEEv20rocsparse_direction_T3_S2_21rocsparse_index_base_PKT1_PKT2_PKS2_S2_S3_PS4_PS7_PS2_
                                        ; -- End function
	.section	.AMDGPU.csdata,"",@progbits
; Kernel info:
; codeLenInByte = 768
; NumSgprs: 28
; NumVgprs: 17
; NumAgprs: 0
; TotalNumVgprs: 17
; ScratchSize: 0
; MemoryBound: 0
; FloatMode: 240
; IeeeMode: 1
; LDSByteSize: 0 bytes/workgroup (compile time only)
; SGPRBlocks: 3
; VGPRBlocks: 2
; NumSGPRsForWavesPerEU: 28
; NumVGPRsForWavesPerEU: 17
; AccumOffset: 20
; Occupancy: 8
; WaveLimiterHint : 0
; COMPUTE_PGM_RSRC2:SCRATCH_EN: 0
; COMPUTE_PGM_RSRC2:USER_SGPR: 6
; COMPUTE_PGM_RSRC2:TRAP_HANDLER: 0
; COMPUTE_PGM_RSRC2:TGID_X_EN: 1
; COMPUTE_PGM_RSRC2:TGID_Y_EN: 0
; COMPUTE_PGM_RSRC2:TGID_Z_EN: 0
; COMPUTE_PGM_RSRC2:TIDIG_COMP_CNT: 0
; COMPUTE_PGM_RSRC3_GFX90A:ACCUM_OFFSET: 4
; COMPUTE_PGM_RSRC3_GFX90A:TG_SPLIT: 0
	.section	.text._ZN9rocsparseL33bsr2csr_block_per_row_8_32_kernelILj1024ELj16ElliEEv20rocsparse_direction_T3_S2_21rocsparse_index_base_PKT1_PKT2_PKS2_S2_S3_PS4_PS7_PS2_,"axG",@progbits,_ZN9rocsparseL33bsr2csr_block_per_row_8_32_kernelILj1024ELj16ElliEEv20rocsparse_direction_T3_S2_21rocsparse_index_base_PKT1_PKT2_PKS2_S2_S3_PS4_PS7_PS2_,comdat
	.globl	_ZN9rocsparseL33bsr2csr_block_per_row_8_32_kernelILj1024ELj16ElliEEv20rocsparse_direction_T3_S2_21rocsparse_index_base_PKT1_PKT2_PKS2_S2_S3_PS4_PS7_PS2_ ; -- Begin function _ZN9rocsparseL33bsr2csr_block_per_row_8_32_kernelILj1024ELj16ElliEEv20rocsparse_direction_T3_S2_21rocsparse_index_base_PKT1_PKT2_PKS2_S2_S3_PS4_PS7_PS2_
	.p2align	8
	.type	_ZN9rocsparseL33bsr2csr_block_per_row_8_32_kernelILj1024ELj16ElliEEv20rocsparse_direction_T3_S2_21rocsparse_index_base_PKT1_PKT2_PKS2_S2_S3_PS4_PS7_PS2_,@function
_ZN9rocsparseL33bsr2csr_block_per_row_8_32_kernelILj1024ELj16ElliEEv20rocsparse_direction_T3_S2_21rocsparse_index_base_PKT1_PKT2_PKS2_S2_S3_PS4_PS7_PS2_: ; @_ZN9rocsparseL33bsr2csr_block_per_row_8_32_kernelILj1024ELj16ElliEEv20rocsparse_direction_T3_S2_21rocsparse_index_base_PKT1_PKT2_PKS2_S2_S3_PS4_PS7_PS2_
; %bb.0:
	s_load_dwordx2 s[2:3], s[4:5], 0x18
	s_load_dwordx2 s[0:1], s[4:5], 0x28
	;; [unrolled: 1-line block ×3, first 2 shown]
	s_ashr_i32 s7, s6, 31
	s_lshl_b64 s[8:9], s[6:7], 3
	s_waitcnt lgkmcnt(0)
	s_add_u32 s2, s2, s8
	v_or_b32_e32 v1, s6, v0
	s_addc_u32 s3, s3, s9
	v_cmp_eq_u32_e32 vcc, 0, v1
	s_and_saveexec_b64 s[8:9], vcc
	s_cbranch_execz .LBB73_2
; %bb.1:
	v_mov_b32_e32 v2, s1
	v_mov_b32_e32 v3, 0
	global_store_dwordx2 v3, v[2:3], s[12:13]
.LBB73_2:
	s_or_b64 exec, exec, s[8:9]
	v_and_b32_e32 v3, 15, v0
	v_bfe_u32 v8, v0, 4, 4
	v_max_i32_e32 v1, v8, v3
	v_cmp_gt_i32_e32 vcc, s0, v1
	s_and_saveexec_b64 s[8:9], vcc
	s_cbranch_execz .LBB73_6
; %bb.3:
	s_load_dwordx4 s[16:19], s[2:3], 0x0
	s_load_dword s14, s[4:5], 0xc
	s_mul_i32 s8, s0, s0
	v_lshrrev_b32_e32 v4, 8, v0
	s_mul_i32 s6, s6, s0
	s_mov_b32 s9, 0
	s_waitcnt lgkmcnt(0)
	s_sub_u32 s20, s16, s14
	s_subb_u32 s21, s17, 0
	s_sub_u32 s2, s18, s14
	s_mul_i32 s7, s21, s8
	s_mul_hi_u32 s10, s20, s8
	s_subb_u32 s3, s19, 0
	s_add_i32 s11, s10, s7
	s_sub_u32 s15, s2, s20
	s_subb_u32 s7, s3, s21
	s_mul_i32 s16, s7, s0
	s_mul_hi_u32 s17, s15, s0
	s_add_i32 s18, s17, s16
	s_mul_i32 s19, s15, s0
	s_add_u32 s16, s19, s1
	s_mul_i32 s10, s20, s8
	s_addc_u32 s17, s18, 0
	s_add_u32 s16, s16, s10
	s_addc_u32 s17, s17, s11
	v_pk_mov_b32 v[0:1], s[16:17], s[16:17] op_sel:[0,1]
	v_mad_u64_u32 v[0:1], s[16:17], s19, v8, v[0:1]
	v_mov_b32_e32 v2, v1
	v_mad_u64_u32 v[6:7], s[16:17], s18, v8, v[2:3]
	v_mov_b32_e32 v1, v6
	v_add_u32_e32 v6, s6, v8
	v_ashrrev_i32_e32 v7, 31, v6
	v_lshlrev_b64 v[6:7], 3, v[6:7]
	v_mov_b32_e32 v2, s13
	v_add_co_u32_e32 v6, vcc, s12, v6
	v_addc_co_u32_e32 v7, vcc, v2, v7, vcc
	global_store_dwordx2 v[6:7], v[0:1], off offset:8
	v_mov_b32_e32 v1, s21
	v_add_co_u32_e32 v0, vcc, s20, v4
	v_addc_co_u32_e32 v1, vcc, 0, v1, vcc
	v_mov_b32_e32 v5, 0
	v_cmp_gt_i64_e32 vcc, s[2:3], v[0:1]
	s_and_b64 exec, exec, vcc
	s_cbranch_execz .LBB73_6
; %bb.4:
	s_load_dwordx2 s[12:13], s[4:5], 0x20
	s_load_dwordx2 s[16:17], s[4:5], 0x30
	;; [unrolled: 1-line block ×3, first 2 shown]
	s_load_dword s6, s[4:5], 0x0
	s_load_dwordx2 s[20:21], s[4:5], 0x40
	v_mul_lo_u32 v6, v3, s0
	v_mov_b32_e32 v7, v5
	v_lshlrev_b64 v[6:7], 3, v[6:7]
	s_waitcnt lgkmcnt(0)
	v_mov_b32_e32 v9, s19
	v_add_co_u32_e32 v6, vcc, s18, v6
	v_addc_co_u32_e32 v7, vcc, v9, v7, vcc
	v_lshlrev_b32_e32 v10, 3, v8
	v_add_co_u32_e32 v10, vcc, v6, v10
	v_addc_co_u32_e32 v11, vcc, 0, v7, vcc
	v_mul_lo_u32 v6, v8, s0
	v_mov_b32_e32 v7, v5
	v_lshlrev_b64 v[6:7], 3, v[6:7]
	v_add_co_u32_e32 v6, vcc, s18, v6
	v_addc_co_u32_e32 v7, vcc, v9, v7, vcc
	v_lshlrev_b32_e32 v9, 3, v3
	v_add_co_u32_e32 v6, vcc, v6, v9
	s_cmp_eq_u32 s6, 0
	v_addc_co_u32_e32 v7, vcc, 0, v7, vcc
	s_cselect_b64 vcc, -1, 0
	v_cndmask_b32_e32 v9, v11, v7, vcc
	v_cndmask_b32_e32 v12, v10, v6, vcc
	v_mad_u64_u32 v[6:7], s[4:5], v0, s8, 0
	v_mov_b32_e32 v10, v7
	v_mad_u64_u32 v[10:11], s[4:5], v1, s8, v[10:11]
	v_mov_b32_e32 v7, v10
	s_mov_b32 s23, s9
	v_lshlrev_b64 v[6:7], 3, v[6:7]
	s_lshl_b64 s[4:5], s[8:9], 5
	v_mad_u64_u32 v[4:5], s[8:9], s15, v8, v[4:5]
	v_add_co_u32_e32 v6, vcc, v12, v6
	v_mov_b32_e32 v10, v5
	s_mov_b32 s22, s0
	v_addc_co_u32_e32 v7, vcc, v9, v7, vcc
	v_mad_u64_u32 v[8:9], s[6:7], s7, v8, v[10:11]
	v_pk_mov_b32 v[10:11], s[10:11], s[10:11] op_sel:[0,1]
	v_mad_u64_u32 v[4:5], s[6:7], v4, s22, v[10:11]
	v_mov_b32_e32 v10, v5
	v_mad_u64_u32 v[8:9], s[6:7], v8, s22, v[10:11]
	v_mov_b32_e32 v5, v8
	v_add_co_u32_e32 v8, vcc, v4, v3
	v_addc_co_u32_e32 v9, vcc, 0, v5, vcc
	v_lshlrev_b64 v[4:5], 3, v[8:9]
	v_add_u32_e32 v2, s1, v3
	v_mov_b32_e32 v3, s17
	v_add_co_u32_e32 v4, vcc, s16, v4
	v_addc_co_u32_e32 v5, vcc, v3, v5, vcc
	v_lshlrev_b64 v[8:9], 2, v[8:9]
	v_mov_b32_e32 v3, s21
	v_add_co_u32_e32 v8, vcc, s20, v8
	v_addc_co_u32_e32 v9, vcc, v3, v9, vcc
	v_lshlrev_b64 v[10:11], 2, v[0:1]
	v_mov_b32_e32 v3, s13
	v_add_co_u32_e32 v10, vcc, s12, v10
	s_lshl_b64 s[6:7], s[22:23], 5
	s_lshl_b64 s[8:9], s[22:23], 4
	v_addc_co_u32_e32 v11, vcc, v3, v11, vcc
	s_mov_b64 s[10:11], 0
.LBB73_5:                               ; =>This Inner Loop Header: Depth=1
	global_load_dword v3, v[10:11], off
	global_load_dwordx2 v[12:13], v[6:7], off
	v_add_co_u32_e32 v0, vcc, 4, v0
	v_addc_co_u32_e32 v1, vcc, 0, v1, vcc
	v_add_co_u32_e32 v10, vcc, 16, v10
	v_addc_co_u32_e32 v11, vcc, 0, v11, vcc
	v_mov_b32_e32 v14, s5
	v_add_co_u32_e32 v6, vcc, s4, v6
	v_addc_co_u32_e32 v7, vcc, v7, v14, vcc
	v_cmp_le_i64_e32 vcc, s[2:3], v[0:1]
	v_mov_b32_e32 v15, s7
	s_or_b64 s[10:11], vcc, s[10:11]
	v_mov_b32_e32 v16, s9
	s_waitcnt vmcnt(1)
	v_subrev_u32_e32 v3, s14, v3
	s_waitcnt vmcnt(0)
	global_store_dwordx2 v[4:5], v[12:13], off
	v_add_co_u32_e32 v4, vcc, s6, v4
	v_addc_co_u32_e32 v5, vcc, v5, v15, vcc
	v_mad_u64_u32 v[12:13], s[12:13], v3, s0, v[2:3]
	global_store_dword v[8:9], v12, off
	v_add_co_u32_e32 v8, vcc, s8, v8
	v_addc_co_u32_e32 v9, vcc, v9, v16, vcc
	s_andn2_b64 exec, exec, s[10:11]
	s_cbranch_execnz .LBB73_5
.LBB73_6:
	s_endpgm
	.section	.rodata,"a",@progbits
	.p2align	6, 0x0
	.amdhsa_kernel _ZN9rocsparseL33bsr2csr_block_per_row_8_32_kernelILj1024ELj16ElliEEv20rocsparse_direction_T3_S2_21rocsparse_index_base_PKT1_PKT2_PKS2_S2_S3_PS4_PS7_PS2_
		.amdhsa_group_segment_fixed_size 0
		.amdhsa_private_segment_fixed_size 0
		.amdhsa_kernarg_size 72
		.amdhsa_user_sgpr_count 6
		.amdhsa_user_sgpr_private_segment_buffer 1
		.amdhsa_user_sgpr_dispatch_ptr 0
		.amdhsa_user_sgpr_queue_ptr 0
		.amdhsa_user_sgpr_kernarg_segment_ptr 1
		.amdhsa_user_sgpr_dispatch_id 0
		.amdhsa_user_sgpr_flat_scratch_init 0
		.amdhsa_user_sgpr_kernarg_preload_length 0
		.amdhsa_user_sgpr_kernarg_preload_offset 0
		.amdhsa_user_sgpr_private_segment_size 0
		.amdhsa_uses_dynamic_stack 0
		.amdhsa_system_sgpr_private_segment_wavefront_offset 0
		.amdhsa_system_sgpr_workgroup_id_x 1
		.amdhsa_system_sgpr_workgroup_id_y 0
		.amdhsa_system_sgpr_workgroup_id_z 0
		.amdhsa_system_sgpr_workgroup_info 0
		.amdhsa_system_vgpr_workitem_id 0
		.amdhsa_next_free_vgpr 17
		.amdhsa_next_free_sgpr 24
		.amdhsa_accum_offset 20
		.amdhsa_reserve_vcc 1
		.amdhsa_reserve_flat_scratch 0
		.amdhsa_float_round_mode_32 0
		.amdhsa_float_round_mode_16_64 0
		.amdhsa_float_denorm_mode_32 3
		.amdhsa_float_denorm_mode_16_64 3
		.amdhsa_dx10_clamp 1
		.amdhsa_ieee_mode 1
		.amdhsa_fp16_overflow 0
		.amdhsa_tg_split 0
		.amdhsa_exception_fp_ieee_invalid_op 0
		.amdhsa_exception_fp_denorm_src 0
		.amdhsa_exception_fp_ieee_div_zero 0
		.amdhsa_exception_fp_ieee_overflow 0
		.amdhsa_exception_fp_ieee_underflow 0
		.amdhsa_exception_fp_ieee_inexact 0
		.amdhsa_exception_int_div_zero 0
	.end_amdhsa_kernel
	.section	.text._ZN9rocsparseL33bsr2csr_block_per_row_8_32_kernelILj1024ELj16ElliEEv20rocsparse_direction_T3_S2_21rocsparse_index_base_PKT1_PKT2_PKS2_S2_S3_PS4_PS7_PS2_,"axG",@progbits,_ZN9rocsparseL33bsr2csr_block_per_row_8_32_kernelILj1024ELj16ElliEEv20rocsparse_direction_T3_S2_21rocsparse_index_base_PKT1_PKT2_PKS2_S2_S3_PS4_PS7_PS2_,comdat
.Lfunc_end73:
	.size	_ZN9rocsparseL33bsr2csr_block_per_row_8_32_kernelILj1024ELj16ElliEEv20rocsparse_direction_T3_S2_21rocsparse_index_base_PKT1_PKT2_PKS2_S2_S3_PS4_PS7_PS2_, .Lfunc_end73-_ZN9rocsparseL33bsr2csr_block_per_row_8_32_kernelILj1024ELj16ElliEEv20rocsparse_direction_T3_S2_21rocsparse_index_base_PKT1_PKT2_PKS2_S2_S3_PS4_PS7_PS2_
                                        ; -- End function
	.section	.AMDGPU.csdata,"",@progbits
; Kernel info:
; codeLenInByte = 768
; NumSgprs: 28
; NumVgprs: 17
; NumAgprs: 0
; TotalNumVgprs: 17
; ScratchSize: 0
; MemoryBound: 0
; FloatMode: 240
; IeeeMode: 1
; LDSByteSize: 0 bytes/workgroup (compile time only)
; SGPRBlocks: 3
; VGPRBlocks: 2
; NumSGPRsForWavesPerEU: 28
; NumVGPRsForWavesPerEU: 17
; AccumOffset: 20
; Occupancy: 8
; WaveLimiterHint : 0
; COMPUTE_PGM_RSRC2:SCRATCH_EN: 0
; COMPUTE_PGM_RSRC2:USER_SGPR: 6
; COMPUTE_PGM_RSRC2:TRAP_HANDLER: 0
; COMPUTE_PGM_RSRC2:TGID_X_EN: 1
; COMPUTE_PGM_RSRC2:TGID_Y_EN: 0
; COMPUTE_PGM_RSRC2:TGID_Z_EN: 0
; COMPUTE_PGM_RSRC2:TIDIG_COMP_CNT: 0
; COMPUTE_PGM_RSRC3_GFX90A:ACCUM_OFFSET: 4
; COMPUTE_PGM_RSRC3_GFX90A:TG_SPLIT: 0
	.section	.text._ZN9rocsparseL33bsr2csr_block_per_row_8_32_kernelILj1024ELj32ElliEEv20rocsparse_direction_T3_S2_21rocsparse_index_base_PKT1_PKT2_PKS2_S2_S3_PS4_PS7_PS2_,"axG",@progbits,_ZN9rocsparseL33bsr2csr_block_per_row_8_32_kernelILj1024ELj32ElliEEv20rocsparse_direction_T3_S2_21rocsparse_index_base_PKT1_PKT2_PKS2_S2_S3_PS4_PS7_PS2_,comdat
	.globl	_ZN9rocsparseL33bsr2csr_block_per_row_8_32_kernelILj1024ELj32ElliEEv20rocsparse_direction_T3_S2_21rocsparse_index_base_PKT1_PKT2_PKS2_S2_S3_PS4_PS7_PS2_ ; -- Begin function _ZN9rocsparseL33bsr2csr_block_per_row_8_32_kernelILj1024ELj32ElliEEv20rocsparse_direction_T3_S2_21rocsparse_index_base_PKT1_PKT2_PKS2_S2_S3_PS4_PS7_PS2_
	.p2align	8
	.type	_ZN9rocsparseL33bsr2csr_block_per_row_8_32_kernelILj1024ELj32ElliEEv20rocsparse_direction_T3_S2_21rocsparse_index_base_PKT1_PKT2_PKS2_S2_S3_PS4_PS7_PS2_,@function
_ZN9rocsparseL33bsr2csr_block_per_row_8_32_kernelILj1024ELj32ElliEEv20rocsparse_direction_T3_S2_21rocsparse_index_base_PKT1_PKT2_PKS2_S2_S3_PS4_PS7_PS2_: ; @_ZN9rocsparseL33bsr2csr_block_per_row_8_32_kernelILj1024ELj32ElliEEv20rocsparse_direction_T3_S2_21rocsparse_index_base_PKT1_PKT2_PKS2_S2_S3_PS4_PS7_PS2_
; %bb.0:
	s_load_dwordx2 s[0:1], s[4:5], 0x18
	s_load_dwordx2 s[8:9], s[4:5], 0x28
	;; [unrolled: 1-line block ×3, first 2 shown]
	s_ashr_i32 s7, s6, 31
	s_lshl_b64 s[2:3], s[6:7], 3
	s_waitcnt lgkmcnt(0)
	s_add_u32 s12, s0, s2
	v_or_b32_e32 v1, s6, v0
	s_addc_u32 s13, s1, s3
	v_cmp_eq_u32_e32 vcc, 0, v1
	s_and_saveexec_b64 s[0:1], vcc
	s_cbranch_execz .LBB74_2
; %bb.1:
	v_mov_b32_e32 v2, s9
	v_mov_b32_e32 v3, 0
	global_store_dwordx2 v3, v[2:3], s[18:19]
.LBB74_2:
	s_or_b64 exec, exec, s[0:1]
	v_and_b32_e32 v4, 31, v0
	v_lshrrev_b32_e32 v0, 5, v0
	v_max_i32_e32 v1, v0, v4
	v_cmp_gt_i32_e32 vcc, s8, v1
	s_and_saveexec_b64 s[0:1], vcc
	s_cbranch_execz .LBB74_6
; %bb.3:
	s_load_dwordx4 s[0:3], s[12:13], 0x0
	s_load_dword s10, s[4:5], 0xc
	s_mul_i32 s16, s8, s8
	s_mul_i32 s6, s6, s8
	v_add_u32_e32 v8, s6, v0
	v_ashrrev_i32_e32 v9, 31, v8
	s_waitcnt lgkmcnt(0)
	s_sub_u32 s12, s0, s10
	s_subb_u32 s13, s1, 0
	s_sub_u32 s14, s2, s10
	s_mul_i32 s7, s13, s16
	s_mul_hi_u32 s17, s12, s16
	s_subb_u32 s15, s3, 0
	s_add_i32 s21, s17, s7
	s_sub_u32 s7, s14, s12
	s_mul_i32 s20, s12, s16
	s_subb_u32 s17, s15, s13
	s_mul_i32 s17, s17, s8
	s_mul_hi_u32 s22, s7, s8
	s_mul_i32 s7, s7, s8
	v_pk_mov_b32 v[2:3], s[20:21], s[20:21] op_sel:[0,1]
	s_add_i32 s17, s22, s17
	v_mad_u64_u32 v[2:3], s[22:23], s7, v0, v[2:3]
	v_mov_b32_e32 v6, v3
	s_add_u32 s7, s7, s9
	v_mad_u64_u32 v[6:7], s[22:23], s17, v0, v[6:7]
	s_addc_u32 s17, s17, 0
	v_mov_b32_e32 v3, v6
	v_mov_b32_e32 v1, s17
	v_add_co_u32_e32 v6, vcc, s7, v2
	v_addc_co_u32_e32 v7, vcc, v1, v3, vcc
	v_lshlrev_b64 v[8:9], 3, v[8:9]
	v_mov_b32_e32 v1, s19
	v_add_co_u32_e32 v8, vcc, s18, v8
	v_addc_co_u32_e32 v9, vcc, v1, v9, vcc
	global_store_dwordx2 v[8:9], v[6:7], off offset:8
	v_pk_mov_b32 v[6:7], s[2:3], s[2:3] op_sel:[0,1]
	v_cmp_ge_i64_e32 vcc, s[0:1], v[6:7]
	s_mov_b32 s11, 0
	s_cbranch_vccnz .LBB74_6
; %bb.4:
	s_load_dwordx2 s[18:19], s[4:5], 0x20
	s_load_dwordx2 s[6:7], s[4:5], 0x30
	;; [unrolled: 1-line block ×4, first 2 shown]
	s_load_dword s26, s[4:5], 0x0
	v_mov_b32_e32 v7, 0
	v_mul_lo_u32 v6, v4, s8
	v_lshlrev_b64 v[10:11], 3, v[6:7]
	s_waitcnt lgkmcnt(0)
	v_mov_b32_e32 v5, s3
	v_add_co_u32_e32 v1, vcc, s2, v10
	v_addc_co_u32_e32 v6, vcc, v5, v11, vcc
	v_lshlrev_b32_e32 v9, 3, v0
	v_add_co_u32_e32 v9, vcc, v1, v9
	v_addc_co_u32_e32 v10, vcc, 0, v6, vcc
	v_mul_lo_u32 v6, v0, s8
	v_lshlrev_b64 v[0:1], 3, v[6:7]
	v_add_co_u32_e32 v0, vcc, s2, v0
	v_addc_co_u32_e32 v1, vcc, v5, v1, vcc
	v_lshlrev_b32_e32 v5, 3, v4
	v_add_co_u32_e32 v0, vcc, v0, v5
	s_cmp_eq_u32 s26, 0
	v_addc_co_u32_e32 v1, vcc, 0, v1, vcc
	s_cselect_b64 vcc, -1, 0
	v_cndmask_b32_e32 v0, v9, v0, vcc
	s_lshl_b64 s[2:3], s[20:21], 3
	v_cndmask_b32_e32 v1, v10, v1, vcc
	v_mov_b32_e32 v5, s3
	v_add_co_u32_e32 v0, vcc, s2, v0
	v_addc_co_u32_e32 v1, vcc, v1, v5, vcc
	v_add_u32_e32 v8, s9, v4
	v_add_co_u32_e32 v4, vcc, v2, v4
	v_addc_co_u32_e32 v5, vcc, 0, v3, vcc
	s_mov_b32 s17, s11
	s_mov_b32 s24, s8
	;; [unrolled: 1-line block ×3, first 2 shown]
	v_lshlrev_b64 v[2:3], 3, v[4:5]
	s_lshl_b64 s[2:3], s[16:17], 3
	v_mov_b32_e32 v6, s7
	v_add_co_u32_e32 v2, vcc, s6, v2
	s_lshl_b64 s[4:5], s[24:25], 3
	s_lshl_b64 s[6:7], s[24:25], 2
	s_lshl_b64 s[0:1], s[0:1], 2
	s_lshl_b64 s[16:17], s[10:11], 2
	s_sub_u32 s0, s0, s16
	v_addc_co_u32_e32 v3, vcc, v6, v3, vcc
	v_lshlrev_b64 v[4:5], 2, v[4:5]
	s_subb_u32 s1, s1, s17
	v_mov_b32_e32 v6, s23
	v_add_co_u32_e32 v4, vcc, s22, v4
	s_add_u32 s16, s18, s0
	v_addc_co_u32_e32 v5, vcc, v6, v5, vcc
	s_addc_u32 s17, s19, s1
	v_mov_b32_e32 v9, s3
	v_mov_b32_e32 v10, s5
	;; [unrolled: 1-line block ×3, first 2 shown]
	v_pk_mov_b32 v[6:7], s[14:15], s[14:15] op_sel:[0,1]
.LBB74_5:                               ; =>This Inner Loop Header: Depth=1
	global_load_dwordx2 v[12:13], v[0:1], off
	s_load_dword s0, s[16:17], 0x0
	v_add_co_u32_e32 v0, vcc, s2, v0
	v_addc_co_u32_e32 v1, vcc, v1, v9, vcc
	s_waitcnt lgkmcnt(0)
	s_sub_i32 s0, s0, s10
	s_mul_i32 s0, s0, s8
	v_add_u32_e32 v14, s0, v8
	s_add_u32 s12, s12, 1
	global_store_dword v[4:5], v14, off
	v_add_co_u32_e32 v4, vcc, s6, v4
	s_addc_u32 s13, s13, 0
	v_addc_co_u32_e32 v5, vcc, v5, v11, vcc
	s_add_u32 s16, s16, 4
	v_cmp_lt_i64_e32 vcc, s[12:13], v[6:7]
	s_addc_u32 s17, s17, 0
	s_and_b64 vcc, exec, vcc
	s_waitcnt vmcnt(1)
	global_store_dwordx2 v[2:3], v[12:13], off
	v_add_co_u32_e64 v2, s[0:1], s4, v2
	v_addc_co_u32_e64 v3, s[0:1], v3, v10, s[0:1]
	s_cbranch_vccnz .LBB74_5
.LBB74_6:
	s_endpgm
	.section	.rodata,"a",@progbits
	.p2align	6, 0x0
	.amdhsa_kernel _ZN9rocsparseL33bsr2csr_block_per_row_8_32_kernelILj1024ELj32ElliEEv20rocsparse_direction_T3_S2_21rocsparse_index_base_PKT1_PKT2_PKS2_S2_S3_PS4_PS7_PS2_
		.amdhsa_group_segment_fixed_size 0
		.amdhsa_private_segment_fixed_size 0
		.amdhsa_kernarg_size 72
		.amdhsa_user_sgpr_count 6
		.amdhsa_user_sgpr_private_segment_buffer 1
		.amdhsa_user_sgpr_dispatch_ptr 0
		.amdhsa_user_sgpr_queue_ptr 0
		.amdhsa_user_sgpr_kernarg_segment_ptr 1
		.amdhsa_user_sgpr_dispatch_id 0
		.amdhsa_user_sgpr_flat_scratch_init 0
		.amdhsa_user_sgpr_kernarg_preload_length 0
		.amdhsa_user_sgpr_kernarg_preload_offset 0
		.amdhsa_user_sgpr_private_segment_size 0
		.amdhsa_uses_dynamic_stack 0
		.amdhsa_system_sgpr_private_segment_wavefront_offset 0
		.amdhsa_system_sgpr_workgroup_id_x 1
		.amdhsa_system_sgpr_workgroup_id_y 0
		.amdhsa_system_sgpr_workgroup_id_z 0
		.amdhsa_system_sgpr_workgroup_info 0
		.amdhsa_system_vgpr_workitem_id 0
		.amdhsa_next_free_vgpr 15
		.amdhsa_next_free_sgpr 27
		.amdhsa_accum_offset 16
		.amdhsa_reserve_vcc 1
		.amdhsa_reserve_flat_scratch 0
		.amdhsa_float_round_mode_32 0
		.amdhsa_float_round_mode_16_64 0
		.amdhsa_float_denorm_mode_32 3
		.amdhsa_float_denorm_mode_16_64 3
		.amdhsa_dx10_clamp 1
		.amdhsa_ieee_mode 1
		.amdhsa_fp16_overflow 0
		.amdhsa_tg_split 0
		.amdhsa_exception_fp_ieee_invalid_op 0
		.amdhsa_exception_fp_denorm_src 0
		.amdhsa_exception_fp_ieee_div_zero 0
		.amdhsa_exception_fp_ieee_overflow 0
		.amdhsa_exception_fp_ieee_underflow 0
		.amdhsa_exception_fp_ieee_inexact 0
		.amdhsa_exception_int_div_zero 0
	.end_amdhsa_kernel
	.section	.text._ZN9rocsparseL33bsr2csr_block_per_row_8_32_kernelILj1024ELj32ElliEEv20rocsparse_direction_T3_S2_21rocsparse_index_base_PKT1_PKT2_PKS2_S2_S3_PS4_PS7_PS2_,"axG",@progbits,_ZN9rocsparseL33bsr2csr_block_per_row_8_32_kernelILj1024ELj32ElliEEv20rocsparse_direction_T3_S2_21rocsparse_index_base_PKT1_PKT2_PKS2_S2_S3_PS4_PS7_PS2_,comdat
.Lfunc_end74:
	.size	_ZN9rocsparseL33bsr2csr_block_per_row_8_32_kernelILj1024ELj32ElliEEv20rocsparse_direction_T3_S2_21rocsparse_index_base_PKT1_PKT2_PKS2_S2_S3_PS4_PS7_PS2_, .Lfunc_end74-_ZN9rocsparseL33bsr2csr_block_per_row_8_32_kernelILj1024ELj32ElliEEv20rocsparse_direction_T3_S2_21rocsparse_index_base_PKT1_PKT2_PKS2_S2_S3_PS4_PS7_PS2_
                                        ; -- End function
	.section	.AMDGPU.csdata,"",@progbits
; Kernel info:
; codeLenInByte = 688
; NumSgprs: 31
; NumVgprs: 15
; NumAgprs: 0
; TotalNumVgprs: 15
; ScratchSize: 0
; MemoryBound: 0
; FloatMode: 240
; IeeeMode: 1
; LDSByteSize: 0 bytes/workgroup (compile time only)
; SGPRBlocks: 3
; VGPRBlocks: 1
; NumSGPRsForWavesPerEU: 31
; NumVGPRsForWavesPerEU: 15
; AccumOffset: 16
; Occupancy: 8
; WaveLimiterHint : 0
; COMPUTE_PGM_RSRC2:SCRATCH_EN: 0
; COMPUTE_PGM_RSRC2:USER_SGPR: 6
; COMPUTE_PGM_RSRC2:TRAP_HANDLER: 0
; COMPUTE_PGM_RSRC2:TGID_X_EN: 1
; COMPUTE_PGM_RSRC2:TGID_Y_EN: 0
; COMPUTE_PGM_RSRC2:TGID_Z_EN: 0
; COMPUTE_PGM_RSRC2:TIDIG_COMP_CNT: 0
; COMPUTE_PGM_RSRC3_GFX90A:ACCUM_OFFSET: 3
; COMPUTE_PGM_RSRC3_GFX90A:TG_SPLIT: 0
	.section	.text._ZN9rocsparseL35bsr2csr_block_per_row_33_256_kernelILj1024ELj64ELj32ElliEEv20rocsparse_direction_T4_S2_21rocsparse_index_base_PKT2_PKT3_PKS2_S2_S3_PS4_PS7_PS2_,"axG",@progbits,_ZN9rocsparseL35bsr2csr_block_per_row_33_256_kernelILj1024ELj64ELj32ElliEEv20rocsparse_direction_T4_S2_21rocsparse_index_base_PKT2_PKT3_PKS2_S2_S3_PS4_PS7_PS2_,comdat
	.globl	_ZN9rocsparseL35bsr2csr_block_per_row_33_256_kernelILj1024ELj64ELj32ElliEEv20rocsparse_direction_T4_S2_21rocsparse_index_base_PKT2_PKT3_PKS2_S2_S3_PS4_PS7_PS2_ ; -- Begin function _ZN9rocsparseL35bsr2csr_block_per_row_33_256_kernelILj1024ELj64ELj32ElliEEv20rocsparse_direction_T4_S2_21rocsparse_index_base_PKT2_PKT3_PKS2_S2_S3_PS4_PS7_PS2_
	.p2align	8
	.type	_ZN9rocsparseL35bsr2csr_block_per_row_33_256_kernelILj1024ELj64ELj32ElliEEv20rocsparse_direction_T4_S2_21rocsparse_index_base_PKT2_PKT3_PKS2_S2_S3_PS4_PS7_PS2_,@function
_ZN9rocsparseL35bsr2csr_block_per_row_33_256_kernelILj1024ELj64ELj32ElliEEv20rocsparse_direction_T4_S2_21rocsparse_index_base_PKT2_PKT3_PKS2_S2_S3_PS4_PS7_PS2_: ; @_ZN9rocsparseL35bsr2csr_block_per_row_33_256_kernelILj1024ELj64ELj32ElliEEv20rocsparse_direction_T4_S2_21rocsparse_index_base_PKT2_PKT3_PKS2_S2_S3_PS4_PS7_PS2_
; %bb.0:
	s_load_dwordx2 s[2:3], s[4:5], 0x18
	s_load_dwordx2 s[12:13], s[4:5], 0x28
	;; [unrolled: 1-line block ×3, first 2 shown]
	s_ashr_i32 s7, s6, 31
	s_lshl_b64 s[8:9], s[6:7], 3
	s_waitcnt lgkmcnt(0)
	s_add_u32 s2, s2, s8
	s_addc_u32 s3, s3, s9
	s_load_dwordx4 s[8:11], s[2:3], 0x0
	v_or_b32_e32 v1, s6, v0
	s_mov_b32 s15, 0
	v_cmp_eq_u32_e32 vcc, 0, v1
	s_mov_b32 s16, s13
	s_and_saveexec_b64 s[2:3], vcc
	s_cbranch_execz .LBB75_2
; %bb.1:
	s_mov_b32 s17, s15
	v_mov_b32_e32 v1, 0
	v_pk_mov_b32 v[2:3], s[16:17], s[16:17] op_sel:[0,1]
	global_store_dwordx2 v1, v[2:3], s[0:1]
.LBB75_2:
	s_or_b64 exec, exec, s[2:3]
	s_load_dword s14, s[4:5], 0xc
	s_mul_i32 s24, s12, s12
	v_lshrrev_b32_e32 v8, 5, v0
	s_mul_i32 s25, s6, s12
	s_waitcnt lgkmcnt(0)
	s_sub_u32 s18, s8, s14
	s_subb_u32 s19, s9, 0
	s_mul_hi_u32 s2, s18, s24
	s_sub_u32 s20, s10, s14
	s_mul_i32 s3, s19, s24
	s_subb_u32 s21, s11, 0
	s_add_i32 s29, s2, s3
	s_sub_u32 s35, s20, s18
	s_subb_u32 s34, s21, s19
	s_mul_i32 s2, s34, s12
	s_mul_hi_u32 s3, s35, s12
	s_mul_i32 s28, s18, s24
	s_add_i32 s13, s3, s2
	s_add_u32 s2, s28, s16
	s_mul_i32 s17, s35, s12
	s_addc_u32 s3, s29, 0
	s_add_u32 s22, s2, s17
	s_addc_u32 s23, s3, s13
	v_cmp_gt_i32_e64 s[2:3], s12, v8
	s_and_saveexec_b64 s[6:7], s[2:3]
	s_cbranch_execz .LBB75_4
; %bb.3:
	v_pk_mov_b32 v[2:3], s[22:23], s[22:23] op_sel:[0,1]
	v_mad_u64_u32 v[2:3], s[26:27], s17, v8, v[2:3]
	v_mov_b32_e32 v4, v3
	v_mad_u64_u32 v[4:5], s[26:27], s13, v8, v[4:5]
	v_mov_b32_e32 v3, v4
	v_add_u32_e32 v4, s25, v8
	v_ashrrev_i32_e32 v5, 31, v4
	v_lshlrev_b64 v[4:5], 3, v[4:5]
	v_mov_b32_e32 v1, s1
	v_add_co_u32_e32 v4, vcc, s0, v4
	v_addc_co_u32_e32 v5, vcc, v1, v5, vcc
	global_store_dwordx2 v[4:5], v[2:3], off offset:8
.LBB75_4:
	s_or_b64 exec, exec, s[6:7]
	v_or_b32_e32 v10, 32, v8
	v_cmp_gt_i32_e64 s[6:7], s12, v10
	s_and_saveexec_b64 s[26:27], s[6:7]
	s_cbranch_execz .LBB75_6
; %bb.5:
	s_add_u32 s30, s0, 8
	v_pk_mov_b32 v[2:3], s[22:23], s[22:23] op_sel:[0,1]
	s_addc_u32 s31, s1, 0
	v_mad_u64_u32 v[2:3], s[0:1], s17, v10, v[2:3]
	v_mov_b32_e32 v4, v3
	v_mad_u64_u32 v[4:5], s[0:1], s13, v10, v[4:5]
	s_ashr_i32 s0, s25, 31
	v_mov_b32_e32 v3, v4
	v_mov_b32_e32 v1, s0
	v_add_co_u32_e32 v4, vcc, s25, v8
	v_addc_co_u32_e32 v5, vcc, 0, v1, vcc
	v_lshlrev_b64 v[4:5], 3, v[4:5]
	v_mov_b32_e32 v1, s31
	v_add_co_u32_e32 v4, vcc, s30, v4
	v_addc_co_u32_e32 v5, vcc, v1, v5, vcc
	global_store_dwordx2 v[4:5], v[2:3], off offset:256
.LBB75_6:
	s_or_b64 exec, exec, s[26:27]
	v_pk_mov_b32 v[2:3], s[10:11], s[10:11] op_sel:[0,1]
	v_cmp_lt_i64_e32 vcc, s[8:9], v[2:3]
	s_cbranch_vccz .LBB75_17
; %bb.7:
	s_load_dwordx2 s[26:27], s[4:5], 0x20
	s_load_dwordx2 s[36:37], s[4:5], 0x30
	;; [unrolled: 1-line block ×3, first 2 shown]
	s_load_dword s0, s[4:5], 0x0
	s_load_dwordx2 s[30:31], s[4:5], 0x40
	v_and_b32_e32 v12, 31, v0
	v_mul_lo_u32 v0, v8, s12
	v_mov_b32_e32 v1, 0
	s_waitcnt lgkmcnt(0)
	s_cmp_eq_u32 s0, 0
	s_cselect_b64 s[0:1], -1, 0
	s_lshl_b32 s17, s12, 5
	v_cmp_gt_i32_e32 vcc, s12, v12
	v_mov_b32_e32 v5, v1
	v_mov_b32_e32 v7, v1
	v_add_u32_e32 v2, s17, v0
	v_mov_b32_e32 v3, v1
	v_lshlrev_b64 v[0:1], 3, v[0:1]
	v_lshlrev_b32_e32 v22, 3, v12
	s_and_b64 s[10:11], s[2:3], vcc
	s_and_b64 s[22:23], s[6:7], vcc
	v_add_co_u32_e32 v0, vcc, v0, v22
	v_addc_co_u32_e32 v1, vcc, 0, v1, vcc
	v_mov_b32_e32 v9, s39
	v_add_co_u32_e32 v0, vcc, s38, v0
	v_addc_co_u32_e32 v1, vcc, v9, v1, vcc
	v_lshlrev_b64 v[2:3], 3, v[2:3]
	v_add_co_u32_e32 v2, vcc, v2, v22
	v_or_b32_e32 v13, 32, v12
	v_addc_co_u32_e32 v3, vcc, 0, v3, vcc
	v_mul_lo_u32 v4, v12, s12
	v_cmp_gt_i32_e64 s[4:5], s12, v13
	v_add_co_u32_e32 v2, vcc, s38, v2
	s_and_b64 s[2:3], s[2:3], s[4:5]
	v_add_u32_e32 v6, s17, v4
	s_and_b64 s[4:5], s[6:7], s[4:5]
	v_addc_co_u32_e32 v3, vcc, v9, v3, vcc
	v_lshlrev_b32_e32 v11, 3, v8
	v_lshlrev_b64 v[4:5], 3, v[4:5]
	s_mov_b32 s25, s15
	s_add_u32 s17, s36, 0x100
	v_add_co_u32_e32 v4, vcc, v11, v4
	s_addc_u32 s33, s37, 0
	s_lshl_b64 s[6:7], s[28:29], 3
	s_lshl_b64 s[24:25], s[24:25], 3
	v_addc_co_u32_e32 v5, vcc, 0, v5, vcc
	s_lshl_b64 s[8:9], s[8:9], 2
	s_lshl_b64 s[36:37], s[14:15], 2
	v_add_co_u32_e32 v4, vcc, s38, v4
	s_sub_u32 s8, s8, s36
	v_addc_co_u32_e32 v5, vcc, v9, v5, vcc
	v_lshlrev_b64 v[6:7], 3, v[6:7]
	s_subb_u32 s9, s9, s37
	v_add_co_u32_e32 v6, vcc, v11, v6
	s_add_u32 s8, s26, s8
	v_addc_co_u32_e32 v7, vcc, 0, v7, vcc
	s_addc_u32 s9, s27, s9
	v_mad_u64_u32 v[14:15], s[26:27], v8, s35, 0
	v_add_co_u32_e32 v6, vcc, s38, v6
	v_mov_b32_e32 v16, v15
	v_mad_u64_u32 v[18:19], s[26:27], v14, s12, 0
	v_addc_co_u32_e32 v7, vcc, v9, v7, vcc
	v_mad_u64_u32 v[8:9], s[26:27], v8, s34, v[16:17]
	v_mov_b32_e32 v14, v19
	v_mad_u64_u32 v[8:9], s[26:27], v8, s12, v[14:15]
	v_mov_b32_e32 v19, v8
	v_lshlrev_b64 v[8:9], 2, v[18:19]
	v_mov_b32_e32 v11, s31
	v_add_co_u32_e32 v8, vcc, s30, v8
	s_mov_b32 s13, s15
	v_addc_co_u32_e32 v9, vcc, v9, v11, vcc
	s_movk_i32 s15, 0x80
	v_mad_u64_u32 v[16:17], s[36:37], s35, v10, 0
	v_add_co_u32_e32 v14, vcc, s15, v8
	v_mov_b32_e32 v20, v17
	v_addc_co_u32_e32 v15, vcc, 0, v9, vcc
	s_lshl_b64 s[26:27], s[28:29], 2
	v_lshlrev_b32_e32 v8, 2, v12
	v_mad_u64_u32 v[10:11], s[34:35], s34, v10, v[20:21]
	v_mov_b32_e32 v9, s27
	v_add_co_u32_e32 v8, vcc, s26, v8
	v_mul_lo_u32 v17, v10, s12
	v_pk_mov_b32 v[10:11], s[28:29], s[28:29] op_sel:[0,1]
	v_addc_co_u32_e32 v9, vcc, 0, v9, vcc
	v_mad_u64_u32 v[10:11], s[28:29], v16, s12, v[10:11]
	v_add_u32_e32 v11, v17, v11
	v_add_co_u32_e32 v10, vcc, v10, v12
	v_addc_co_u32_e32 v11, vcc, 0, v11, vcc
	v_mad_u64_u32 v[20:21], s[34:35], v16, s12, 0
	v_lshlrev_b64 v[10:11], 3, v[10:11]
	v_add_u32_e32 v21, v21, v17
	v_mov_b32_e32 v16, s33
	v_add_co_u32_e32 v10, vcc, s17, v10
	v_addc_co_u32_e32 v11, vcc, v16, v11, vcc
	v_lshlrev_b64 v[16:17], 2, v[20:21]
	v_mov_b32_e32 v20, s31
	v_add_co_u32_e32 v16, vcc, s30, v16
	v_addc_co_u32_e32 v17, vcc, v20, v17, vcc
	v_lshlrev_b64 v[18:19], 3, v[18:19]
	v_add_co_u32_e32 v18, vcc, v18, v22
	v_addc_co_u32_e32 v19, vcc, 0, v19, vcc
	v_mov_b32_e32 v20, s7
	v_add_co_u32_e32 v18, vcc, s6, v18
	s_lshl_b64 s[26:27], s[12:13], 2
	s_lshl_b64 s[28:29], s[12:13], 3
	v_addc_co_u32_e32 v19, vcc, v20, v19, vcc
	s_branch .LBB75_9
.LBB75_8:                               ;   in Loop: Header=BB75_9 Depth=1
	s_or_b64 exec, exec, s[30:31]
	v_mov_b32_e32 v20, s25
	v_add_co_u32_e32 v0, vcc, s24, v0
	v_addc_co_u32_e32 v1, vcc, v1, v20, vcc
	v_add_co_u32_e32 v2, vcc, s24, v2
	v_addc_co_u32_e32 v3, vcc, v3, v20, vcc
	;; [unrolled: 2-line block ×4, first 2 shown]
	s_add_u32 s18, s18, 1
	v_mov_b32_e32 v20, s27
	v_add_co_u32_e32 v8, vcc, s26, v8
	s_addc_u32 s19, s19, 0
	v_addc_co_u32_e32 v9, vcc, v9, v20, vcc
	s_add_u32 s8, s8, 4
	v_mov_b32_e32 v20, s29
	v_add_co_u32_e32 v10, vcc, s28, v10
	s_addc_u32 s9, s9, 0
	v_addc_co_u32_e32 v11, vcc, v11, v20, vcc
	v_pk_mov_b32 v[20:21], s[20:21], s[20:21] op_sel:[0,1]
	s_add_u32 s17, s17, s28
	v_cmp_ge_i64_e32 vcc, s[18:19], v[20:21]
	s_addc_u32 s33, s33, s29
	s_cbranch_vccnz .LBB75_17
.LBB75_9:                               ; =>This Inner Loop Header: Depth=1
	s_load_dword s13, s[8:9], 0x0
	s_waitcnt lgkmcnt(0)
	s_sub_i32 s13, s13, s14
	s_mul_i32 s13, s13, s12
	s_add_i32 s13, s13, s16
	v_add_u32_e32 v20, s13, v12
	s_and_saveexec_b64 s[30:31], s[10:11]
	s_cbranch_execnz .LBB75_13
; %bb.10:                               ;   in Loop: Header=BB75_9 Depth=1
	s_or_b64 exec, exec, s[30:31]
	v_add_u32_e32 v21, s13, v13
	s_and_saveexec_b64 s[30:31], s[2:3]
	s_cbranch_execnz .LBB75_14
.LBB75_11:                              ;   in Loop: Header=BB75_9 Depth=1
	s_or_b64 exec, exec, s[30:31]
	s_and_saveexec_b64 s[30:31], s[22:23]
	s_cbranch_execnz .LBB75_15
.LBB75_12:                              ;   in Loop: Header=BB75_9 Depth=1
	s_or_b64 exec, exec, s[30:31]
	s_and_saveexec_b64 s[30:31], s[4:5]
	s_cbranch_execz .LBB75_8
	s_branch .LBB75_16
.LBB75_13:                              ;   in Loop: Header=BB75_9 Depth=1
	v_cndmask_b32_e64 v22, v4, v0, s[0:1]
	v_cndmask_b32_e64 v21, v5, v1, s[0:1]
	v_mov_b32_e32 v23, s7
	v_add_co_u32_e32 v22, vcc, s6, v22
	v_addc_co_u32_e32 v23, vcc, v21, v23, vcc
	global_load_dwordx2 v[22:23], v[22:23], off
	v_add_co_u32_e32 v24, vcc, v14, v8
	v_addc_co_u32_e32 v25, vcc, v15, v9, vcc
	global_store_dword v[24:25], v20, off offset:-128
	v_mov_b32_e32 v21, s33
	v_add_co_u32_e32 v24, vcc, s17, v18
	v_addc_co_u32_e32 v25, vcc, v21, v19, vcc
	s_waitcnt vmcnt(1)
	global_store_dwordx2 v[24:25], v[22:23], off offset:-256
	s_or_b64 exec, exec, s[30:31]
	v_add_u32_e32 v21, s13, v13
	s_and_saveexec_b64 s[30:31], s[2:3]
	s_cbranch_execz .LBB75_11
.LBB75_14:                              ;   in Loop: Header=BB75_9 Depth=1
	v_mov_b32_e32 v22, s7
	v_add_co_u32_e32 v23, vcc, s6, v0
	v_addc_co_u32_e32 v24, vcc, v1, v22, vcc
	v_add_co_u32_e32 v25, vcc, 0x100, v23
	v_addc_co_u32_e32 v23, vcc, 0, v24, vcc
	;; [unrolled: 2-line block ×3, first 2 shown]
	v_cndmask_b32_e64 v23, v22, v23, s[0:1]
	v_cndmask_b32_e64 v22, v24, v25, s[0:1]
	global_load_dwordx2 v[22:23], v[22:23], off
	v_add_co_u32_e32 v24, vcc, v14, v8
	v_addc_co_u32_e32 v25, vcc, v15, v9, vcc
	global_store_dword v[24:25], v21, off
	v_mov_b32_e32 v25, s33
	v_add_co_u32_e32 v24, vcc, s17, v18
	v_addc_co_u32_e32 v25, vcc, v25, v19, vcc
	s_waitcnt vmcnt(1)
	global_store_dwordx2 v[24:25], v[22:23], off
	s_or_b64 exec, exec, s[30:31]
	s_and_saveexec_b64 s[30:31], s[22:23]
	s_cbranch_execz .LBB75_12
.LBB75_15:                              ;   in Loop: Header=BB75_9 Depth=1
	v_mov_b32_e32 v22, s7
	v_add_co_u32_e32 v24, vcc, s6, v2
	v_addc_co_u32_e32 v23, vcc, v3, v22, vcc
	v_add_co_u32_e32 v25, vcc, s6, v4
	v_addc_co_u32_e32 v22, vcc, v5, v22, vcc
	;; [unrolled: 2-line block ×3, first 2 shown]
	v_cndmask_b32_e64 v23, v22, v23, s[0:1]
	v_cndmask_b32_e64 v22, v25, v24, s[0:1]
	global_load_dwordx2 v[22:23], v[22:23], off
	v_add_co_u32_e32 v24, vcc, v16, v8
	v_addc_co_u32_e32 v25, vcc, v17, v9, vcc
	global_store_dword v[24:25], v20, off
	s_waitcnt vmcnt(1)
	global_store_dwordx2 v[10:11], v[22:23], off offset:-256
	s_or_b64 exec, exec, s[30:31]
	s_and_saveexec_b64 s[30:31], s[4:5]
	s_cbranch_execz .LBB75_8
.LBB75_16:                              ;   in Loop: Header=BB75_9 Depth=1
	v_cndmask_b32_e64 v22, v6, v2, s[0:1]
	v_cndmask_b32_e64 v20, v7, v3, s[0:1]
	v_mov_b32_e32 v23, s7
	v_add_co_u32_e32 v22, vcc, s6, v22
	v_addc_co_u32_e32 v23, vcc, v20, v23, vcc
	global_load_dwordx2 v[22:23], v[22:23], off offset:256
	v_add_co_u32_e32 v24, vcc, v16, v8
	v_addc_co_u32_e32 v25, vcc, v17, v9, vcc
	global_store_dword v[24:25], v21, off offset:128
	s_waitcnt vmcnt(1)
	global_store_dwordx2 v[10:11], v[22:23], off
	s_branch .LBB75_8
.LBB75_17:
	s_endpgm
	.section	.rodata,"a",@progbits
	.p2align	6, 0x0
	.amdhsa_kernel _ZN9rocsparseL35bsr2csr_block_per_row_33_256_kernelILj1024ELj64ELj32ElliEEv20rocsparse_direction_T4_S2_21rocsparse_index_base_PKT2_PKT3_PKS2_S2_S3_PS4_PS7_PS2_
		.amdhsa_group_segment_fixed_size 0
		.amdhsa_private_segment_fixed_size 0
		.amdhsa_kernarg_size 72
		.amdhsa_user_sgpr_count 6
		.amdhsa_user_sgpr_private_segment_buffer 1
		.amdhsa_user_sgpr_dispatch_ptr 0
		.amdhsa_user_sgpr_queue_ptr 0
		.amdhsa_user_sgpr_kernarg_segment_ptr 1
		.amdhsa_user_sgpr_dispatch_id 0
		.amdhsa_user_sgpr_flat_scratch_init 0
		.amdhsa_user_sgpr_kernarg_preload_length 0
		.amdhsa_user_sgpr_kernarg_preload_offset 0
		.amdhsa_user_sgpr_private_segment_size 0
		.amdhsa_uses_dynamic_stack 0
		.amdhsa_system_sgpr_private_segment_wavefront_offset 0
		.amdhsa_system_sgpr_workgroup_id_x 1
		.amdhsa_system_sgpr_workgroup_id_y 0
		.amdhsa_system_sgpr_workgroup_id_z 0
		.amdhsa_system_sgpr_workgroup_info 0
		.amdhsa_system_vgpr_workitem_id 0
		.amdhsa_next_free_vgpr 26
		.amdhsa_next_free_sgpr 40
		.amdhsa_accum_offset 28
		.amdhsa_reserve_vcc 1
		.amdhsa_reserve_flat_scratch 0
		.amdhsa_float_round_mode_32 0
		.amdhsa_float_round_mode_16_64 0
		.amdhsa_float_denorm_mode_32 3
		.amdhsa_float_denorm_mode_16_64 3
		.amdhsa_dx10_clamp 1
		.amdhsa_ieee_mode 1
		.amdhsa_fp16_overflow 0
		.amdhsa_tg_split 0
		.amdhsa_exception_fp_ieee_invalid_op 0
		.amdhsa_exception_fp_denorm_src 0
		.amdhsa_exception_fp_ieee_div_zero 0
		.amdhsa_exception_fp_ieee_overflow 0
		.amdhsa_exception_fp_ieee_underflow 0
		.amdhsa_exception_fp_ieee_inexact 0
		.amdhsa_exception_int_div_zero 0
	.end_amdhsa_kernel
	.section	.text._ZN9rocsparseL35bsr2csr_block_per_row_33_256_kernelILj1024ELj64ELj32ElliEEv20rocsparse_direction_T4_S2_21rocsparse_index_base_PKT2_PKT3_PKS2_S2_S3_PS4_PS7_PS2_,"axG",@progbits,_ZN9rocsparseL35bsr2csr_block_per_row_33_256_kernelILj1024ELj64ELj32ElliEEv20rocsparse_direction_T4_S2_21rocsparse_index_base_PKT2_PKT3_PKS2_S2_S3_PS4_PS7_PS2_,comdat
.Lfunc_end75:
	.size	_ZN9rocsparseL35bsr2csr_block_per_row_33_256_kernelILj1024ELj64ELj32ElliEEv20rocsparse_direction_T4_S2_21rocsparse_index_base_PKT2_PKT3_PKS2_S2_S3_PS4_PS7_PS2_, .Lfunc_end75-_ZN9rocsparseL35bsr2csr_block_per_row_33_256_kernelILj1024ELj64ELj32ElliEEv20rocsparse_direction_T4_S2_21rocsparse_index_base_PKT2_PKT3_PKS2_S2_S3_PS4_PS7_PS2_
                                        ; -- End function
	.section	.AMDGPU.csdata,"",@progbits
; Kernel info:
; codeLenInByte = 1500
; NumSgprs: 44
; NumVgprs: 26
; NumAgprs: 0
; TotalNumVgprs: 26
; ScratchSize: 0
; MemoryBound: 0
; FloatMode: 240
; IeeeMode: 1
; LDSByteSize: 0 bytes/workgroup (compile time only)
; SGPRBlocks: 5
; VGPRBlocks: 3
; NumSGPRsForWavesPerEU: 44
; NumVGPRsForWavesPerEU: 26
; AccumOffset: 28
; Occupancy: 8
; WaveLimiterHint : 1
; COMPUTE_PGM_RSRC2:SCRATCH_EN: 0
; COMPUTE_PGM_RSRC2:USER_SGPR: 6
; COMPUTE_PGM_RSRC2:TRAP_HANDLER: 0
; COMPUTE_PGM_RSRC2:TGID_X_EN: 1
; COMPUTE_PGM_RSRC2:TGID_Y_EN: 0
; COMPUTE_PGM_RSRC2:TGID_Z_EN: 0
; COMPUTE_PGM_RSRC2:TIDIG_COMP_CNT: 0
; COMPUTE_PGM_RSRC3_GFX90A:ACCUM_OFFSET: 6
; COMPUTE_PGM_RSRC3_GFX90A:TG_SPLIT: 0
	.section	.text._ZN9rocsparseL35bsr2csr_block_per_row_33_256_kernelILj1024ELj128ELj32ElliEEv20rocsparse_direction_T4_S2_21rocsparse_index_base_PKT2_PKT3_PKS2_S2_S3_PS4_PS7_PS2_,"axG",@progbits,_ZN9rocsparseL35bsr2csr_block_per_row_33_256_kernelILj1024ELj128ELj32ElliEEv20rocsparse_direction_T4_S2_21rocsparse_index_base_PKT2_PKT3_PKS2_S2_S3_PS4_PS7_PS2_,comdat
	.globl	_ZN9rocsparseL35bsr2csr_block_per_row_33_256_kernelILj1024ELj128ELj32ElliEEv20rocsparse_direction_T4_S2_21rocsparse_index_base_PKT2_PKT3_PKS2_S2_S3_PS4_PS7_PS2_ ; -- Begin function _ZN9rocsparseL35bsr2csr_block_per_row_33_256_kernelILj1024ELj128ELj32ElliEEv20rocsparse_direction_T4_S2_21rocsparse_index_base_PKT2_PKT3_PKS2_S2_S3_PS4_PS7_PS2_
	.p2align	8
	.type	_ZN9rocsparseL35bsr2csr_block_per_row_33_256_kernelILj1024ELj128ELj32ElliEEv20rocsparse_direction_T4_S2_21rocsparse_index_base_PKT2_PKT3_PKS2_S2_S3_PS4_PS7_PS2_,@function
_ZN9rocsparseL35bsr2csr_block_per_row_33_256_kernelILj1024ELj128ELj32ElliEEv20rocsparse_direction_T4_S2_21rocsparse_index_base_PKT2_PKT3_PKS2_S2_S3_PS4_PS7_PS2_: ; @_ZN9rocsparseL35bsr2csr_block_per_row_33_256_kernelILj1024ELj128ELj32ElliEEv20rocsparse_direction_T4_S2_21rocsparse_index_base_PKT2_PKT3_PKS2_S2_S3_PS4_PS7_PS2_
; %bb.0:
	s_load_dwordx2 s[0:1], s[4:5], 0x18
	s_load_dwordx2 s[20:21], s[4:5], 0x28
	;; [unrolled: 1-line block ×3, first 2 shown]
	s_ashr_i32 s7, s6, 31
	s_lshl_b64 s[2:3], s[6:7], 3
	s_waitcnt lgkmcnt(0)
	s_add_u32 s0, s0, s2
	s_addc_u32 s1, s1, s3
	s_load_dwordx4 s[16:19], s[0:1], 0x0
	v_or_b32_e32 v1, s6, v0
	s_mov_b32 s23, 0
	v_cmp_eq_u32_e32 vcc, 0, v1
	s_mov_b32 s24, s21
	s_and_saveexec_b64 s[0:1], vcc
	s_cbranch_execz .LBB76_2
; %bb.1:
	s_mov_b32 s25, s23
	v_mov_b32_e32 v1, 0
	v_pk_mov_b32 v[2:3], s[24:25], s[24:25] op_sel:[0,1]
	global_store_dwordx2 v1, v[2:3], s[8:9]
.LBB76_2:
	s_or_b64 exec, exec, s[0:1]
	s_load_dword s22, s[4:5], 0xc
	s_mul_i32 s56, s20, s20
	v_lshrrev_b32_e32 v1, 5, v0
	s_mul_i32 s21, s6, s20
	v_cmp_gt_i32_e64 s[2:3], s20, v1
	s_waitcnt lgkmcnt(0)
	s_sub_u32 s26, s16, s22
	s_subb_u32 s27, s17, 0
	s_mul_hi_u32 s0, s26, s56
	s_sub_u32 s28, s18, s22
	s_mul_i32 s1, s27, s56
	s_subb_u32 s29, s19, 0
	s_add_i32 s55, s0, s1
	s_sub_u32 s61, s28, s26
	s_subb_u32 s60, s29, s27
	s_mul_i32 s0, s60, s20
	s_mul_hi_u32 s1, s61, s20
	s_mul_i32 s54, s26, s56
	s_add_i32 s14, s1, s0
	s_add_u32 s0, s54, s24
	s_mul_i32 s15, s61, s20
	s_addc_u32 s1, s55, 0
	s_add_u32 s0, s0, s15
	s_addc_u32 s1, s1, s14
	s_and_saveexec_b64 s[6:7], s[2:3]
	s_cbranch_execz .LBB76_4
; %bb.3:
	v_pk_mov_b32 v[2:3], s[0:1], s[0:1] op_sel:[0,1]
	v_mad_u64_u32 v[2:3], s[10:11], s15, v1, v[2:3]
	v_mov_b32_e32 v4, v3
	v_mad_u64_u32 v[4:5], s[10:11], s14, v1, v[4:5]
	v_mov_b32_e32 v3, v4
	v_add_u32_e32 v4, s21, v1
	v_ashrrev_i32_e32 v5, 31, v4
	v_lshlrev_b64 v[4:5], 3, v[4:5]
	v_mov_b32_e32 v6, s9
	v_add_co_u32_e32 v4, vcc, s8, v4
	v_addc_co_u32_e32 v5, vcc, v6, v5, vcc
	global_store_dwordx2 v[4:5], v[2:3], off offset:8
.LBB76_4:
	s_or_b64 exec, exec, s[6:7]
	s_add_u32 s25, s8, 8
	v_or_b32_e32 v8, 32, v1
	s_addc_u32 s30, s9, 0
	v_cmp_gt_i32_e64 s[6:7], s20, v8
	s_and_saveexec_b64 s[8:9], s[6:7]
	s_cbranch_execz .LBB76_6
; %bb.5:
	v_pk_mov_b32 v[2:3], s[0:1], s[0:1] op_sel:[0,1]
	v_mad_u64_u32 v[2:3], s[10:11], s15, v8, v[2:3]
	v_mov_b32_e32 v4, v3
	v_mad_u64_u32 v[4:5], s[10:11], s14, v8, v[4:5]
	s_ashr_i32 s10, s21, 31
	v_mov_b32_e32 v3, v4
	v_mov_b32_e32 v5, s10
	v_add_co_u32_e32 v4, vcc, s21, v1
	v_addc_co_u32_e32 v5, vcc, 0, v5, vcc
	v_lshlrev_b64 v[4:5], 3, v[4:5]
	v_mov_b32_e32 v6, s30
	v_add_co_u32_e32 v4, vcc, s25, v4
	v_addc_co_u32_e32 v5, vcc, v6, v5, vcc
	global_store_dwordx2 v[4:5], v[2:3], off offset:256
.LBB76_6:
	s_or_b64 exec, exec, s[8:9]
	v_or_b32_e32 v12, 64, v1
	v_cmp_gt_i32_e64 s[8:9], s20, v12
	s_and_saveexec_b64 s[10:11], s[8:9]
	s_cbranch_execz .LBB76_8
; %bb.7:
	v_pk_mov_b32 v[2:3], s[0:1], s[0:1] op_sel:[0,1]
	v_mad_u64_u32 v[2:3], s[12:13], s15, v12, v[2:3]
	v_mov_b32_e32 v4, v3
	v_mad_u64_u32 v[4:5], s[12:13], s14, v12, v[4:5]
	s_ashr_i32 s12, s21, 31
	v_mov_b32_e32 v3, v4
	v_mov_b32_e32 v5, s12
	v_add_co_u32_e32 v4, vcc, s21, v1
	v_addc_co_u32_e32 v5, vcc, 0, v5, vcc
	v_lshlrev_b64 v[4:5], 3, v[4:5]
	v_mov_b32_e32 v6, s30
	v_add_co_u32_e32 v4, vcc, s25, v4
	v_addc_co_u32_e32 v5, vcc, v6, v5, vcc
	global_store_dwordx2 v[4:5], v[2:3], off offset:512
.LBB76_8:
	s_or_b64 exec, exec, s[10:11]
	v_or_b32_e32 v4, 0x60, v1
	v_cmp_gt_i32_e64 s[10:11], s20, v4
	s_and_saveexec_b64 s[12:13], s[10:11]
	s_cbranch_execz .LBB76_10
; %bb.9:
	v_pk_mov_b32 v[2:3], s[0:1], s[0:1] op_sel:[0,1]
	v_mad_u64_u32 v[2:3], s[0:1], s15, v4, v[2:3]
	v_mov_b32_e32 v6, v3
	v_mad_u64_u32 v[6:7], s[0:1], s14, v4, v[6:7]
	s_ashr_i32 s0, s21, 31
	v_mov_b32_e32 v3, v6
	v_mov_b32_e32 v5, s0
	v_add_co_u32_e32 v6, vcc, s21, v1
	v_addc_co_u32_e32 v7, vcc, 0, v5, vcc
	v_lshlrev_b64 v[6:7], 3, v[6:7]
	v_mov_b32_e32 v5, s30
	v_add_co_u32_e32 v6, vcc, s25, v6
	v_addc_co_u32_e32 v7, vcc, v5, v7, vcc
	global_store_dwordx2 v[6:7], v[2:3], off offset:768
.LBB76_10:
	s_or_b64 exec, exec, s[12:13]
	v_pk_mov_b32 v[2:3], s[18:19], s[18:19] op_sel:[0,1]
	v_cmp_lt_i64_e32 vcc, s[16:17], v[2:3]
	s_cbranch_vccz .LBB76_45
; %bb.11:
	s_load_dwordx2 s[58:59], s[4:5], 0x20
	s_load_dwordx2 s[18:19], s[4:5], 0x30
	s_load_dwordx2 s[62:63], s[4:5], 0x10
	s_load_dword s0, s[4:5], 0x0
	s_load_dwordx2 s[30:31], s[4:5], 0x40
	v_and_b32_e32 v16, 31, v0
	v_mul_lo_u32 v2, v1, s20
	v_mov_b32_e32 v3, 0
	s_waitcnt lgkmcnt(0)
	s_cmp_eq_u32 s0, 0
	s_cselect_b64 s[0:1], -1, 0
	s_lshl_b32 s25, s20, 5
	v_cmp_gt_i32_e32 vcc, s20, v16
	v_mov_b32_e32 v7, v3
	v_mov_b32_e32 v11, v3
	;; [unrolled: 1-line block ×4, first 2 shown]
	v_add_u32_e32 v22, s25, v2
	v_mov_b32_e32 v23, v3
	v_mov_b32_e32 v25, v3
	;; [unrolled: 1-line block ×3, first 2 shown]
	v_lshlrev_b64 v[2:3], 3, v[2:3]
	v_lshlrev_b32_e32 v0, 3, v16
	s_and_b64 s[34:35], s[2:3], vcc
	s_and_b64 s[40:41], s[6:7], vcc
	;; [unrolled: 1-line block ×4, first 2 shown]
	v_add_co_u32_e32 v20, vcc, v2, v0
	v_addc_co_u32_e32 v21, vcc, 0, v3, vcc
	v_lshlrev_b64 v[2:3], 3, v[22:23]
	v_add_u32_e32 v24, s25, v22
	v_add_co_u32_e32 v22, vcc, v2, v0
	v_addc_co_u32_e32 v23, vcc, 0, v3, vcc
	v_lshlrev_b64 v[2:3], 3, v[24:25]
	v_add_u32_e32 v26, s25, v24
	v_add_co_u32_e32 v24, vcc, v2, v0
	v_addc_co_u32_e32 v25, vcc, 0, v3, vcc
	v_lshlrev_b64 v[2:3], 3, v[26:27]
	v_mul_lo_u32 v6, v16, s20
	v_add_co_u32_e32 v26, vcc, v2, v0
	v_addc_co_u32_e32 v27, vcc, 0, v3, vcc
	v_lshlrev_b32_e32 v0, 3, v1
	v_lshlrev_b64 v[2:3], 3, v[6:7]
	v_add_u32_e32 v10, s25, v6
	v_add_co_u32_e32 v28, vcc, v0, v2
	v_or_b32_e32 v17, 32, v16
	v_or_b32_e32 v18, 64, v16
	;; [unrolled: 1-line block ×3, first 2 shown]
	v_addc_co_u32_e32 v29, vcc, 0, v3, vcc
	v_lshlrev_b64 v[2:3], 3, v[10:11]
	v_cmp_gt_i32_e64 s[4:5], s20, v17
	v_cmp_gt_i32_e64 s[12:13], s20, v18
	v_add_u32_e32 v14, s25, v10
	v_cmp_gt_i32_e64 s[14:15], s20, v19
	v_add_co_u32_e32 v30, vcc, v0, v2
	s_and_b64 s[36:37], s[2:3], s[4:5]
	s_and_b64 s[38:39], s[2:3], s[12:13]
	s_and_b64 s[2:3], s[2:3], s[14:15]
	s_and_b64 s[42:43], s[6:7], s[4:5]
	s_and_b64 s[44:45], s[6:7], s[12:13]
	s_and_b64 s[6:7], s[6:7], s[14:15]
	s_and_b64 s[48:49], s[8:9], s[4:5]
	s_and_b64 s[50:51], s[8:9], s[12:13]
	s_and_b64 s[8:9], s[8:9], s[14:15]
	s_and_b64 s[4:5], s[10:11], s[4:5]
	s_and_b64 s[12:13], s[10:11], s[12:13]
	s_and_b64 s[10:11], s[10:11], s[14:15]
	s_lshl_b64 s[14:15], s[54:55], 3
	v_addc_co_u32_e32 v31, vcc, 0, v3, vcc
	v_lshlrev_b64 v[2:3], 3, v[14:15]
	s_mov_b32 s57, s23
	v_add_u32_e32 v34, s25, v14
	s_add_u32 s25, s62, s14
	v_add_co_u32_e32 v32, vcc, v0, v2
	s_addc_u32 s33, s63, s15
	s_lshl_b64 s[14:15], s[56:57], 3
	v_addc_co_u32_e32 v33, vcc, 0, v3, vcc
	v_lshlrev_b64 v[2:3], 3, v[34:35]
	s_lshl_b64 s[16:17], s[16:17], 2
	s_lshl_b64 s[56:57], s[22:23], 2
	v_add_co_u32_e32 v34, vcc, v0, v2
	s_sub_u32 s16, s16, s56
	v_addc_co_u32_e32 v35, vcc, 0, v3, vcc
	s_subb_u32 s17, s17, s57
	v_mad_u64_u32 v[2:3], s[56:57], v1, s61, 0
	v_pk_mov_b32 v[14:15], s[54:55], s[54:55] op_sel:[0,1]
	v_mov_b32_e32 v0, v3
	v_mad_u64_u32 v[2:3], s[54:55], v2, s20, v[14:15]
	s_add_u32 s16, s58, s16
	v_mad_u64_u32 v[0:1], s[56:57], v1, s60, v[0:1]
	v_mov_b32_e32 v6, v3
	s_addc_u32 s17, s59, s17
	v_mad_u64_u32 v[0:1], s[54:55], v0, s20, v[6:7]
	v_mad_u64_u32 v[6:7], s[58:59], s61, v4, 0
	v_mov_b32_e32 v10, v7
	v_mad_u64_u32 v[6:7], s[58:59], v6, s20, v[14:15]
	v_mad_u64_u32 v[4:5], s[58:59], s60, v4, v[10:11]
	v_mov_b32_e32 v10, v7
	;; [unrolled: 3-line block ×3, first 2 shown]
	v_add_co_u32_e32 v2, vcc, v2, v16
	v_mov_b32_e32 v36, v11
	v_mad_u64_u32 v[10:11], s[58:59], v10, s20, v[14:15]
	v_addc_co_u32_e32 v3, vcc, 0, v1, vcc
	v_mad_u64_u32 v[8:9], s[58:59], s60, v8, v[36:37]
	v_mov_b32_e32 v36, v11
	v_mov_b32_e32 v5, v4
	v_add_co_u32_e32 v6, vcc, v6, v16
	v_mad_u64_u32 v[8:9], s[58:59], v8, s20, v[36:37]
	v_mad_u64_u32 v[36:37], s[58:59], s61, v12, 0
	v_addc_co_u32_e32 v7, vcc, 0, v5, vcc
	v_mov_b32_e32 v38, v37
	v_mad_u64_u32 v[14:15], s[58:59], v36, s20, v[14:15]
	v_mov_b32_e32 v9, v8
	v_add_co_u32_e32 v10, vcc, v10, v16
	v_mad_u64_u32 v[12:13], s[58:59], s60, v12, v[38:39]
	v_mov_b32_e32 v36, v15
	v_addc_co_u32_e32 v11, vcc, 0, v9, vcc
	v_mad_u64_u32 v[12:13], s[58:59], v12, s20, v[36:37]
	v_mov_b32_e32 v13, v12
	v_add_co_u32_e32 v14, vcc, v14, v16
	s_mov_b32 s21, s23
	v_addc_co_u32_e32 v15, vcc, 0, v13, vcc
	v_lshlrev_b64 v[0:1], 2, v[2:3]
	s_lshl_b64 s[54:55], s[20:21], 2
	v_lshlrev_b64 v[2:3], 3, v[2:3]
	s_lshl_b64 s[56:57], s[20:21], 3
	v_lshlrev_b64 v[4:5], 3, v[6:7]
	v_lshlrev_b64 v[6:7], 2, v[6:7]
	;; [unrolled: 1-line block ×6, first 2 shown]
	s_branch .LBB76_13
.LBB76_12:                              ;   in Loop: Header=BB76_13 Depth=1
	s_or_b64 exec, exec, s[58:59]
	s_add_u32 s26, s26, 1
	s_addc_u32 s27, s27, 0
	s_add_u32 s25, s25, s14
	s_addc_u32 s33, s33, s15
	;; [unrolled: 2-line block ×4, first 2 shown]
	v_pk_mov_b32 v[36:37], s[28:29], s[28:29] op_sel:[0,1]
	s_add_u32 s18, s18, s56
	v_cmp_ge_i64_e32 vcc, s[26:27], v[36:37]
	s_addc_u32 s19, s19, s57
	s_cbranch_vccnz .LBB76_45
.LBB76_13:                              ; =>This Inner Loop Header: Depth=1
	s_load_dword s21, s[16:17], 0x0
	s_waitcnt lgkmcnt(0)
	s_sub_i32 s21, s21, s22
	s_mul_i32 s21, s21, s20
	s_add_i32 s21, s21, s24
	v_add_u32_e32 v39, s21, v16
	s_and_saveexec_b64 s[58:59], s[34:35]
	s_cbranch_execnz .LBB76_29
; %bb.14:                               ;   in Loop: Header=BB76_13 Depth=1
	s_or_b64 exec, exec, s[58:59]
	v_add_u32_e32 v37, s21, v17
	s_and_saveexec_b64 s[58:59], s[36:37]
	s_cbranch_execnz .LBB76_30
.LBB76_15:                              ;   in Loop: Header=BB76_13 Depth=1
	s_or_b64 exec, exec, s[58:59]
	v_add_u32_e32 v36, s21, v18
	s_and_saveexec_b64 s[58:59], s[38:39]
	s_cbranch_execnz .LBB76_31
.LBB76_16:                              ;   in Loop: Header=BB76_13 Depth=1
	s_or_b64 exec, exec, s[58:59]
	v_add_u32_e32 v38, s21, v19
	s_and_saveexec_b64 s[58:59], s[2:3]
	s_cbranch_execnz .LBB76_32
.LBB76_17:                              ;   in Loop: Header=BB76_13 Depth=1
	s_or_b64 exec, exec, s[58:59]
	s_and_saveexec_b64 s[58:59], s[40:41]
	s_cbranch_execnz .LBB76_33
.LBB76_18:                              ;   in Loop: Header=BB76_13 Depth=1
	s_or_b64 exec, exec, s[58:59]
	s_and_saveexec_b64 s[58:59], s[42:43]
	s_cbranch_execnz .LBB76_34
.LBB76_19:                              ;   in Loop: Header=BB76_13 Depth=1
	s_or_b64 exec, exec, s[58:59]
	s_and_saveexec_b64 s[58:59], s[44:45]
	s_cbranch_execnz .LBB76_35
.LBB76_20:                              ;   in Loop: Header=BB76_13 Depth=1
	s_or_b64 exec, exec, s[58:59]
	s_and_saveexec_b64 s[58:59], s[6:7]
	s_cbranch_execnz .LBB76_36
.LBB76_21:                              ;   in Loop: Header=BB76_13 Depth=1
	s_or_b64 exec, exec, s[58:59]
	s_and_saveexec_b64 s[58:59], s[46:47]
	s_cbranch_execnz .LBB76_37
.LBB76_22:                              ;   in Loop: Header=BB76_13 Depth=1
	s_or_b64 exec, exec, s[58:59]
	s_and_saveexec_b64 s[58:59], s[48:49]
	s_cbranch_execnz .LBB76_38
.LBB76_23:                              ;   in Loop: Header=BB76_13 Depth=1
	s_or_b64 exec, exec, s[58:59]
	s_and_saveexec_b64 s[58:59], s[50:51]
	s_cbranch_execnz .LBB76_39
.LBB76_24:                              ;   in Loop: Header=BB76_13 Depth=1
	s_or_b64 exec, exec, s[58:59]
	s_and_saveexec_b64 s[58:59], s[8:9]
	s_cbranch_execnz .LBB76_40
.LBB76_25:                              ;   in Loop: Header=BB76_13 Depth=1
	s_or_b64 exec, exec, s[58:59]
	s_and_saveexec_b64 s[58:59], s[52:53]
	s_cbranch_execnz .LBB76_41
.LBB76_26:                              ;   in Loop: Header=BB76_13 Depth=1
	s_or_b64 exec, exec, s[58:59]
	s_and_saveexec_b64 s[58:59], s[4:5]
	s_cbranch_execnz .LBB76_42
.LBB76_27:                              ;   in Loop: Header=BB76_13 Depth=1
	s_or_b64 exec, exec, s[58:59]
	s_and_saveexec_b64 s[58:59], s[12:13]
	s_cbranch_execnz .LBB76_43
.LBB76_28:                              ;   in Loop: Header=BB76_13 Depth=1
	s_or_b64 exec, exec, s[58:59]
	s_and_saveexec_b64 s[58:59], s[10:11]
	s_cbranch_execz .LBB76_12
	s_branch .LBB76_44
.LBB76_29:                              ;   in Loop: Header=BB76_13 Depth=1
	v_cndmask_b32_e64 v36, v28, v20, s[0:1]
	v_cndmask_b32_e64 v37, v29, v21, s[0:1]
	v_mov_b32_e32 v38, s33
	v_add_co_u32_e32 v36, vcc, s25, v36
	v_addc_co_u32_e32 v37, vcc, v38, v37, vcc
	global_load_dwordx2 v[36:37], v[36:37], off
	v_mov_b32_e32 v38, s31
	v_add_co_u32_e32 v40, vcc, s30, v0
	v_addc_co_u32_e32 v41, vcc, v38, v1, vcc
	global_store_dword v[40:41], v39, off
	v_mov_b32_e32 v38, s19
	v_add_co_u32_e32 v40, vcc, s18, v2
	v_addc_co_u32_e32 v41, vcc, v38, v3, vcc
	s_waitcnt vmcnt(1)
	global_store_dwordx2 v[40:41], v[36:37], off
	s_or_b64 exec, exec, s[58:59]
	v_add_u32_e32 v37, s21, v17
	s_and_saveexec_b64 s[58:59], s[36:37]
	s_cbranch_execz .LBB76_15
.LBB76_30:                              ;   in Loop: Header=BB76_13 Depth=1
	v_mov_b32_e32 v36, s33
	v_add_co_u32_e32 v38, vcc, s25, v20
	v_addc_co_u32_e32 v40, vcc, v36, v21, vcc
	v_add_co_u32_e32 v38, vcc, 0x100, v38
	v_addc_co_u32_e32 v40, vcc, 0, v40, vcc
	;; [unrolled: 2-line block ×3, first 2 shown]
	v_cndmask_b32_e64 v41, v36, v40, s[0:1]
	v_cndmask_b32_e64 v40, v42, v38, s[0:1]
	global_load_dwordx2 v[40:41], v[40:41], off
	v_mov_b32_e32 v36, s31
	v_add_co_u32_e32 v42, vcc, s30, v0
	v_addc_co_u32_e32 v43, vcc, v36, v1, vcc
	global_store_dword v[42:43], v37, off offset:128
	v_mov_b32_e32 v36, s19
	v_add_co_u32_e32 v42, vcc, s18, v2
	v_addc_co_u32_e32 v43, vcc, v36, v3, vcc
	s_waitcnt vmcnt(1)
	global_store_dwordx2 v[42:43], v[40:41], off offset:256
	s_or_b64 exec, exec, s[58:59]
	v_add_u32_e32 v36, s21, v18
	s_and_saveexec_b64 s[58:59], s[38:39]
	s_cbranch_execz .LBB76_16
.LBB76_31:                              ;   in Loop: Header=BB76_13 Depth=1
	v_mov_b32_e32 v38, s33
	v_add_co_u32_e32 v40, vcc, s25, v20
	v_addc_co_u32_e32 v41, vcc, v38, v21, vcc
	v_add_co_u32_e32 v40, vcc, 0x200, v40
	v_addc_co_u32_e32 v41, vcc, 0, v41, vcc
	;; [unrolled: 2-line block ×3, first 2 shown]
	v_cndmask_b32_e64 v41, v38, v41, s[0:1]
	v_cndmask_b32_e64 v40, v42, v40, s[0:1]
	global_load_dwordx2 v[40:41], v[40:41], off
	v_mov_b32_e32 v38, s31
	v_add_co_u32_e32 v42, vcc, s30, v0
	v_addc_co_u32_e32 v43, vcc, v38, v1, vcc
	global_store_dword v[42:43], v36, off offset:256
	v_mov_b32_e32 v38, s19
	v_add_co_u32_e32 v42, vcc, s18, v2
	v_addc_co_u32_e32 v43, vcc, v38, v3, vcc
	s_waitcnt vmcnt(1)
	global_store_dwordx2 v[42:43], v[40:41], off offset:512
	s_or_b64 exec, exec, s[58:59]
	v_add_u32_e32 v38, s21, v19
	s_and_saveexec_b64 s[58:59], s[2:3]
	s_cbranch_execz .LBB76_17
.LBB76_32:                              ;   in Loop: Header=BB76_13 Depth=1
	v_mov_b32_e32 v40, s33
	v_add_co_u32_e32 v41, vcc, s25, v20
	v_addc_co_u32_e32 v42, vcc, v40, v21, vcc
	v_add_co_u32_e32 v43, vcc, 0x300, v41
	v_addc_co_u32_e32 v41, vcc, 0, v42, vcc
	;; [unrolled: 2-line block ×3, first 2 shown]
	v_cndmask_b32_e64 v41, v40, v41, s[0:1]
	v_cndmask_b32_e64 v40, v42, v43, s[0:1]
	global_load_dwordx2 v[40:41], v[40:41], off
	v_mov_b32_e32 v43, s31
	v_add_co_u32_e32 v42, vcc, s30, v0
	v_addc_co_u32_e32 v43, vcc, v43, v1, vcc
	global_store_dword v[42:43], v38, off offset:384
	v_mov_b32_e32 v43, s19
	v_add_co_u32_e32 v42, vcc, s18, v2
	v_addc_co_u32_e32 v43, vcc, v43, v3, vcc
	s_waitcnt vmcnt(1)
	global_store_dwordx2 v[42:43], v[40:41], off offset:768
	s_or_b64 exec, exec, s[58:59]
	s_and_saveexec_b64 s[58:59], s[40:41]
	s_cbranch_execz .LBB76_18
.LBB76_33:                              ;   in Loop: Header=BB76_13 Depth=1
	v_mov_b32_e32 v40, s33
	v_add_co_u32_e32 v42, vcc, s25, v22
	v_addc_co_u32_e32 v41, vcc, v40, v23, vcc
	v_add_co_u32_e32 v43, vcc, s25, v28
	v_addc_co_u32_e32 v40, vcc, v40, v29, vcc
	;; [unrolled: 2-line block ×3, first 2 shown]
	v_cndmask_b32_e64 v41, v40, v41, s[0:1]
	v_cndmask_b32_e64 v40, v43, v42, s[0:1]
	global_load_dwordx2 v[40:41], v[40:41], off
	v_mov_b32_e32 v43, s31
	v_add_co_u32_e32 v42, vcc, s30, v8
	v_addc_co_u32_e32 v43, vcc, v43, v9, vcc
	global_store_dword v[42:43], v39, off
	v_mov_b32_e32 v43, s19
	v_add_co_u32_e32 v42, vcc, s18, v10
	v_addc_co_u32_e32 v43, vcc, v43, v11, vcc
	s_waitcnt vmcnt(1)
	global_store_dwordx2 v[42:43], v[40:41], off
	s_or_b64 exec, exec, s[58:59]
	s_and_saveexec_b64 s[58:59], s[42:43]
	s_cbranch_execz .LBB76_19
.LBB76_34:                              ;   in Loop: Header=BB76_13 Depth=1
	v_cndmask_b32_e64 v40, v30, v22, s[0:1]
	v_cndmask_b32_e64 v41, v31, v23, s[0:1]
	v_mov_b32_e32 v42, s33
	v_add_co_u32_e32 v40, vcc, s25, v40
	v_addc_co_u32_e32 v41, vcc, v42, v41, vcc
	global_load_dwordx2 v[40:41], v[40:41], off offset:256
	v_mov_b32_e32 v43, s31
	v_add_co_u32_e32 v42, vcc, s30, v8
	v_addc_co_u32_e32 v43, vcc, v43, v9, vcc
	global_store_dword v[42:43], v37, off offset:128
	v_mov_b32_e32 v43, s19
	v_add_co_u32_e32 v42, vcc, s18, v10
	v_addc_co_u32_e32 v43, vcc, v43, v11, vcc
	s_waitcnt vmcnt(1)
	global_store_dwordx2 v[42:43], v[40:41], off offset:256
	s_or_b64 exec, exec, s[58:59]
	s_and_saveexec_b64 s[58:59], s[44:45]
	s_cbranch_execz .LBB76_20
.LBB76_35:                              ;   in Loop: Header=BB76_13 Depth=1
	v_mov_b32_e32 v40, s33
	v_add_co_u32_e32 v41, vcc, s25, v22
	v_addc_co_u32_e32 v42, vcc, v40, v23, vcc
	v_add_co_u32_e32 v43, vcc, 0x200, v41
	v_addc_co_u32_e32 v41, vcc, 0, v42, vcc
	;; [unrolled: 2-line block ×4, first 2 shown]
	v_cndmask_b32_e64 v41, v40, v41, s[0:1]
	v_cndmask_b32_e64 v40, v42, v43, s[0:1]
	global_load_dwordx2 v[40:41], v[40:41], off
	v_mov_b32_e32 v43, s31
	v_add_co_u32_e32 v42, vcc, s30, v8
	v_addc_co_u32_e32 v43, vcc, v43, v9, vcc
	global_store_dword v[42:43], v36, off offset:256
	v_mov_b32_e32 v43, s19
	v_add_co_u32_e32 v42, vcc, s18, v10
	v_addc_co_u32_e32 v43, vcc, v43, v11, vcc
	s_waitcnt vmcnt(1)
	global_store_dwordx2 v[42:43], v[40:41], off offset:512
	s_or_b64 exec, exec, s[58:59]
	s_and_saveexec_b64 s[58:59], s[6:7]
	s_cbranch_execz .LBB76_21
.LBB76_36:                              ;   in Loop: Header=BB76_13 Depth=1
	v_mov_b32_e32 v40, s33
	v_add_co_u32_e32 v41, vcc, s25, v22
	v_addc_co_u32_e32 v42, vcc, v40, v23, vcc
	v_add_co_u32_e32 v43, vcc, 0x300, v41
	v_addc_co_u32_e32 v41, vcc, 0, v42, vcc
	;; [unrolled: 2-line block ×4, first 2 shown]
	v_cndmask_b32_e64 v41, v40, v41, s[0:1]
	v_cndmask_b32_e64 v40, v42, v43, s[0:1]
	global_load_dwordx2 v[40:41], v[40:41], off
	v_mov_b32_e32 v43, s31
	v_add_co_u32_e32 v42, vcc, s30, v8
	v_addc_co_u32_e32 v43, vcc, v43, v9, vcc
	global_store_dword v[42:43], v38, off offset:384
	v_mov_b32_e32 v43, s19
	v_add_co_u32_e32 v42, vcc, s18, v10
	v_addc_co_u32_e32 v43, vcc, v43, v11, vcc
	s_waitcnt vmcnt(1)
	global_store_dwordx2 v[42:43], v[40:41], off offset:768
	s_or_b64 exec, exec, s[58:59]
	s_and_saveexec_b64 s[58:59], s[46:47]
	s_cbranch_execz .LBB76_22
.LBB76_37:                              ;   in Loop: Header=BB76_13 Depth=1
	v_mov_b32_e32 v40, s33
	v_add_co_u32_e32 v42, vcc, s25, v24
	v_addc_co_u32_e32 v41, vcc, v40, v25, vcc
	v_add_co_u32_e32 v43, vcc, s25, v28
	v_addc_co_u32_e32 v40, vcc, v40, v29, vcc
	v_add_co_u32_e32 v43, vcc, 0x200, v43
	v_addc_co_u32_e32 v40, vcc, 0, v40, vcc
	v_cndmask_b32_e64 v41, v40, v41, s[0:1]
	v_cndmask_b32_e64 v40, v43, v42, s[0:1]
	global_load_dwordx2 v[40:41], v[40:41], off
	v_mov_b32_e32 v43, s31
	v_add_co_u32_e32 v42, vcc, s30, v14
	v_addc_co_u32_e32 v43, vcc, v43, v15, vcc
	global_store_dword v[42:43], v39, off
	v_mov_b32_e32 v43, s19
	v_add_co_u32_e32 v42, vcc, s18, v12
	v_addc_co_u32_e32 v43, vcc, v43, v13, vcc
	s_waitcnt vmcnt(1)
	global_store_dwordx2 v[42:43], v[40:41], off
	s_or_b64 exec, exec, s[58:59]
	s_and_saveexec_b64 s[58:59], s[48:49]
	s_cbranch_execz .LBB76_23
.LBB76_38:                              ;   in Loop: Header=BB76_13 Depth=1
	v_mov_b32_e32 v40, s33
	v_add_co_u32_e32 v41, vcc, s25, v24
	v_addc_co_u32_e32 v42, vcc, v40, v25, vcc
	v_add_co_u32_e32 v43, vcc, 0x100, v41
	v_addc_co_u32_e32 v41, vcc, 0, v42, vcc
	v_add_co_u32_e32 v42, vcc, s25, v30
	v_addc_co_u32_e32 v40, vcc, v40, v31, vcc
	v_add_co_u32_e32 v42, vcc, 0x200, v42
	v_addc_co_u32_e32 v40, vcc, 0, v40, vcc
	v_cndmask_b32_e64 v41, v40, v41, s[0:1]
	v_cndmask_b32_e64 v40, v42, v43, s[0:1]
	global_load_dwordx2 v[40:41], v[40:41], off
	v_mov_b32_e32 v43, s31
	v_add_co_u32_e32 v42, vcc, s30, v14
	v_addc_co_u32_e32 v43, vcc, v43, v15, vcc
	global_store_dword v[42:43], v37, off offset:128
	v_mov_b32_e32 v43, s19
	v_add_co_u32_e32 v42, vcc, s18, v12
	v_addc_co_u32_e32 v43, vcc, v43, v13, vcc
	s_waitcnt vmcnt(1)
	global_store_dwordx2 v[42:43], v[40:41], off offset:256
	s_or_b64 exec, exec, s[58:59]
	s_and_saveexec_b64 s[58:59], s[50:51]
	s_cbranch_execz .LBB76_24
.LBB76_39:                              ;   in Loop: Header=BB76_13 Depth=1
	v_cndmask_b32_e64 v40, v32, v24, s[0:1]
	v_cndmask_b32_e64 v41, v33, v25, s[0:1]
	v_mov_b32_e32 v42, s33
	v_add_co_u32_e32 v40, vcc, s25, v40
	v_addc_co_u32_e32 v41, vcc, v42, v41, vcc
	global_load_dwordx2 v[40:41], v[40:41], off offset:512
	v_mov_b32_e32 v43, s31
	v_add_co_u32_e32 v42, vcc, s30, v14
	v_addc_co_u32_e32 v43, vcc, v43, v15, vcc
	global_store_dword v[42:43], v36, off offset:256
	v_mov_b32_e32 v43, s19
	v_add_co_u32_e32 v42, vcc, s18, v12
	v_addc_co_u32_e32 v43, vcc, v43, v13, vcc
	s_waitcnt vmcnt(1)
	global_store_dwordx2 v[42:43], v[40:41], off offset:512
	s_or_b64 exec, exec, s[58:59]
	s_and_saveexec_b64 s[58:59], s[8:9]
	s_cbranch_execz .LBB76_25
.LBB76_40:                              ;   in Loop: Header=BB76_13 Depth=1
	v_mov_b32_e32 v40, s33
	v_add_co_u32_e32 v41, vcc, s25, v24
	v_addc_co_u32_e32 v42, vcc, v40, v25, vcc
	v_add_co_u32_e32 v43, vcc, 0x300, v41
	v_addc_co_u32_e32 v41, vcc, 0, v42, vcc
	;; [unrolled: 2-line block ×4, first 2 shown]
	v_cndmask_b32_e64 v41, v40, v41, s[0:1]
	v_cndmask_b32_e64 v40, v42, v43, s[0:1]
	global_load_dwordx2 v[40:41], v[40:41], off
	v_mov_b32_e32 v43, s31
	v_add_co_u32_e32 v42, vcc, s30, v14
	v_addc_co_u32_e32 v43, vcc, v43, v15, vcc
	global_store_dword v[42:43], v38, off offset:384
	v_mov_b32_e32 v43, s19
	v_add_co_u32_e32 v42, vcc, s18, v12
	v_addc_co_u32_e32 v43, vcc, v43, v13, vcc
	s_waitcnt vmcnt(1)
	global_store_dwordx2 v[42:43], v[40:41], off offset:768
	s_or_b64 exec, exec, s[58:59]
	s_and_saveexec_b64 s[58:59], s[52:53]
	s_cbranch_execz .LBB76_26
.LBB76_41:                              ;   in Loop: Header=BB76_13 Depth=1
	v_mov_b32_e32 v40, s33
	v_add_co_u32_e32 v42, vcc, s25, v26
	v_addc_co_u32_e32 v41, vcc, v40, v27, vcc
	v_add_co_u32_e32 v43, vcc, s25, v28
	v_addc_co_u32_e32 v40, vcc, v40, v29, vcc
	v_add_co_u32_e32 v43, vcc, 0x300, v43
	v_addc_co_u32_e32 v40, vcc, 0, v40, vcc
	v_cndmask_b32_e64 v41, v40, v41, s[0:1]
	v_cndmask_b32_e64 v40, v43, v42, s[0:1]
	global_load_dwordx2 v[40:41], v[40:41], off
	v_mov_b32_e32 v43, s31
	v_add_co_u32_e32 v42, vcc, s30, v6
	v_addc_co_u32_e32 v43, vcc, v43, v7, vcc
	global_store_dword v[42:43], v39, off
	v_mov_b32_e32 v39, s19
	v_add_co_u32_e32 v42, vcc, s18, v4
	v_addc_co_u32_e32 v43, vcc, v39, v5, vcc
	s_waitcnt vmcnt(1)
	global_store_dwordx2 v[42:43], v[40:41], off
	s_or_b64 exec, exec, s[58:59]
	s_and_saveexec_b64 s[58:59], s[4:5]
	s_cbranch_execz .LBB76_27
.LBB76_42:                              ;   in Loop: Header=BB76_13 Depth=1
	v_mov_b32_e32 v39, s33
	v_add_co_u32_e32 v40, vcc, s25, v26
	v_addc_co_u32_e32 v41, vcc, v39, v27, vcc
	v_add_co_u32_e32 v40, vcc, 0x100, v40
	v_addc_co_u32_e32 v41, vcc, 0, v41, vcc
	v_add_co_u32_e32 v42, vcc, s25, v30
	v_addc_co_u32_e32 v39, vcc, v39, v31, vcc
	v_add_co_u32_e32 v42, vcc, 0x300, v42
	v_addc_co_u32_e32 v39, vcc, 0, v39, vcc
	v_cndmask_b32_e64 v41, v39, v41, s[0:1]
	v_cndmask_b32_e64 v40, v42, v40, s[0:1]
	global_load_dwordx2 v[40:41], v[40:41], off
	v_mov_b32_e32 v39, s31
	v_add_co_u32_e32 v42, vcc, s30, v6
	v_addc_co_u32_e32 v43, vcc, v39, v7, vcc
	global_store_dword v[42:43], v37, off offset:128
	v_mov_b32_e32 v37, s19
	v_add_co_u32_e32 v42, vcc, s18, v4
	v_addc_co_u32_e32 v43, vcc, v37, v5, vcc
	s_waitcnt vmcnt(1)
	global_store_dwordx2 v[42:43], v[40:41], off offset:256
	s_or_b64 exec, exec, s[58:59]
	s_and_saveexec_b64 s[58:59], s[12:13]
	s_cbranch_execz .LBB76_28
.LBB76_43:                              ;   in Loop: Header=BB76_13 Depth=1
	v_mov_b32_e32 v37, s33
	v_add_co_u32_e32 v39, vcc, s25, v26
	v_addc_co_u32_e32 v40, vcc, v37, v27, vcc
	v_add_co_u32_e32 v39, vcc, 0x200, v39
	v_addc_co_u32_e32 v40, vcc, 0, v40, vcc
	;; [unrolled: 2-line block ×4, first 2 shown]
	v_cndmask_b32_e64 v41, v37, v40, s[0:1]
	v_cndmask_b32_e64 v40, v42, v39, s[0:1]
	global_load_dwordx2 v[40:41], v[40:41], off
	v_mov_b32_e32 v37, s31
	v_add_co_u32_e32 v42, vcc, s30, v6
	v_addc_co_u32_e32 v43, vcc, v37, v7, vcc
	global_store_dword v[42:43], v36, off offset:256
	v_mov_b32_e32 v37, s19
	v_add_co_u32_e32 v36, vcc, s18, v4
	v_addc_co_u32_e32 v37, vcc, v37, v5, vcc
	s_waitcnt vmcnt(1)
	global_store_dwordx2 v[36:37], v[40:41], off offset:512
	s_or_b64 exec, exec, s[58:59]
	s_and_saveexec_b64 s[58:59], s[10:11]
	s_cbranch_execz .LBB76_12
.LBB76_44:                              ;   in Loop: Header=BB76_13 Depth=1
	v_cndmask_b32_e64 v36, v34, v26, s[0:1]
	v_cndmask_b32_e64 v37, v35, v27, s[0:1]
	v_mov_b32_e32 v39, s33
	v_add_co_u32_e32 v36, vcc, s25, v36
	v_addc_co_u32_e32 v37, vcc, v39, v37, vcc
	global_load_dwordx2 v[36:37], v[36:37], off offset:768
	v_mov_b32_e32 v39, s31
	v_add_co_u32_e32 v40, vcc, s30, v6
	v_addc_co_u32_e32 v41, vcc, v39, v7, vcc
	global_store_dword v[40:41], v38, off offset:384
	v_mov_b32_e32 v39, s19
	v_add_co_u32_e32 v38, vcc, s18, v4
	v_addc_co_u32_e32 v39, vcc, v39, v5, vcc
	s_waitcnt vmcnt(1)
	global_store_dwordx2 v[38:39], v[36:37], off offset:768
	s_branch .LBB76_12
.LBB76_45:
	s_endpgm
	.section	.rodata,"a",@progbits
	.p2align	6, 0x0
	.amdhsa_kernel _ZN9rocsparseL35bsr2csr_block_per_row_33_256_kernelILj1024ELj128ELj32ElliEEv20rocsparse_direction_T4_S2_21rocsparse_index_base_PKT2_PKT3_PKS2_S2_S3_PS4_PS7_PS2_
		.amdhsa_group_segment_fixed_size 0
		.amdhsa_private_segment_fixed_size 0
		.amdhsa_kernarg_size 72
		.amdhsa_user_sgpr_count 6
		.amdhsa_user_sgpr_private_segment_buffer 1
		.amdhsa_user_sgpr_dispatch_ptr 0
		.amdhsa_user_sgpr_queue_ptr 0
		.amdhsa_user_sgpr_kernarg_segment_ptr 1
		.amdhsa_user_sgpr_dispatch_id 0
		.amdhsa_user_sgpr_flat_scratch_init 0
		.amdhsa_user_sgpr_kernarg_preload_length 0
		.amdhsa_user_sgpr_kernarg_preload_offset 0
		.amdhsa_user_sgpr_private_segment_size 0
		.amdhsa_uses_dynamic_stack 0
		.amdhsa_system_sgpr_private_segment_wavefront_offset 0
		.amdhsa_system_sgpr_workgroup_id_x 1
		.amdhsa_system_sgpr_workgroup_id_y 0
		.amdhsa_system_sgpr_workgroup_id_z 0
		.amdhsa_system_sgpr_workgroup_info 0
		.amdhsa_system_vgpr_workitem_id 0
		.amdhsa_next_free_vgpr 44
		.amdhsa_next_free_sgpr 64
		.amdhsa_accum_offset 44
		.amdhsa_reserve_vcc 1
		.amdhsa_reserve_flat_scratch 0
		.amdhsa_float_round_mode_32 0
		.amdhsa_float_round_mode_16_64 0
		.amdhsa_float_denorm_mode_32 3
		.amdhsa_float_denorm_mode_16_64 3
		.amdhsa_dx10_clamp 1
		.amdhsa_ieee_mode 1
		.amdhsa_fp16_overflow 0
		.amdhsa_tg_split 0
		.amdhsa_exception_fp_ieee_invalid_op 0
		.amdhsa_exception_fp_denorm_src 0
		.amdhsa_exception_fp_ieee_div_zero 0
		.amdhsa_exception_fp_ieee_overflow 0
		.amdhsa_exception_fp_ieee_underflow 0
		.amdhsa_exception_fp_ieee_inexact 0
		.amdhsa_exception_int_div_zero 0
	.end_amdhsa_kernel
	.section	.text._ZN9rocsparseL35bsr2csr_block_per_row_33_256_kernelILj1024ELj128ELj32ElliEEv20rocsparse_direction_T4_S2_21rocsparse_index_base_PKT2_PKT3_PKS2_S2_S3_PS4_PS7_PS2_,"axG",@progbits,_ZN9rocsparseL35bsr2csr_block_per_row_33_256_kernelILj1024ELj128ELj32ElliEEv20rocsparse_direction_T4_S2_21rocsparse_index_base_PKT2_PKT3_PKS2_S2_S3_PS4_PS7_PS2_,comdat
.Lfunc_end76:
	.size	_ZN9rocsparseL35bsr2csr_block_per_row_33_256_kernelILj1024ELj128ELj32ElliEEv20rocsparse_direction_T4_S2_21rocsparse_index_base_PKT2_PKT3_PKS2_S2_S3_PS4_PS7_PS2_, .Lfunc_end76-_ZN9rocsparseL35bsr2csr_block_per_row_33_256_kernelILj1024ELj128ELj32ElliEEv20rocsparse_direction_T4_S2_21rocsparse_index_base_PKT2_PKT3_PKS2_S2_S3_PS4_PS7_PS2_
                                        ; -- End function
	.section	.AMDGPU.csdata,"",@progbits
; Kernel info:
; codeLenInByte = 3416
; NumSgprs: 68
; NumVgprs: 44
; NumAgprs: 0
; TotalNumVgprs: 44
; ScratchSize: 0
; MemoryBound: 0
; FloatMode: 240
; IeeeMode: 1
; LDSByteSize: 0 bytes/workgroup (compile time only)
; SGPRBlocks: 8
; VGPRBlocks: 5
; NumSGPRsForWavesPerEU: 68
; NumVGPRsForWavesPerEU: 44
; AccumOffset: 44
; Occupancy: 8
; WaveLimiterHint : 1
; COMPUTE_PGM_RSRC2:SCRATCH_EN: 0
; COMPUTE_PGM_RSRC2:USER_SGPR: 6
; COMPUTE_PGM_RSRC2:TRAP_HANDLER: 0
; COMPUTE_PGM_RSRC2:TGID_X_EN: 1
; COMPUTE_PGM_RSRC2:TGID_Y_EN: 0
; COMPUTE_PGM_RSRC2:TGID_Z_EN: 0
; COMPUTE_PGM_RSRC2:TIDIG_COMP_CNT: 0
; COMPUTE_PGM_RSRC3_GFX90A:ACCUM_OFFSET: 10
; COMPUTE_PGM_RSRC3_GFX90A:TG_SPLIT: 0
	.section	.text._ZN9rocsparseL35bsr2csr_block_per_row_33_256_kernelILj1024ELj256ELj32ElliEEv20rocsparse_direction_T4_S2_21rocsparse_index_base_PKT2_PKT3_PKS2_S2_S3_PS4_PS7_PS2_,"axG",@progbits,_ZN9rocsparseL35bsr2csr_block_per_row_33_256_kernelILj1024ELj256ELj32ElliEEv20rocsparse_direction_T4_S2_21rocsparse_index_base_PKT2_PKT3_PKS2_S2_S3_PS4_PS7_PS2_,comdat
	.globl	_ZN9rocsparseL35bsr2csr_block_per_row_33_256_kernelILj1024ELj256ELj32ElliEEv20rocsparse_direction_T4_S2_21rocsparse_index_base_PKT2_PKT3_PKS2_S2_S3_PS4_PS7_PS2_ ; -- Begin function _ZN9rocsparseL35bsr2csr_block_per_row_33_256_kernelILj1024ELj256ELj32ElliEEv20rocsparse_direction_T4_S2_21rocsparse_index_base_PKT2_PKT3_PKS2_S2_S3_PS4_PS7_PS2_
	.p2align	8
	.type	_ZN9rocsparseL35bsr2csr_block_per_row_33_256_kernelILj1024ELj256ELj32ElliEEv20rocsparse_direction_T4_S2_21rocsparse_index_base_PKT2_PKT3_PKS2_S2_S3_PS4_PS7_PS2_,@function
_ZN9rocsparseL35bsr2csr_block_per_row_33_256_kernelILj1024ELj256ELj32ElliEEv20rocsparse_direction_T4_S2_21rocsparse_index_base_PKT2_PKT3_PKS2_S2_S3_PS4_PS7_PS2_: ; @_ZN9rocsparseL35bsr2csr_block_per_row_33_256_kernelILj1024ELj256ELj32ElliEEv20rocsparse_direction_T4_S2_21rocsparse_index_base_PKT2_PKT3_PKS2_S2_S3_PS4_PS7_PS2_
; %bb.0:
	s_load_dwordx2 s[0:1], s[4:5], 0x18
	s_load_dwordx2 s[36:37], s[4:5], 0x28
	s_load_dwordx2 s[8:9], s[4:5], 0x38
	s_ashr_i32 s7, s6, 31
	s_lshl_b64 s[2:3], s[6:7], 3
	s_waitcnt lgkmcnt(0)
	s_add_u32 s0, s0, s2
	s_addc_u32 s1, s1, s3
	s_load_dwordx4 s[20:23], s[0:1], 0x0
	v_or_b32_e32 v1, s6, v0
	s_mov_b32 s39, 0
	v_cmp_eq_u32_e32 vcc, 0, v1
	s_mov_b32 s38, s37
	s_and_saveexec_b64 s[0:1], vcc
	s_cbranch_execz .LBB77_2
; %bb.1:
	v_mov_b32_e32 v1, 0
	v_pk_mov_b32 v[2:3], s[38:39], s[38:39] op_sel:[0,1]
	global_store_dwordx2 v1, v[2:3], s[8:9]
.LBB77_2:
	s_or_b64 exec, exec, s[0:1]
	s_load_dword s1, s[4:5], 0xc
	s_mul_i32 s37, s36, s36
                                        ; implicit-def: $vgpr80 : SGPR spill to VGPR lane
	v_lshrrev_b32_e32 v18, 5, v0
	s_mul_i32 s28, s6, s36
	v_cmp_gt_i32_e64 s[2:3], s36, v18
	s_waitcnt lgkmcnt(0)
	s_sub_u32 s48, s20, s1
	s_subb_u32 s49, s21, 0
	s_mul_hi_u32 s0, s48, s37
	v_writelane_b32 v80, s1, 0
	s_sub_u32 s42, s22, s1
	s_mul_i32 s1, s49, s37
	s_subb_u32 s43, s23, 0
	s_add_i32 s45, s0, s1
	s_sub_u32 s39, s42, s48
	s_subb_u32 s33, s43, s49
	s_mul_i32 s0, s33, s36
	s_mul_hi_u32 s1, s39, s36
	s_mul_i32 s44, s48, s37
	s_add_i32 s26, s1, s0
	s_add_u32 s0, s44, s38
	s_mul_i32 s27, s39, s36
	s_addc_u32 s1, s45, 0
	s_add_u32 s0, s0, s27
	s_addc_u32 s1, s1, s26
	s_and_saveexec_b64 s[6:7], s[2:3]
	s_cbranch_execz .LBB77_4
; %bb.3:
	v_pk_mov_b32 v[2:3], s[0:1], s[0:1] op_sel:[0,1]
	v_mad_u64_u32 v[2:3], s[10:11], s27, v18, v[2:3]
	v_mov_b32_e32 v4, v3
	v_mad_u64_u32 v[4:5], s[10:11], s26, v18, v[4:5]
	v_mov_b32_e32 v3, v4
	v_add_u32_e32 v4, s28, v18
	v_ashrrev_i32_e32 v5, 31, v4
	v_lshlrev_b64 v[4:5], 3, v[4:5]
	v_mov_b32_e32 v1, s9
	v_add_co_u32_e32 v4, vcc, s8, v4
	v_addc_co_u32_e32 v5, vcc, v1, v5, vcc
	global_store_dwordx2 v[4:5], v[2:3], off offset:8
.LBB77_4:
	s_or_b64 exec, exec, s[6:7]
	s_add_u32 s29, s8, 8
	v_or_b32_e32 v1, 32, v18
	s_addc_u32 s30, s9, 0
	v_cmp_gt_i32_e64 s[6:7], s36, v1
	s_and_saveexec_b64 s[8:9], s[6:7]
	s_cbranch_execz .LBB77_6
; %bb.5:
	v_pk_mov_b32 v[2:3], s[0:1], s[0:1] op_sel:[0,1]
	v_mad_u64_u32 v[2:3], s[10:11], s27, v1, v[2:3]
	v_mov_b32_e32 v4, v3
	v_mad_u64_u32 v[4:5], s[10:11], s26, v1, v[4:5]
	s_ashr_i32 s10, s28, 31
	v_mov_b32_e32 v3, v4
	v_mov_b32_e32 v5, s10
	v_add_co_u32_e32 v4, vcc, s28, v18
	v_addc_co_u32_e32 v5, vcc, 0, v5, vcc
	v_lshlrev_b64 v[4:5], 3, v[4:5]
	v_mov_b32_e32 v6, s30
	v_add_co_u32_e32 v4, vcc, s29, v4
	v_addc_co_u32_e32 v5, vcc, v6, v5, vcc
	global_store_dwordx2 v[4:5], v[2:3], off offset:256
.LBB77_6:
	s_or_b64 exec, exec, s[8:9]
	v_or_b32_e32 v19, 64, v18
	v_cmp_gt_i32_e64 s[8:9], s36, v19
	s_and_saveexec_b64 s[10:11], s[8:9]
	s_cbranch_execz .LBB77_8
; %bb.7:
	v_pk_mov_b32 v[2:3], s[0:1], s[0:1] op_sel:[0,1]
	v_mad_u64_u32 v[2:3], s[12:13], s27, v19, v[2:3]
	v_mov_b32_e32 v4, v3
	v_mad_u64_u32 v[4:5], s[12:13], s26, v19, v[4:5]
	s_ashr_i32 s12, s28, 31
	v_mov_b32_e32 v3, v4
	v_mov_b32_e32 v5, s12
	v_add_co_u32_e32 v4, vcc, s28, v18
	v_addc_co_u32_e32 v5, vcc, 0, v5, vcc
	v_lshlrev_b64 v[4:5], 3, v[4:5]
	v_mov_b32_e32 v6, s30
	v_add_co_u32_e32 v4, vcc, s29, v4
	v_addc_co_u32_e32 v5, vcc, v6, v5, vcc
	global_store_dwordx2 v[4:5], v[2:3], off offset:512
.LBB77_8:
	s_or_b64 exec, exec, s[10:11]
	v_or_b32_e32 v20, 0x60, v18
	;; [unrolled: 21-line block ×6, first 2 shown]
	v_cmp_gt_i32_e64 s[18:19], s36, v24
	s_and_saveexec_b64 s[24:25], s[18:19]
	s_cbranch_execz .LBB77_18
; %bb.17:
	v_pk_mov_b32 v[2:3], s[0:1], s[0:1] op_sel:[0,1]
	v_mad_u64_u32 v[2:3], s[0:1], s27, v24, v[2:3]
	v_mov_b32_e32 v4, v3
	v_mad_u64_u32 v[4:5], s[0:1], s26, v24, v[4:5]
	s_ashr_i32 s0, s28, 31
	v_mov_b32_e32 v3, v4
	v_mov_b32_e32 v5, s0
	v_add_co_u32_e32 v4, vcc, s28, v18
	v_addc_co_u32_e32 v5, vcc, 0, v5, vcc
	v_lshlrev_b64 v[4:5], 3, v[4:5]
	v_mov_b32_e32 v6, s30
	v_add_co_u32_e32 v4, vcc, s29, v4
	v_addc_co_u32_e32 v5, vcc, v6, v5, vcc
	global_store_dwordx2 v[4:5], v[2:3], off offset:1792
.LBB77_18:
	s_or_b64 exec, exec, s[24:25]
	v_pk_mov_b32 v[2:3], s[22:23], s[22:23] op_sel:[0,1]
	v_cmp_lt_i64_e32 vcc, s[20:21], v[2:3]
	s_cbranch_vccz .LBB77_149
; %bb.19:
	s_load_dword s0, s[4:5], 0x0
	s_load_dwordx2 s[46:47], s[4:5], 0x30
	s_load_dwordx2 s[22:23], s[4:5], 0x10
	v_and_b32_e32 v0, 31, v0
	v_cmp_gt_i32_e32 vcc, s36, v0
	v_or_b32_e32 v52, 32, v0
	s_waitcnt lgkmcnt(0)
	s_cmp_eq_u32 s0, 0
	v_writelane_b32 v80, s22, 1
	v_writelane_b32 v80, s23, 2
	s_cselect_b64 s[0:1], -1, 0
	s_and_b64 s[40:41], s[2:3], vcc
	v_cmp_gt_i32_e64 s[20:21], s36, v52
	v_writelane_b32 v80, s40, 3
	v_or_b32_e32 v53, 64, v0
	v_writelane_b32 v80, s41, 4
	s_and_b64 s[40:41], s[2:3], s[20:21]
	v_cmp_gt_i32_e64 s[22:23], s36, v53
	v_writelane_b32 v80, s40, 5
	v_or_b32_e32 v54, 0x60, v0
	v_writelane_b32 v80, s41, 6
	s_and_b64 s[40:41], s[2:3], s[22:23]
	;; [unrolled: 5-line block ×6, first 2 shown]
	v_cmp_gt_i32_e64 s[34:35], s36, v58
	v_writelane_b32 v80, s40, 15
	v_writelane_b32 v80, s41, 16
	s_and_b64 s[2:3], s[2:3], s[34:35]
	v_writelane_b32 v80, s2, 17
	v_writelane_b32 v80, s3, 18
	s_and_b64 s[2:3], s[6:7], vcc
	v_writelane_b32 v80, s2, 19
	v_writelane_b32 v80, s3, 20
	s_and_b64 s[2:3], s[6:7], s[20:21]
	v_writelane_b32 v80, s2, 21
	v_writelane_b32 v80, s3, 22
	s_and_b64 s[2:3], s[6:7], s[22:23]
	v_writelane_b32 v80, s2, 23
	v_writelane_b32 v80, s3, 24
	s_and_b64 s[2:3], s[6:7], s[24:25]
	v_writelane_b32 v80, s2, 25
	v_writelane_b32 v80, s3, 26
	s_and_b64 s[2:3], s[6:7], s[26:27]
	v_writelane_b32 v80, s2, 27
	v_writelane_b32 v80, s3, 28
	s_and_b64 s[2:3], s[6:7], s[28:29]
	v_writelane_b32 v80, s2, 29
	v_writelane_b32 v80, s3, 30
	s_and_b64 s[2:3], s[6:7], s[30:31]
	v_writelane_b32 v80, s2, 31
	v_writelane_b32 v80, s3, 32
	s_and_b64 s[2:3], s[6:7], s[34:35]
	v_writelane_b32 v80, s2, 33
	v_writelane_b32 v80, s3, 34
	s_and_b64 s[2:3], s[8:9], vcc
	v_writelane_b32 v80, s2, 35
	v_writelane_b32 v80, s3, 36
	s_and_b64 s[2:3], s[8:9], s[20:21]
	v_writelane_b32 v80, s2, 37
	v_writelane_b32 v80, s3, 38
	s_and_b64 s[2:3], s[8:9], s[22:23]
	v_writelane_b32 v80, s2, 39
	v_writelane_b32 v80, s3, 40
	s_and_b64 s[2:3], s[8:9], s[24:25]
	v_writelane_b32 v80, s2, 41
	v_writelane_b32 v80, s3, 42
	s_and_b64 s[2:3], s[8:9], s[26:27]
	v_writelane_b32 v80, s2, 43
	v_writelane_b32 v80, s3, 44
	s_and_b64 s[2:3], s[8:9], s[28:29]
	v_writelane_b32 v80, s2, 45
	v_writelane_b32 v80, s3, 46
	s_and_b64 s[2:3], s[8:9], s[30:31]
	;; [unrolled: 24-line block ×3, first 2 shown]
                                        ; implicit-def: $vgpr79 : SGPR spill to VGPR lane
	v_writelane_b32 v80, s2, 63
	v_writelane_b32 v79, s3, 0
	s_and_b64 s[2:3], s[10:11], s[34:35]
	v_writelane_b32 v79, s2, 1
	v_writelane_b32 v79, s3, 2
	s_and_b64 s[2:3], s[12:13], vcc
	v_writelane_b32 v79, s2, 3
	v_writelane_b32 v79, s3, 4
	s_and_b64 s[2:3], s[12:13], s[20:21]
	v_writelane_b32 v79, s2, 5
	v_writelane_b32 v79, s3, 6
	s_and_b64 s[2:3], s[12:13], s[22:23]
	;; [unrolled: 3-line block ×7, first 2 shown]
	v_writelane_b32 v79, s2, 17
	v_writelane_b32 v79, s3, 18
	s_and_b64 s[2:3], s[14:15], vcc
	v_writelane_b32 v79, s2, 19
	v_writelane_b32 v79, s3, 20
	s_and_b64 s[2:3], s[14:15], s[20:21]
	v_writelane_b32 v79, s2, 21
	v_writelane_b32 v79, s3, 22
	s_and_b64 s[2:3], s[14:15], s[22:23]
	v_writelane_b32 v79, s2, 23
	v_writelane_b32 v79, s3, 24
	s_and_b64 s[2:3], s[14:15], s[24:25]
	v_writelane_b32 v79, s2, 25
	v_writelane_b32 v79, s3, 26
	s_and_b64 s[2:3], s[14:15], s[26:27]
	v_writelane_b32 v79, s2, 27
	v_writelane_b32 v79, s3, 28
	s_and_b64 s[2:3], s[14:15], s[28:29]
	v_writelane_b32 v79, s2, 29
	v_writelane_b32 v79, s3, 30
	s_and_b64 s[2:3], s[14:15], s[30:31]
	v_writelane_b32 v79, s2, 31
	v_writelane_b32 v79, s3, 32
	s_and_b64 s[14:15], s[14:15], s[34:35]
	s_and_b64 s[82:83], s[16:17], vcc
	s_and_b64 s[84:85], s[16:17], s[20:21]
	s_and_b64 s[86:87], s[16:17], s[22:23]
	;; [unrolled: 1-line block ×7, first 2 shown]
	s_and_b64 s[94:95], s[18:19], vcc
	s_and_b64 s[20:21], s[18:19], s[20:21]
	s_and_b64 s[22:23], s[18:19], s[22:23]
	;; [unrolled: 1-line block ×7, first 2 shown]
	v_mad_u64_u32 v[8:9], s[2:3], s39, v20, 0
	v_mad_u64_u32 v[12:13], s[2:3], s39, v22, 0
	s_load_dwordx2 s[34:35], s[4:5], 0x20
	s_nop 0
	s_load_dwordx2 s[4:5], s[4:5], 0x40
	v_mad_u64_u32 v[2:3], s[2:3], s39, v18, 0
	v_mad_u64_u32 v[4:5], s[2:3], s39, v1, 0
	;; [unrolled: 1-line block ×6, first 2 shown]
	v_mov_b32_e32 v32, v9
	v_mov_b32_e32 v34, v13
	;; [unrolled: 1-line block ×5, first 2 shown]
	v_mad_u64_u32 v[32:33], s[2:3], s33, v20, v[32:33]
	v_mov_b32_e32 v20, v11
	v_mad_u64_u32 v[34:35], s[2:3], s33, v22, v[34:35]
	v_mov_b32_e32 v22, v15
	v_mov_b32_e32 v36, v17
	v_mad_u64_u32 v[26:27], s[2:3], s33, v18, v[26:27]
	v_mad_u64_u32 v[28:29], s[2:3], s33, v1, v[28:29]
	;; [unrolled: 1-line block ×6, first 2 shown]
	s_lshl_b32 s2, s36, 5
	s_waitcnt lgkmcnt(0)
	s_add_u32 s39, s4, 0x80
	s_addc_u32 s33, s5, 0
	s_add_u32 s52, s46, 0x100
	s_addc_u32 s53, s47, 0
	;; [unrolled: 2-line block ×4, first 2 shown]
	s_add_u32 s10, s4, 0x180
	v_mul_lo_u32 v36, v0, s36
	v_mul_lo_u32 v60, v18, s36
	s_addc_u32 s11, s5, 0
	v_add_u32_e32 v38, s2, v36
	v_add_u32_e32 v62, s2, v60
	s_add_u32 s58, s46, 0x300
	v_add_u32_e32 v40, s2, v38
	v_add_u32_e32 v64, s2, v62
	s_addc_u32 s59, s47, 0
	v_add_u32_e32 v42, s2, v40
	v_add_u32_e32 v66, s2, v64
	s_add_u32 s60, s4, 0x200
	v_add_u32_e32 v44, s2, v42
	v_add_u32_e32 v68, s2, v66
	;; [unrolled: 6-line block ×3, first 2 shown]
	s_addc_u32 s63, s47, 0
	v_add_u32_e32 v50, s2, v48
	v_add_u32_e32 v74, s2, v72
	s_add_u32 s2, s4, 0x280
	s_addc_u32 s3, s5, 0
	s_add_u32 s64, s46, 0x500
	s_addc_u32 s65, s47, 0
	;; [unrolled: 2-line block ×4, first 2 shown]
	s_add_u32 s12, s4, 0x380
	v_mov_b32_e32 v37, 0
	s_addc_u32 s13, s5, 0
	v_mov_b32_e32 v39, v37
	v_mov_b32_e32 v41, v37
	;; [unrolled: 1-line block ×15, first 2 shown]
	s_add_u32 s70, s46, 0x700
	v_mov_b32_e32 v1, v26
	v_mov_b32_e32 v3, v28
	;; [unrolled: 1-line block ×8, first 2 shown]
	v_lshlrev_b32_e32 v59, 3, v18
	v_lshlrev_b64 v[18:19], 3, v[60:61]
	v_lshlrev_b64 v[20:21], 3, v[62:63]
	;; [unrolled: 1-line block ×16, first 2 shown]
	s_addc_u32 s71, s47, 0
	s_movk_i32 s72, 0x100
	s_movk_i32 s73, 0x200
	;; [unrolled: 1-line block ×7, first 2 shown]
	s_mov_b64 s[40:41], s[48:49]
	s_branch .LBB77_21
.LBB77_20:                              ;   in Loop: Header=BB77_21 Depth=1
	s_or_b64 exec, exec, s[50:51]
	s_add_u32 s40, s40, 1
	s_addc_u32 s41, s41, 0
	v_pk_mov_b32 v[50:51], s[42:43], s[42:43] op_sel:[0,1]
	v_cmp_ge_i64_e32 vcc, s[40:41], v[50:51]
	s_cbranch_vccnz .LBB77_149
.LBB77_21:                              ; =>This Inner Loop Header: Depth=1
	s_lshl_b64 s[50:51], s[40:41], 2
	s_add_u32 s50, s34, s50
	s_addc_u32 s51, s35, s51
	s_load_dword s7, s[50:51], 0x0
	v_readlane_b32 s78, v80, 0
	s_mul_i32 s50, s41, s37
	s_mul_hi_u32 s51, s40, s37
	v_readlane_b32 vcc_lo, v80, 1
	s_waitcnt lgkmcnt(0)
	s_sub_i32 s7, s7, s78
	s_sub_u32 s78, s40, s48
	s_mul_i32 s81, s7, s36
	s_subb_u32 s80, s41, s49
	s_add_i32 s51, s51, s50
	s_mul_i32 s50, s40, s37
	s_add_i32 s81, s81, s38
	s_lshl_b64 s[50:51], s[50:51], 3
	v_readlane_b32 vcc_hi, v80, 2
	s_add_u32 s7, vcc_lo, s50
	s_addc_u32 s79, vcc_hi, s51
	v_add_co_u32_e32 v60, vcc, s78, v2
	v_pk_mov_b32 v[50:51], s[44:45], s[44:45] op_sel:[0,1]
	v_mov_b32_e32 v17, s80
	v_mad_u64_u32 v[50:51], s[50:51], v60, s36, v[50:51]
	v_addc_co_u32_e32 v17, vcc, v1, v17, vcc
	v_mov_b32_e32 v60, v51
	v_mad_u64_u32 v[60:61], s[50:51], v17, s36, v[60:61]
	v_mov_b32_e32 v17, v60
	v_mov_b32_e32 v51, s79
	v_add_co_u32_e32 v60, vcc, s7, v59
	v_addc_co_u32_e32 v61, vcc, 0, v51, vcc
	v_mov_b32_e32 v62, s79
	v_add_co_u32_e32 v51, vcc, s7, v18
	v_add_u32_e32 v63, s81, v0
	v_addc_co_u32_e32 v71, vcc, v62, v19, vcc
	v_lshlrev_b32_e32 v62, 3, v0
	s_mov_b64 s[50:51], exec
	v_readlane_b32 vcc_lo, v80, 3
	v_readlane_b32 vcc_hi, v80, 4
	s_and_b64 vcc, s[50:51], vcc
	s_mov_b64 exec, vcc
	s_cbranch_execz .LBB77_23
; %bb.22:                               ;   in Loop: Header=BB77_21 Depth=1
	v_add_co_u32_e32 v64, vcc, v51, v62
	v_addc_co_u32_e32 v65, vcc, 0, v71, vcc
	v_add_co_u32_e32 v66, vcc, v60, v34
	v_addc_co_u32_e32 v67, vcc, v61, v35, vcc
	v_cndmask_b32_e64 v65, v67, v65, s[0:1]
	v_cndmask_b32_e64 v64, v66, v64, s[0:1]
	global_load_dwordx2 v[64:65], v[64:65], off
	v_add_co_u32_e32 v66, vcc, v50, v0
	v_addc_co_u32_e32 v67, vcc, 0, v17, vcc
	v_lshlrev_b64 v[68:69], 2, v[66:67]
	v_mov_b32_e32 v70, s5
	v_add_co_u32_e32 v68, vcc, s4, v68
	v_addc_co_u32_e32 v69, vcc, v70, v69, vcc
	v_lshlrev_b64 v[66:67], 3, v[66:67]
	global_store_dword v[68:69], v63, off
	v_mov_b32_e32 v68, s47
	v_add_co_u32_e32 v66, vcc, s46, v66
	v_addc_co_u32_e32 v67, vcc, v68, v67, vcc
	s_waitcnt vmcnt(1)
	global_store_dwordx2 v[66:67], v[64:65], off
.LBB77_23:                              ;   in Loop: Header=BB77_21 Depth=1
	s_or_b64 exec, exec, s[50:51]
	v_add_u32_e32 v69, s81, v52
	s_mov_b64 s[50:51], exec
	v_readlane_b32 vcc_lo, v80, 5
	v_readlane_b32 vcc_hi, v80, 6
	s_and_b64 vcc, s[50:51], vcc
	s_mov_b64 exec, vcc
	s_cbranch_execz .LBB77_25
; %bb.24:                               ;   in Loop: Header=BB77_21 Depth=1
	v_add_co_u32_e32 v64, vcc, v51, v62
	v_addc_co_u32_e32 v65, vcc, 0, v71, vcc
	v_add_co_u32_e32 v64, vcc, s72, v64
	v_addc_co_u32_e32 v65, vcc, 0, v65, vcc
	v_add_co_u32_e32 v66, vcc, v60, v36
	v_addc_co_u32_e32 v67, vcc, v61, v37, vcc
	v_cndmask_b32_e64 v65, v67, v65, s[0:1]
	v_cndmask_b32_e64 v64, v66, v64, s[0:1]
	global_load_dwordx2 v[64:65], v[64:65], off
	v_add_co_u32_e32 v66, vcc, v50, v0
	v_addc_co_u32_e32 v67, vcc, 0, v17, vcc
	v_lshlrev_b64 v[72:73], 2, v[66:67]
	v_mov_b32_e32 v68, s33
	v_add_co_u32_e32 v72, vcc, s39, v72
	v_addc_co_u32_e32 v73, vcc, v68, v73, vcc
	v_lshlrev_b64 v[66:67], 3, v[66:67]
	v_mov_b32_e32 v68, s53
	v_add_co_u32_e32 v66, vcc, s52, v66
	v_addc_co_u32_e32 v67, vcc, v68, v67, vcc
	global_store_dword v[72:73], v69, off
	s_waitcnt vmcnt(1)
	global_store_dwordx2 v[66:67], v[64:65], off
.LBB77_25:                              ;   in Loop: Header=BB77_21 Depth=1
	s_or_b64 exec, exec, s[50:51]
	v_add_u32_e32 v68, s81, v53
	s_mov_b64 s[50:51], exec
	v_readlane_b32 vcc_lo, v80, 7
	v_readlane_b32 vcc_hi, v80, 8
	s_and_b64 vcc, s[50:51], vcc
	s_mov_b64 exec, vcc
	s_cbranch_execz .LBB77_27
; %bb.26:                               ;   in Loop: Header=BB77_21 Depth=1
	v_add_co_u32_e32 v64, vcc, v51, v62
	v_addc_co_u32_e32 v65, vcc, 0, v71, vcc
	v_add_co_u32_e32 v64, vcc, s73, v64
	v_addc_co_u32_e32 v65, vcc, 0, v65, vcc
	v_add_co_u32_e32 v66, vcc, v60, v38
	v_addc_co_u32_e32 v67, vcc, v61, v39, vcc
	v_cndmask_b32_e64 v65, v67, v65, s[0:1]
	v_cndmask_b32_e64 v64, v66, v64, s[0:1]
	global_load_dwordx2 v[64:65], v[64:65], off
	v_add_co_u32_e32 v66, vcc, v50, v0
	v_addc_co_u32_e32 v67, vcc, 0, v17, vcc
	v_lshlrev_b64 v[72:73], 2, v[66:67]
	v_mov_b32_e32 v70, s55
	v_add_co_u32_e32 v72, vcc, s54, v72
	v_addc_co_u32_e32 v73, vcc, v70, v73, vcc
	v_lshlrev_b64 v[66:67], 3, v[66:67]
	v_mov_b32_e32 v70, s57
	v_add_co_u32_e32 v66, vcc, s56, v66
	v_addc_co_u32_e32 v67, vcc, v70, v67, vcc
	global_store_dword v[72:73], v68, off
	s_waitcnt vmcnt(1)
	global_store_dwordx2 v[66:67], v[64:65], off
.LBB77_27:                              ;   in Loop: Header=BB77_21 Depth=1
	;; [unrolled: 32-line block ×7, first 2 shown]
	s_or_b64 exec, exec, s[50:51]
	v_add_co_u32_e32 v71, vcc, s78, v4
	v_pk_mov_b32 v[50:51], s[44:45], s[44:45] op_sel:[0,1]
	v_mov_b32_e32 v17, s80
	v_mad_u64_u32 v[50:51], s[50:51], v71, s36, v[50:51]
	v_addc_co_u32_e32 v17, vcc, v3, v17, vcc
	v_mov_b32_e32 v72, v51
	v_mad_u64_u32 v[72:73], s[50:51], v17, s36, v[72:73]
	v_mov_b32_e32 v71, s79
	v_add_co_u32_e32 v51, vcc, s7, v20
	v_mov_b32_e32 v17, v72
	v_addc_co_u32_e32 v71, vcc, v71, v21, vcc
	s_mov_b64 s[50:51], exec
	v_readlane_b32 vcc_lo, v80, 19
	v_readlane_b32 vcc_hi, v80, 20
	s_and_b64 vcc, s[50:51], vcc
	s_mov_b64 exec, vcc
	s_cbranch_execz .LBB77_39
; %bb.38:                               ;   in Loop: Header=BB77_21 Depth=1
	v_add_co_u32_e32 v72, vcc, v51, v62
	v_addc_co_u32_e32 v73, vcc, 0, v71, vcc
	v_add_co_u32_e32 v74, vcc, v60, v34
	v_addc_co_u32_e32 v75, vcc, v61, v35, vcc
	;; [unrolled: 2-line block ×3, first 2 shown]
	v_cndmask_b32_e64 v73, v75, v73, s[0:1]
	v_cndmask_b32_e64 v72, v74, v72, s[0:1]
	global_load_dwordx2 v[72:73], v[72:73], off
	v_add_co_u32_e32 v74, vcc, v50, v0
	v_addc_co_u32_e32 v75, vcc, 0, v17, vcc
	v_lshlrev_b64 v[76:77], 2, v[74:75]
	v_mov_b32_e32 v78, s5
	v_add_co_u32_e32 v76, vcc, s4, v76
	v_addc_co_u32_e32 v77, vcc, v78, v77, vcc
	v_lshlrev_b64 v[74:75], 3, v[74:75]
	global_store_dword v[76:77], v63, off
	v_mov_b32_e32 v76, s47
	v_add_co_u32_e32 v74, vcc, s46, v74
	v_addc_co_u32_e32 v75, vcc, v76, v75, vcc
	s_waitcnt vmcnt(1)
	global_store_dwordx2 v[74:75], v[72:73], off
.LBB77_39:                              ;   in Loop: Header=BB77_21 Depth=1
	s_or_b64 exec, exec, s[50:51]
	s_mov_b64 s[50:51], exec
	v_readlane_b32 vcc_lo, v80, 21
	v_readlane_b32 vcc_hi, v80, 22
	s_and_b64 vcc, s[50:51], vcc
	s_mov_b64 exec, vcc
	s_cbranch_execz .LBB77_41
; %bb.40:                               ;   in Loop: Header=BB77_21 Depth=1
	v_add_co_u32_e32 v72, vcc, v51, v62
	v_addc_co_u32_e32 v73, vcc, 0, v71, vcc
	v_add_co_u32_e32 v74, vcc, v60, v36
	v_addc_co_u32_e32 v75, vcc, v61, v37, vcc
	v_cndmask_b32_e64 v73, v75, v73, s[0:1]
	v_cndmask_b32_e64 v72, v74, v72, s[0:1]
	global_load_dwordx2 v[72:73], v[72:73], off offset:256
	v_add_co_u32_e32 v74, vcc, v50, v0
	v_addc_co_u32_e32 v75, vcc, 0, v17, vcc
	v_lshlrev_b64 v[76:77], 2, v[74:75]
	v_mov_b32_e32 v78, s33
	v_add_co_u32_e32 v76, vcc, s39, v76
	v_addc_co_u32_e32 v77, vcc, v78, v77, vcc
	v_lshlrev_b64 v[74:75], 3, v[74:75]
	global_store_dword v[76:77], v69, off
	v_mov_b32_e32 v76, s53
	v_add_co_u32_e32 v74, vcc, s52, v74
	v_addc_co_u32_e32 v75, vcc, v76, v75, vcc
	s_waitcnt vmcnt(1)
	global_store_dwordx2 v[74:75], v[72:73], off
.LBB77_41:                              ;   in Loop: Header=BB77_21 Depth=1
	s_or_b64 exec, exec, s[50:51]
	s_mov_b64 s[50:51], exec
	v_readlane_b32 vcc_lo, v80, 23
	v_readlane_b32 vcc_hi, v80, 24
	s_and_b64 vcc, s[50:51], vcc
	s_mov_b64 exec, vcc
	s_cbranch_execz .LBB77_43
; %bb.42:                               ;   in Loop: Header=BB77_21 Depth=1
	v_add_co_u32_e32 v72, vcc, v51, v62
	v_addc_co_u32_e32 v73, vcc, 0, v71, vcc
	v_add_co_u32_e32 v72, vcc, s73, v72
	v_addc_co_u32_e32 v73, vcc, 0, v73, vcc
	v_add_co_u32_e32 v74, vcc, v60, v38
	v_addc_co_u32_e32 v75, vcc, v61, v39, vcc
	v_add_co_u32_e32 v74, vcc, 0x100, v74
	v_addc_co_u32_e32 v75, vcc, 0, v75, vcc
	v_cndmask_b32_e64 v73, v75, v73, s[0:1]
	v_cndmask_b32_e64 v72, v74, v72, s[0:1]
	global_load_dwordx2 v[72:73], v[72:73], off
	v_add_co_u32_e32 v74, vcc, v50, v0
	v_addc_co_u32_e32 v75, vcc, 0, v17, vcc
	v_lshlrev_b64 v[76:77], 2, v[74:75]
	v_mov_b32_e32 v78, s55
	v_add_co_u32_e32 v76, vcc, s54, v76
	v_addc_co_u32_e32 v77, vcc, v78, v77, vcc
	v_lshlrev_b64 v[74:75], 3, v[74:75]
	global_store_dword v[76:77], v68, off
	v_mov_b32_e32 v76, s57
	v_add_co_u32_e32 v74, vcc, s56, v74
	v_addc_co_u32_e32 v75, vcc, v76, v75, vcc
	s_waitcnt vmcnt(1)
	global_store_dwordx2 v[74:75], v[72:73], off
.LBB77_43:                              ;   in Loop: Header=BB77_21 Depth=1
	s_or_b64 exec, exec, s[50:51]
	s_mov_b64 s[50:51], exec
	v_readlane_b32 vcc_lo, v80, 25
	v_readlane_b32 vcc_hi, v80, 26
	s_and_b64 vcc, s[50:51], vcc
	s_mov_b64 exec, vcc
	s_cbranch_execz .LBB77_45
; %bb.44:                               ;   in Loop: Header=BB77_21 Depth=1
	v_add_co_u32_e32 v72, vcc, v51, v62
	v_addc_co_u32_e32 v73, vcc, 0, v71, vcc
	v_add_co_u32_e32 v72, vcc, s74, v72
	v_addc_co_u32_e32 v73, vcc, 0, v73, vcc
	v_add_co_u32_e32 v74, vcc, v60, v40
	v_addc_co_u32_e32 v75, vcc, v61, v41, vcc
	v_add_co_u32_e32 v74, vcc, 0x100, v74
	v_addc_co_u32_e32 v75, vcc, 0, v75, vcc
	v_cndmask_b32_e64 v73, v75, v73, s[0:1]
	v_cndmask_b32_e64 v72, v74, v72, s[0:1]
	global_load_dwordx2 v[72:73], v[72:73], off
	v_add_co_u32_e32 v74, vcc, v50, v0
	v_addc_co_u32_e32 v75, vcc, 0, v17, vcc
	v_lshlrev_b64 v[76:77], 2, v[74:75]
	v_mov_b32_e32 v78, s11
	v_add_co_u32_e32 v76, vcc, s10, v76
	v_addc_co_u32_e32 v77, vcc, v78, v77, vcc
	v_lshlrev_b64 v[74:75], 3, v[74:75]
	global_store_dword v[76:77], v67, off
	v_mov_b32_e32 v76, s59
	v_add_co_u32_e32 v74, vcc, s58, v74
	v_addc_co_u32_e32 v75, vcc, v76, v75, vcc
	s_waitcnt vmcnt(1)
	global_store_dwordx2 v[74:75], v[72:73], off
.LBB77_45:                              ;   in Loop: Header=BB77_21 Depth=1
	;; [unrolled: 33-line block ×5, first 2 shown]
	s_or_b64 exec, exec, s[50:51]
	s_mov_b64 s[50:51], exec
	v_readlane_b32 vcc_lo, v80, 33
	v_readlane_b32 vcc_hi, v80, 34
	s_and_b64 vcc, s[50:51], vcc
	s_mov_b64 exec, vcc
	s_cbranch_execz .LBB77_53
; %bb.52:                               ;   in Loop: Header=BB77_21 Depth=1
	v_add_co_u32_e32 v51, vcc, v51, v62
	v_addc_co_u32_e32 v71, vcc, 0, v71, vcc
	v_add_co_u32_e32 v51, vcc, s6, v51
	v_addc_co_u32_e32 v71, vcc, 0, v71, vcc
	;; [unrolled: 2-line block ×4, first 2 shown]
	v_cndmask_b32_e64 v73, v73, v71, s[0:1]
	v_cndmask_b32_e64 v72, v72, v51, s[0:1]
	global_load_dwordx2 v[72:73], v[72:73], off
	v_add_co_u32_e32 v50, vcc, v50, v0
	v_addc_co_u32_e32 v51, vcc, 0, v17, vcc
	v_lshlrev_b64 v[74:75], 2, v[50:51]
	v_mov_b32_e32 v17, s13
	v_add_co_u32_e32 v74, vcc, s12, v74
	v_addc_co_u32_e32 v75, vcc, v17, v75, vcc
	v_lshlrev_b64 v[50:51], 3, v[50:51]
	v_mov_b32_e32 v17, s71
	v_add_co_u32_e32 v50, vcc, s70, v50
	v_addc_co_u32_e32 v51, vcc, v17, v51, vcc
	global_store_dword v[74:75], v70, off
	s_waitcnt vmcnt(1)
	global_store_dwordx2 v[50:51], v[72:73], off
.LBB77_53:                              ;   in Loop: Header=BB77_21 Depth=1
	s_or_b64 exec, exec, s[50:51]
	v_add_co_u32_e32 v71, vcc, s78, v6
	v_pk_mov_b32 v[50:51], s[44:45], s[44:45] op_sel:[0,1]
	v_mov_b32_e32 v17, s80
	v_mad_u64_u32 v[50:51], s[50:51], v71, s36, v[50:51]
	v_addc_co_u32_e32 v17, vcc, v5, v17, vcc
	v_mov_b32_e32 v72, v51
	v_mad_u64_u32 v[72:73], s[50:51], v17, s36, v[72:73]
	v_mov_b32_e32 v71, s79
	v_add_co_u32_e32 v51, vcc, s7, v22
	v_mov_b32_e32 v17, v72
	v_addc_co_u32_e32 v71, vcc, v71, v23, vcc
	s_mov_b64 s[50:51], exec
	v_readlane_b32 vcc_lo, v80, 35
	v_readlane_b32 vcc_hi, v80, 36
	s_and_b64 vcc, s[50:51], vcc
	s_mov_b64 exec, vcc
	s_cbranch_execz .LBB77_55
; %bb.54:                               ;   in Loop: Header=BB77_21 Depth=1
	v_add_co_u32_e32 v72, vcc, v51, v62
	v_addc_co_u32_e32 v73, vcc, 0, v71, vcc
	v_add_co_u32_e32 v74, vcc, v60, v34
	v_addc_co_u32_e32 v75, vcc, v61, v35, vcc
	;; [unrolled: 2-line block ×3, first 2 shown]
	v_cndmask_b32_e64 v73, v75, v73, s[0:1]
	v_cndmask_b32_e64 v72, v74, v72, s[0:1]
	global_load_dwordx2 v[72:73], v[72:73], off
	v_add_co_u32_e32 v74, vcc, v50, v0
	v_addc_co_u32_e32 v75, vcc, 0, v17, vcc
	v_lshlrev_b64 v[76:77], 2, v[74:75]
	v_mov_b32_e32 v78, s5
	v_add_co_u32_e32 v76, vcc, s4, v76
	v_addc_co_u32_e32 v77, vcc, v78, v77, vcc
	v_lshlrev_b64 v[74:75], 3, v[74:75]
	global_store_dword v[76:77], v63, off
	v_mov_b32_e32 v76, s47
	v_add_co_u32_e32 v74, vcc, s46, v74
	v_addc_co_u32_e32 v75, vcc, v76, v75, vcc
	s_waitcnt vmcnt(1)
	global_store_dwordx2 v[74:75], v[72:73], off
.LBB77_55:                              ;   in Loop: Header=BB77_21 Depth=1
	s_or_b64 exec, exec, s[50:51]
	s_mov_b64 s[50:51], exec
	v_readlane_b32 vcc_lo, v80, 37
	v_readlane_b32 vcc_hi, v80, 38
	s_and_b64 vcc, s[50:51], vcc
	s_mov_b64 exec, vcc
	s_cbranch_execz .LBB77_57
; %bb.56:                               ;   in Loop: Header=BB77_21 Depth=1
	v_add_co_u32_e32 v72, vcc, v51, v62
	v_addc_co_u32_e32 v73, vcc, 0, v71, vcc
	v_add_co_u32_e32 v72, vcc, s72, v72
	v_addc_co_u32_e32 v73, vcc, 0, v73, vcc
	;; [unrolled: 2-line block ×4, first 2 shown]
	v_cndmask_b32_e64 v73, v75, v73, s[0:1]
	v_cndmask_b32_e64 v72, v74, v72, s[0:1]
	global_load_dwordx2 v[72:73], v[72:73], off
	v_add_co_u32_e32 v74, vcc, v50, v0
	v_addc_co_u32_e32 v75, vcc, 0, v17, vcc
	v_lshlrev_b64 v[76:77], 2, v[74:75]
	v_mov_b32_e32 v78, s33
	v_add_co_u32_e32 v76, vcc, s39, v76
	v_addc_co_u32_e32 v77, vcc, v78, v77, vcc
	v_lshlrev_b64 v[74:75], 3, v[74:75]
	global_store_dword v[76:77], v69, off
	v_mov_b32_e32 v76, s53
	v_add_co_u32_e32 v74, vcc, s52, v74
	v_addc_co_u32_e32 v75, vcc, v76, v75, vcc
	s_waitcnt vmcnt(1)
	global_store_dwordx2 v[74:75], v[72:73], off
.LBB77_57:                              ;   in Loop: Header=BB77_21 Depth=1
	s_or_b64 exec, exec, s[50:51]
	s_mov_b64 s[50:51], exec
	v_readlane_b32 vcc_lo, v80, 39
	v_readlane_b32 vcc_hi, v80, 40
	s_and_b64 vcc, s[50:51], vcc
	s_mov_b64 exec, vcc
	s_cbranch_execz .LBB77_59
; %bb.58:                               ;   in Loop: Header=BB77_21 Depth=1
	v_add_co_u32_e32 v72, vcc, v51, v62
	v_addc_co_u32_e32 v73, vcc, 0, v71, vcc
	v_add_co_u32_e32 v74, vcc, v60, v38
	v_addc_co_u32_e32 v75, vcc, v61, v39, vcc
	v_cndmask_b32_e64 v73, v75, v73, s[0:1]
	v_cndmask_b32_e64 v72, v74, v72, s[0:1]
	global_load_dwordx2 v[72:73], v[72:73], off offset:512
	v_add_co_u32_e32 v74, vcc, v50, v0
	v_addc_co_u32_e32 v75, vcc, 0, v17, vcc
	v_lshlrev_b64 v[76:77], 2, v[74:75]
	v_mov_b32_e32 v78, s55
	v_add_co_u32_e32 v76, vcc, s54, v76
	v_addc_co_u32_e32 v77, vcc, v78, v77, vcc
	v_lshlrev_b64 v[74:75], 3, v[74:75]
	global_store_dword v[76:77], v68, off
	v_mov_b32_e32 v76, s57
	v_add_co_u32_e32 v74, vcc, s56, v74
	v_addc_co_u32_e32 v75, vcc, v76, v75, vcc
	s_waitcnt vmcnt(1)
	global_store_dwordx2 v[74:75], v[72:73], off
.LBB77_59:                              ;   in Loop: Header=BB77_21 Depth=1
	s_or_b64 exec, exec, s[50:51]
	s_mov_b64 s[50:51], exec
	v_readlane_b32 vcc_lo, v80, 41
	v_readlane_b32 vcc_hi, v80, 42
	s_and_b64 vcc, s[50:51], vcc
	s_mov_b64 exec, vcc
	s_cbranch_execz .LBB77_61
; %bb.60:                               ;   in Loop: Header=BB77_21 Depth=1
	v_add_co_u32_e32 v72, vcc, v51, v62
	v_addc_co_u32_e32 v73, vcc, 0, v71, vcc
	v_add_co_u32_e32 v72, vcc, s74, v72
	v_addc_co_u32_e32 v73, vcc, 0, v73, vcc
	v_add_co_u32_e32 v74, vcc, v60, v40
	v_addc_co_u32_e32 v75, vcc, v61, v41, vcc
	v_add_co_u32_e32 v74, vcc, 0x200, v74
	v_addc_co_u32_e32 v75, vcc, 0, v75, vcc
	v_cndmask_b32_e64 v73, v75, v73, s[0:1]
	v_cndmask_b32_e64 v72, v74, v72, s[0:1]
	global_load_dwordx2 v[72:73], v[72:73], off
	v_add_co_u32_e32 v74, vcc, v50, v0
	v_addc_co_u32_e32 v75, vcc, 0, v17, vcc
	v_lshlrev_b64 v[76:77], 2, v[74:75]
	v_mov_b32_e32 v78, s11
	v_add_co_u32_e32 v76, vcc, s10, v76
	v_addc_co_u32_e32 v77, vcc, v78, v77, vcc
	v_lshlrev_b64 v[74:75], 3, v[74:75]
	global_store_dword v[76:77], v67, off
	v_mov_b32_e32 v76, s59
	v_add_co_u32_e32 v74, vcc, s58, v74
	v_addc_co_u32_e32 v75, vcc, v76, v75, vcc
	s_waitcnt vmcnt(1)
	global_store_dwordx2 v[74:75], v[72:73], off
.LBB77_61:                              ;   in Loop: Header=BB77_21 Depth=1
	s_or_b64 exec, exec, s[50:51]
	s_mov_b64 s[50:51], exec
	v_readlane_b32 vcc_lo, v80, 43
	v_readlane_b32 vcc_hi, v80, 44
	s_and_b64 vcc, s[50:51], vcc
	s_mov_b64 exec, vcc
	s_cbranch_execz .LBB77_63
; %bb.62:                               ;   in Loop: Header=BB77_21 Depth=1
	v_add_co_u32_e32 v72, vcc, v51, v62
	v_addc_co_u32_e32 v73, vcc, 0, v71, vcc
	v_add_co_u32_e32 v72, vcc, s75, v72
	v_addc_co_u32_e32 v73, vcc, 0, v73, vcc
	v_add_co_u32_e32 v74, vcc, v60, v42
	v_addc_co_u32_e32 v75, vcc, v61, v43, vcc
	v_add_co_u32_e32 v74, vcc, 0x200, v74
	v_addc_co_u32_e32 v75, vcc, 0, v75, vcc
	v_cndmask_b32_e64 v73, v75, v73, s[0:1]
	v_cndmask_b32_e64 v72, v74, v72, s[0:1]
	global_load_dwordx2 v[72:73], v[72:73], off
	v_add_co_u32_e32 v74, vcc, v50, v0
	v_addc_co_u32_e32 v75, vcc, 0, v17, vcc
	v_lshlrev_b64 v[76:77], 2, v[74:75]
	v_mov_b32_e32 v78, s61
	v_add_co_u32_e32 v76, vcc, s60, v76
	v_addc_co_u32_e32 v77, vcc, v78, v77, vcc
	v_lshlrev_b64 v[74:75], 3, v[74:75]
	global_store_dword v[76:77], v66, off
	v_mov_b32_e32 v76, s63
	v_add_co_u32_e32 v74, vcc, s62, v74
	v_addc_co_u32_e32 v75, vcc, v76, v75, vcc
	s_waitcnt vmcnt(1)
	global_store_dwordx2 v[74:75], v[72:73], off
.LBB77_63:                              ;   in Loop: Header=BB77_21 Depth=1
	;; [unrolled: 33-line block ×4, first 2 shown]
	s_or_b64 exec, exec, s[50:51]
	s_mov_b64 s[50:51], exec
	v_readlane_b32 vcc_lo, v80, 49
	v_readlane_b32 vcc_hi, v80, 50
	s_and_b64 vcc, s[50:51], vcc
	s_mov_b64 exec, vcc
	s_cbranch_execz .LBB77_69
; %bb.68:                               ;   in Loop: Header=BB77_21 Depth=1
	v_add_co_u32_e32 v51, vcc, v51, v62
	v_addc_co_u32_e32 v71, vcc, 0, v71, vcc
	v_add_co_u32_e32 v51, vcc, s6, v51
	v_addc_co_u32_e32 v71, vcc, 0, v71, vcc
	;; [unrolled: 2-line block ×4, first 2 shown]
	v_cndmask_b32_e64 v73, v73, v71, s[0:1]
	v_cndmask_b32_e64 v72, v72, v51, s[0:1]
	global_load_dwordx2 v[72:73], v[72:73], off
	v_add_co_u32_e32 v50, vcc, v50, v0
	v_addc_co_u32_e32 v51, vcc, 0, v17, vcc
	v_lshlrev_b64 v[74:75], 2, v[50:51]
	v_mov_b32_e32 v17, s13
	v_add_co_u32_e32 v74, vcc, s12, v74
	v_addc_co_u32_e32 v75, vcc, v17, v75, vcc
	v_lshlrev_b64 v[50:51], 3, v[50:51]
	v_mov_b32_e32 v17, s71
	v_add_co_u32_e32 v50, vcc, s70, v50
	v_addc_co_u32_e32 v51, vcc, v17, v51, vcc
	global_store_dword v[74:75], v70, off
	s_waitcnt vmcnt(1)
	global_store_dwordx2 v[50:51], v[72:73], off
.LBB77_69:                              ;   in Loop: Header=BB77_21 Depth=1
	s_or_b64 exec, exec, s[50:51]
	v_add_co_u32_e32 v71, vcc, s78, v8
	v_pk_mov_b32 v[50:51], s[44:45], s[44:45] op_sel:[0,1]
	v_mov_b32_e32 v17, s80
	v_mad_u64_u32 v[50:51], s[50:51], v71, s36, v[50:51]
	v_addc_co_u32_e32 v17, vcc, v7, v17, vcc
	v_mov_b32_e32 v72, v51
	v_mad_u64_u32 v[72:73], s[50:51], v17, s36, v[72:73]
	v_mov_b32_e32 v71, s79
	v_add_co_u32_e32 v51, vcc, s7, v24
	v_mov_b32_e32 v17, v72
	v_addc_co_u32_e32 v71, vcc, v71, v25, vcc
	s_mov_b64 s[50:51], exec
	v_readlane_b32 vcc_lo, v80, 51
	v_readlane_b32 vcc_hi, v80, 52
	s_and_b64 vcc, s[50:51], vcc
	s_mov_b64 exec, vcc
	s_cbranch_execz .LBB77_71
; %bb.70:                               ;   in Loop: Header=BB77_21 Depth=1
	v_add_co_u32_e32 v72, vcc, v51, v62
	v_addc_co_u32_e32 v73, vcc, 0, v71, vcc
	v_add_co_u32_e32 v74, vcc, v60, v34
	v_addc_co_u32_e32 v75, vcc, v61, v35, vcc
	;; [unrolled: 2-line block ×3, first 2 shown]
	v_cndmask_b32_e64 v73, v75, v73, s[0:1]
	v_cndmask_b32_e64 v72, v74, v72, s[0:1]
	global_load_dwordx2 v[72:73], v[72:73], off
	v_add_co_u32_e32 v74, vcc, v50, v0
	v_addc_co_u32_e32 v75, vcc, 0, v17, vcc
	v_lshlrev_b64 v[76:77], 2, v[74:75]
	v_mov_b32_e32 v78, s5
	v_add_co_u32_e32 v76, vcc, s4, v76
	v_addc_co_u32_e32 v77, vcc, v78, v77, vcc
	v_lshlrev_b64 v[74:75], 3, v[74:75]
	global_store_dword v[76:77], v63, off
	v_mov_b32_e32 v76, s47
	v_add_co_u32_e32 v74, vcc, s46, v74
	v_addc_co_u32_e32 v75, vcc, v76, v75, vcc
	s_waitcnt vmcnt(1)
	global_store_dwordx2 v[74:75], v[72:73], off
.LBB77_71:                              ;   in Loop: Header=BB77_21 Depth=1
	s_or_b64 exec, exec, s[50:51]
	s_mov_b64 s[50:51], exec
	v_readlane_b32 vcc_lo, v80, 53
	v_readlane_b32 vcc_hi, v80, 54
	s_and_b64 vcc, s[50:51], vcc
	s_mov_b64 exec, vcc
	s_cbranch_execz .LBB77_73
; %bb.72:                               ;   in Loop: Header=BB77_21 Depth=1
	v_add_co_u32_e32 v72, vcc, v51, v62
	v_addc_co_u32_e32 v73, vcc, 0, v71, vcc
	v_add_co_u32_e32 v72, vcc, s72, v72
	v_addc_co_u32_e32 v73, vcc, 0, v73, vcc
	;; [unrolled: 2-line block ×4, first 2 shown]
	v_cndmask_b32_e64 v73, v75, v73, s[0:1]
	v_cndmask_b32_e64 v72, v74, v72, s[0:1]
	global_load_dwordx2 v[72:73], v[72:73], off
	v_add_co_u32_e32 v74, vcc, v50, v0
	v_addc_co_u32_e32 v75, vcc, 0, v17, vcc
	v_lshlrev_b64 v[76:77], 2, v[74:75]
	v_mov_b32_e32 v78, s33
	v_add_co_u32_e32 v76, vcc, s39, v76
	v_addc_co_u32_e32 v77, vcc, v78, v77, vcc
	v_lshlrev_b64 v[74:75], 3, v[74:75]
	global_store_dword v[76:77], v69, off
	v_mov_b32_e32 v76, s53
	v_add_co_u32_e32 v74, vcc, s52, v74
	v_addc_co_u32_e32 v75, vcc, v76, v75, vcc
	s_waitcnt vmcnt(1)
	global_store_dwordx2 v[74:75], v[72:73], off
.LBB77_73:                              ;   in Loop: Header=BB77_21 Depth=1
	s_or_b64 exec, exec, s[50:51]
	s_mov_b64 s[50:51], exec
	v_readlane_b32 vcc_lo, v80, 55
	v_readlane_b32 vcc_hi, v80, 56
	s_and_b64 vcc, s[50:51], vcc
	s_mov_b64 exec, vcc
	s_cbranch_execz .LBB77_75
; %bb.74:                               ;   in Loop: Header=BB77_21 Depth=1
	v_add_co_u32_e32 v72, vcc, v51, v62
	v_addc_co_u32_e32 v73, vcc, 0, v71, vcc
	v_add_co_u32_e32 v72, vcc, s73, v72
	v_addc_co_u32_e32 v73, vcc, 0, v73, vcc
	;; [unrolled: 2-line block ×4, first 2 shown]
	v_cndmask_b32_e64 v73, v75, v73, s[0:1]
	v_cndmask_b32_e64 v72, v74, v72, s[0:1]
	global_load_dwordx2 v[72:73], v[72:73], off
	v_add_co_u32_e32 v74, vcc, v50, v0
	v_addc_co_u32_e32 v75, vcc, 0, v17, vcc
	v_lshlrev_b64 v[76:77], 2, v[74:75]
	v_mov_b32_e32 v78, s55
	v_add_co_u32_e32 v76, vcc, s54, v76
	v_addc_co_u32_e32 v77, vcc, v78, v77, vcc
	v_lshlrev_b64 v[74:75], 3, v[74:75]
	global_store_dword v[76:77], v68, off
	v_mov_b32_e32 v76, s57
	v_add_co_u32_e32 v74, vcc, s56, v74
	v_addc_co_u32_e32 v75, vcc, v76, v75, vcc
	s_waitcnt vmcnt(1)
	global_store_dwordx2 v[74:75], v[72:73], off
.LBB77_75:                              ;   in Loop: Header=BB77_21 Depth=1
	s_or_b64 exec, exec, s[50:51]
	s_mov_b64 s[50:51], exec
	v_readlane_b32 vcc_lo, v80, 57
	v_readlane_b32 vcc_hi, v80, 58
	s_and_b64 vcc, s[50:51], vcc
	s_mov_b64 exec, vcc
	s_cbranch_execz .LBB77_77
; %bb.76:                               ;   in Loop: Header=BB77_21 Depth=1
	v_add_co_u32_e32 v72, vcc, v51, v62
	v_addc_co_u32_e32 v73, vcc, 0, v71, vcc
	v_add_co_u32_e32 v74, vcc, v60, v40
	v_addc_co_u32_e32 v75, vcc, v61, v41, vcc
	v_cndmask_b32_e64 v73, v75, v73, s[0:1]
	v_cndmask_b32_e64 v72, v74, v72, s[0:1]
	global_load_dwordx2 v[72:73], v[72:73], off offset:768
	v_add_co_u32_e32 v74, vcc, v50, v0
	v_addc_co_u32_e32 v75, vcc, 0, v17, vcc
	v_lshlrev_b64 v[76:77], 2, v[74:75]
	v_mov_b32_e32 v78, s11
	v_add_co_u32_e32 v76, vcc, s10, v76
	v_addc_co_u32_e32 v77, vcc, v78, v77, vcc
	v_lshlrev_b64 v[74:75], 3, v[74:75]
	global_store_dword v[76:77], v67, off
	v_mov_b32_e32 v76, s59
	v_add_co_u32_e32 v74, vcc, s58, v74
	v_addc_co_u32_e32 v75, vcc, v76, v75, vcc
	s_waitcnt vmcnt(1)
	global_store_dwordx2 v[74:75], v[72:73], off
.LBB77_77:                              ;   in Loop: Header=BB77_21 Depth=1
	s_or_b64 exec, exec, s[50:51]
	s_mov_b64 s[50:51], exec
	v_readlane_b32 vcc_lo, v80, 59
	v_readlane_b32 vcc_hi, v80, 60
	s_and_b64 vcc, s[50:51], vcc
	s_mov_b64 exec, vcc
	s_cbranch_execz .LBB77_79
; %bb.78:                               ;   in Loop: Header=BB77_21 Depth=1
	v_add_co_u32_e32 v72, vcc, v51, v62
	v_addc_co_u32_e32 v73, vcc, 0, v71, vcc
	v_add_co_u32_e32 v72, vcc, s75, v72
	v_addc_co_u32_e32 v73, vcc, 0, v73, vcc
	v_add_co_u32_e32 v74, vcc, v60, v42
	v_addc_co_u32_e32 v75, vcc, v61, v43, vcc
	v_add_co_u32_e32 v74, vcc, 0x300, v74
	v_addc_co_u32_e32 v75, vcc, 0, v75, vcc
	v_cndmask_b32_e64 v73, v75, v73, s[0:1]
	v_cndmask_b32_e64 v72, v74, v72, s[0:1]
	global_load_dwordx2 v[72:73], v[72:73], off
	v_add_co_u32_e32 v74, vcc, v50, v0
	v_addc_co_u32_e32 v75, vcc, 0, v17, vcc
	v_lshlrev_b64 v[76:77], 2, v[74:75]
	v_mov_b32_e32 v78, s61
	v_add_co_u32_e32 v76, vcc, s60, v76
	v_addc_co_u32_e32 v77, vcc, v78, v77, vcc
	v_lshlrev_b64 v[74:75], 3, v[74:75]
	global_store_dword v[76:77], v66, off
	v_mov_b32_e32 v76, s63
	v_add_co_u32_e32 v74, vcc, s62, v74
	v_addc_co_u32_e32 v75, vcc, v76, v75, vcc
	s_waitcnt vmcnt(1)
	global_store_dwordx2 v[74:75], v[72:73], off
.LBB77_79:                              ;   in Loop: Header=BB77_21 Depth=1
	s_or_b64 exec, exec, s[50:51]
	s_mov_b64 s[50:51], exec
	v_readlane_b32 vcc_lo, v80, 61
	v_readlane_b32 vcc_hi, v80, 62
	s_and_b64 vcc, s[50:51], vcc
	s_mov_b64 exec, vcc
	s_cbranch_execz .LBB77_81
; %bb.80:                               ;   in Loop: Header=BB77_21 Depth=1
	v_add_co_u32_e32 v72, vcc, v51, v62
	v_addc_co_u32_e32 v73, vcc, 0, v71, vcc
	v_add_co_u32_e32 v72, vcc, s76, v72
	v_addc_co_u32_e32 v73, vcc, 0, v73, vcc
	v_add_co_u32_e32 v74, vcc, v60, v44
	v_addc_co_u32_e32 v75, vcc, v61, v45, vcc
	v_add_co_u32_e32 v74, vcc, 0x300, v74
	v_addc_co_u32_e32 v75, vcc, 0, v75, vcc
	v_cndmask_b32_e64 v73, v75, v73, s[0:1]
	v_cndmask_b32_e64 v72, v74, v72, s[0:1]
	global_load_dwordx2 v[72:73], v[72:73], off
	v_add_co_u32_e32 v74, vcc, v50, v0
	v_addc_co_u32_e32 v75, vcc, 0, v17, vcc
	v_lshlrev_b64 v[76:77], 2, v[74:75]
	v_mov_b32_e32 v78, s3
	v_add_co_u32_e32 v76, vcc, s2, v76
	v_addc_co_u32_e32 v77, vcc, v78, v77, vcc
	v_lshlrev_b64 v[74:75], 3, v[74:75]
	global_store_dword v[76:77], v65, off
	v_mov_b32_e32 v76, s65
	v_add_co_u32_e32 v74, vcc, s64, v74
	v_addc_co_u32_e32 v75, vcc, v76, v75, vcc
	s_waitcnt vmcnt(1)
	global_store_dwordx2 v[74:75], v[72:73], off
.LBB77_81:                              ;   in Loop: Header=BB77_21 Depth=1
	;; [unrolled: 33-line block ×3, first 2 shown]
	s_or_b64 exec, exec, s[50:51]
	s_mov_b64 s[50:51], exec
	v_readlane_b32 vcc_lo, v79, 1
	v_readlane_b32 vcc_hi, v79, 2
	s_and_b64 vcc, s[50:51], vcc
	s_mov_b64 exec, vcc
	s_cbranch_execz .LBB77_85
; %bb.84:                               ;   in Loop: Header=BB77_21 Depth=1
	v_add_co_u32_e32 v51, vcc, v51, v62
	v_addc_co_u32_e32 v71, vcc, 0, v71, vcc
	v_add_co_u32_e32 v51, vcc, s6, v51
	v_addc_co_u32_e32 v71, vcc, 0, v71, vcc
	;; [unrolled: 2-line block ×4, first 2 shown]
	v_cndmask_b32_e64 v73, v73, v71, s[0:1]
	v_cndmask_b32_e64 v72, v72, v51, s[0:1]
	global_load_dwordx2 v[72:73], v[72:73], off
	v_add_co_u32_e32 v50, vcc, v50, v0
	v_addc_co_u32_e32 v51, vcc, 0, v17, vcc
	v_lshlrev_b64 v[74:75], 2, v[50:51]
	v_mov_b32_e32 v17, s13
	v_add_co_u32_e32 v74, vcc, s12, v74
	v_addc_co_u32_e32 v75, vcc, v17, v75, vcc
	v_lshlrev_b64 v[50:51], 3, v[50:51]
	v_mov_b32_e32 v17, s71
	v_add_co_u32_e32 v50, vcc, s70, v50
	v_addc_co_u32_e32 v51, vcc, v17, v51, vcc
	global_store_dword v[74:75], v70, off
	s_waitcnt vmcnt(1)
	global_store_dwordx2 v[50:51], v[72:73], off
.LBB77_85:                              ;   in Loop: Header=BB77_21 Depth=1
	s_or_b64 exec, exec, s[50:51]
	v_add_co_u32_e32 v71, vcc, s78, v10
	v_pk_mov_b32 v[50:51], s[44:45], s[44:45] op_sel:[0,1]
	v_mov_b32_e32 v17, s80
	v_mad_u64_u32 v[50:51], s[50:51], v71, s36, v[50:51]
	v_addc_co_u32_e32 v17, vcc, v9, v17, vcc
	v_mov_b32_e32 v72, v51
	v_mad_u64_u32 v[72:73], s[50:51], v17, s36, v[72:73]
	v_mov_b32_e32 v71, s79
	v_add_co_u32_e32 v51, vcc, s7, v26
	v_mov_b32_e32 v17, v72
	v_addc_co_u32_e32 v71, vcc, v71, v27, vcc
	s_mov_b64 s[50:51], exec
	v_readlane_b32 vcc_lo, v79, 3
	v_readlane_b32 vcc_hi, v79, 4
	s_and_b64 vcc, s[50:51], vcc
	s_mov_b64 exec, vcc
	s_cbranch_execz .LBB77_87
; %bb.86:                               ;   in Loop: Header=BB77_21 Depth=1
	v_add_co_u32_e32 v72, vcc, v51, v62
	v_addc_co_u32_e32 v73, vcc, 0, v71, vcc
	v_add_co_u32_e32 v74, vcc, v60, v34
	v_addc_co_u32_e32 v75, vcc, v61, v35, vcc
	;; [unrolled: 2-line block ×3, first 2 shown]
	v_cndmask_b32_e64 v73, v75, v73, s[0:1]
	v_cndmask_b32_e64 v72, v74, v72, s[0:1]
	global_load_dwordx2 v[72:73], v[72:73], off
	v_add_co_u32_e32 v74, vcc, v50, v0
	v_addc_co_u32_e32 v75, vcc, 0, v17, vcc
	v_lshlrev_b64 v[76:77], 2, v[74:75]
	v_mov_b32_e32 v78, s5
	v_add_co_u32_e32 v76, vcc, s4, v76
	v_addc_co_u32_e32 v77, vcc, v78, v77, vcc
	v_lshlrev_b64 v[74:75], 3, v[74:75]
	global_store_dword v[76:77], v63, off
	v_mov_b32_e32 v76, s47
	v_add_co_u32_e32 v74, vcc, s46, v74
	v_addc_co_u32_e32 v75, vcc, v76, v75, vcc
	s_waitcnt vmcnt(1)
	global_store_dwordx2 v[74:75], v[72:73], off
.LBB77_87:                              ;   in Loop: Header=BB77_21 Depth=1
	s_or_b64 exec, exec, s[50:51]
	s_mov_b64 s[50:51], exec
	v_readlane_b32 vcc_lo, v79, 5
	v_readlane_b32 vcc_hi, v79, 6
	s_and_b64 vcc, s[50:51], vcc
	s_mov_b64 exec, vcc
	s_cbranch_execz .LBB77_89
; %bb.88:                               ;   in Loop: Header=BB77_21 Depth=1
	v_add_co_u32_e32 v72, vcc, v51, v62
	v_addc_co_u32_e32 v73, vcc, 0, v71, vcc
	v_add_co_u32_e32 v72, vcc, s72, v72
	v_addc_co_u32_e32 v73, vcc, 0, v73, vcc
	v_add_co_u32_e32 v74, vcc, v60, v36
	v_addc_co_u32_e32 v75, vcc, v61, v37, vcc
	v_add_co_u32_e32 v74, vcc, 0x400, v74
	v_addc_co_u32_e32 v75, vcc, 0, v75, vcc
	v_cndmask_b32_e64 v73, v75, v73, s[0:1]
	v_cndmask_b32_e64 v72, v74, v72, s[0:1]
	global_load_dwordx2 v[72:73], v[72:73], off
	v_add_co_u32_e32 v74, vcc, v50, v0
	v_addc_co_u32_e32 v75, vcc, 0, v17, vcc
	v_lshlrev_b64 v[76:77], 2, v[74:75]
	v_mov_b32_e32 v78, s33
	v_add_co_u32_e32 v76, vcc, s39, v76
	v_addc_co_u32_e32 v77, vcc, v78, v77, vcc
	v_lshlrev_b64 v[74:75], 3, v[74:75]
	global_store_dword v[76:77], v69, off
	v_mov_b32_e32 v76, s53
	v_add_co_u32_e32 v74, vcc, s52, v74
	v_addc_co_u32_e32 v75, vcc, v76, v75, vcc
	s_waitcnt vmcnt(1)
	global_store_dwordx2 v[74:75], v[72:73], off
.LBB77_89:                              ;   in Loop: Header=BB77_21 Depth=1
	s_or_b64 exec, exec, s[50:51]
	s_mov_b64 s[50:51], exec
	v_readlane_b32 vcc_lo, v79, 7
	v_readlane_b32 vcc_hi, v79, 8
	s_and_b64 vcc, s[50:51], vcc
	s_mov_b64 exec, vcc
	s_cbranch_execz .LBB77_91
; %bb.90:                               ;   in Loop: Header=BB77_21 Depth=1
	v_add_co_u32_e32 v72, vcc, v51, v62
	v_addc_co_u32_e32 v73, vcc, 0, v71, vcc
	v_add_co_u32_e32 v72, vcc, s73, v72
	v_addc_co_u32_e32 v73, vcc, 0, v73, vcc
	v_add_co_u32_e32 v74, vcc, v60, v38
	v_addc_co_u32_e32 v75, vcc, v61, v39, vcc
	v_add_co_u32_e32 v74, vcc, 0x400, v74
	v_addc_co_u32_e32 v75, vcc, 0, v75, vcc
	v_cndmask_b32_e64 v73, v75, v73, s[0:1]
	v_cndmask_b32_e64 v72, v74, v72, s[0:1]
	global_load_dwordx2 v[72:73], v[72:73], off
	v_add_co_u32_e32 v74, vcc, v50, v0
	v_addc_co_u32_e32 v75, vcc, 0, v17, vcc
	v_lshlrev_b64 v[76:77], 2, v[74:75]
	v_mov_b32_e32 v78, s55
	v_add_co_u32_e32 v76, vcc, s54, v76
	v_addc_co_u32_e32 v77, vcc, v78, v77, vcc
	v_lshlrev_b64 v[74:75], 3, v[74:75]
	global_store_dword v[76:77], v68, off
	v_mov_b32_e32 v76, s57
	v_add_co_u32_e32 v74, vcc, s56, v74
	v_addc_co_u32_e32 v75, vcc, v76, v75, vcc
	s_waitcnt vmcnt(1)
	global_store_dwordx2 v[74:75], v[72:73], off
.LBB77_91:                              ;   in Loop: Header=BB77_21 Depth=1
	;; [unrolled: 33-line block ×3, first 2 shown]
	s_or_b64 exec, exec, s[50:51]
	s_mov_b64 s[50:51], exec
	v_readlane_b32 vcc_lo, v79, 11
	v_readlane_b32 vcc_hi, v79, 12
	s_and_b64 vcc, s[50:51], vcc
	s_mov_b64 exec, vcc
	s_cbranch_execz .LBB77_95
; %bb.94:                               ;   in Loop: Header=BB77_21 Depth=1
	v_add_co_u32_e32 v72, vcc, v51, v62
	v_addc_co_u32_e32 v73, vcc, 0, v71, vcc
	v_add_co_u32_e32 v74, vcc, v60, v42
	v_addc_co_u32_e32 v75, vcc, v61, v43, vcc
	v_cndmask_b32_e64 v73, v75, v73, s[0:1]
	v_cndmask_b32_e64 v72, v74, v72, s[0:1]
	global_load_dwordx2 v[72:73], v[72:73], off offset:1024
	v_add_co_u32_e32 v74, vcc, v50, v0
	v_addc_co_u32_e32 v75, vcc, 0, v17, vcc
	v_lshlrev_b64 v[76:77], 2, v[74:75]
	v_mov_b32_e32 v78, s61
	v_add_co_u32_e32 v76, vcc, s60, v76
	v_addc_co_u32_e32 v77, vcc, v78, v77, vcc
	v_lshlrev_b64 v[74:75], 3, v[74:75]
	global_store_dword v[76:77], v66, off
	v_mov_b32_e32 v76, s63
	v_add_co_u32_e32 v74, vcc, s62, v74
	v_addc_co_u32_e32 v75, vcc, v76, v75, vcc
	s_waitcnt vmcnt(1)
	global_store_dwordx2 v[74:75], v[72:73], off
.LBB77_95:                              ;   in Loop: Header=BB77_21 Depth=1
	s_or_b64 exec, exec, s[50:51]
	s_mov_b64 s[50:51], exec
	v_readlane_b32 vcc_lo, v79, 13
	v_readlane_b32 vcc_hi, v79, 14
	s_and_b64 vcc, s[50:51], vcc
	s_mov_b64 exec, vcc
	s_cbranch_execz .LBB77_97
; %bb.96:                               ;   in Loop: Header=BB77_21 Depth=1
	v_add_co_u32_e32 v72, vcc, v51, v62
	v_addc_co_u32_e32 v73, vcc, 0, v71, vcc
	v_add_co_u32_e32 v72, vcc, s76, v72
	v_addc_co_u32_e32 v73, vcc, 0, v73, vcc
	;; [unrolled: 2-line block ×4, first 2 shown]
	v_cndmask_b32_e64 v73, v75, v73, s[0:1]
	v_cndmask_b32_e64 v72, v74, v72, s[0:1]
	global_load_dwordx2 v[72:73], v[72:73], off
	v_add_co_u32_e32 v74, vcc, v50, v0
	v_addc_co_u32_e32 v75, vcc, 0, v17, vcc
	v_lshlrev_b64 v[76:77], 2, v[74:75]
	v_mov_b32_e32 v78, s3
	v_add_co_u32_e32 v76, vcc, s2, v76
	v_addc_co_u32_e32 v77, vcc, v78, v77, vcc
	v_lshlrev_b64 v[74:75], 3, v[74:75]
	global_store_dword v[76:77], v65, off
	v_mov_b32_e32 v76, s65
	v_add_co_u32_e32 v74, vcc, s64, v74
	v_addc_co_u32_e32 v75, vcc, v76, v75, vcc
	s_waitcnt vmcnt(1)
	global_store_dwordx2 v[74:75], v[72:73], off
.LBB77_97:                              ;   in Loop: Header=BB77_21 Depth=1
	s_or_b64 exec, exec, s[50:51]
	s_mov_b64 s[50:51], exec
	v_readlane_b32 vcc_lo, v79, 15
	v_readlane_b32 vcc_hi, v79, 16
	s_and_b64 vcc, s[50:51], vcc
	s_mov_b64 exec, vcc
	s_cbranch_execz .LBB77_99
; %bb.98:                               ;   in Loop: Header=BB77_21 Depth=1
	v_add_co_u32_e32 v72, vcc, v51, v62
	v_addc_co_u32_e32 v73, vcc, 0, v71, vcc
	v_add_co_u32_e32 v72, vcc, s77, v72
	v_addc_co_u32_e32 v73, vcc, 0, v73, vcc
	;; [unrolled: 2-line block ×4, first 2 shown]
	v_cndmask_b32_e64 v73, v75, v73, s[0:1]
	v_cndmask_b32_e64 v72, v74, v72, s[0:1]
	global_load_dwordx2 v[72:73], v[72:73], off
	v_add_co_u32_e32 v74, vcc, v50, v0
	v_addc_co_u32_e32 v75, vcc, 0, v17, vcc
	v_lshlrev_b64 v[76:77], 2, v[74:75]
	v_mov_b32_e32 v78, s67
	v_add_co_u32_e32 v76, vcc, s66, v76
	v_addc_co_u32_e32 v77, vcc, v78, v77, vcc
	v_lshlrev_b64 v[74:75], 3, v[74:75]
	global_store_dword v[76:77], v64, off
	v_mov_b32_e32 v76, s69
	v_add_co_u32_e32 v74, vcc, s68, v74
	v_addc_co_u32_e32 v75, vcc, v76, v75, vcc
	s_waitcnt vmcnt(1)
	global_store_dwordx2 v[74:75], v[72:73], off
.LBB77_99:                              ;   in Loop: Header=BB77_21 Depth=1
	s_or_b64 exec, exec, s[50:51]
	s_mov_b64 s[50:51], exec
	v_readlane_b32 vcc_lo, v79, 17
	v_readlane_b32 vcc_hi, v79, 18
	s_and_b64 vcc, s[50:51], vcc
	s_mov_b64 exec, vcc
	s_cbranch_execz .LBB77_101
; %bb.100:                              ;   in Loop: Header=BB77_21 Depth=1
	v_add_co_u32_e32 v51, vcc, v51, v62
	v_addc_co_u32_e32 v71, vcc, 0, v71, vcc
	v_add_co_u32_e32 v51, vcc, s6, v51
	v_addc_co_u32_e32 v71, vcc, 0, v71, vcc
	;; [unrolled: 2-line block ×4, first 2 shown]
	v_cndmask_b32_e64 v73, v73, v71, s[0:1]
	v_cndmask_b32_e64 v72, v72, v51, s[0:1]
	global_load_dwordx2 v[72:73], v[72:73], off
	v_add_co_u32_e32 v50, vcc, v50, v0
	v_addc_co_u32_e32 v51, vcc, 0, v17, vcc
	v_lshlrev_b64 v[74:75], 2, v[50:51]
	v_mov_b32_e32 v17, s13
	v_add_co_u32_e32 v74, vcc, s12, v74
	v_addc_co_u32_e32 v75, vcc, v17, v75, vcc
	v_lshlrev_b64 v[50:51], 3, v[50:51]
	v_mov_b32_e32 v17, s71
	v_add_co_u32_e32 v50, vcc, s70, v50
	v_addc_co_u32_e32 v51, vcc, v17, v51, vcc
	global_store_dword v[74:75], v70, off
	s_waitcnt vmcnt(1)
	global_store_dwordx2 v[50:51], v[72:73], off
.LBB77_101:                             ;   in Loop: Header=BB77_21 Depth=1
	s_or_b64 exec, exec, s[50:51]
	v_add_co_u32_e32 v71, vcc, s78, v12
	v_pk_mov_b32 v[50:51], s[44:45], s[44:45] op_sel:[0,1]
	v_mov_b32_e32 v17, s80
	v_mad_u64_u32 v[50:51], s[50:51], v71, s36, v[50:51]
	v_addc_co_u32_e32 v17, vcc, v11, v17, vcc
	v_mov_b32_e32 v72, v51
	v_mad_u64_u32 v[72:73], s[50:51], v17, s36, v[72:73]
	v_mov_b32_e32 v71, s79
	v_add_co_u32_e32 v51, vcc, s7, v28
	v_mov_b32_e32 v17, v72
	v_addc_co_u32_e32 v71, vcc, v71, v29, vcc
	s_mov_b64 s[50:51], exec
	v_readlane_b32 vcc_lo, v79, 19
	v_readlane_b32 vcc_hi, v79, 20
	s_and_b64 vcc, s[50:51], vcc
	s_mov_b64 exec, vcc
	s_cbranch_execz .LBB77_103
; %bb.102:                              ;   in Loop: Header=BB77_21 Depth=1
	v_add_co_u32_e32 v72, vcc, v51, v62
	v_addc_co_u32_e32 v73, vcc, 0, v71, vcc
	v_add_co_u32_e32 v74, vcc, v60, v34
	v_addc_co_u32_e32 v75, vcc, v61, v35, vcc
	;; [unrolled: 2-line block ×3, first 2 shown]
	v_cndmask_b32_e64 v73, v75, v73, s[0:1]
	v_cndmask_b32_e64 v72, v74, v72, s[0:1]
	global_load_dwordx2 v[72:73], v[72:73], off
	v_add_co_u32_e32 v74, vcc, v50, v0
	v_addc_co_u32_e32 v75, vcc, 0, v17, vcc
	v_lshlrev_b64 v[76:77], 2, v[74:75]
	v_mov_b32_e32 v78, s5
	v_add_co_u32_e32 v76, vcc, s4, v76
	v_addc_co_u32_e32 v77, vcc, v78, v77, vcc
	v_lshlrev_b64 v[74:75], 3, v[74:75]
	global_store_dword v[76:77], v63, off
	v_mov_b32_e32 v76, s47
	v_add_co_u32_e32 v74, vcc, s46, v74
	v_addc_co_u32_e32 v75, vcc, v76, v75, vcc
	s_waitcnt vmcnt(1)
	global_store_dwordx2 v[74:75], v[72:73], off
.LBB77_103:                             ;   in Loop: Header=BB77_21 Depth=1
	s_or_b64 exec, exec, s[50:51]
	s_mov_b64 s[50:51], exec
	v_readlane_b32 vcc_lo, v79, 21
	v_readlane_b32 vcc_hi, v79, 22
	s_and_b64 vcc, s[50:51], vcc
	s_mov_b64 exec, vcc
	s_cbranch_execz .LBB77_105
; %bb.104:                              ;   in Loop: Header=BB77_21 Depth=1
	v_add_co_u32_e32 v72, vcc, v51, v62
	v_addc_co_u32_e32 v73, vcc, 0, v71, vcc
	v_add_co_u32_e32 v72, vcc, s72, v72
	v_addc_co_u32_e32 v73, vcc, 0, v73, vcc
	v_add_co_u32_e32 v74, vcc, v60, v36
	v_addc_co_u32_e32 v75, vcc, v61, v37, vcc
	v_add_co_u32_e32 v74, vcc, 0x500, v74
	v_addc_co_u32_e32 v75, vcc, 0, v75, vcc
	v_cndmask_b32_e64 v73, v75, v73, s[0:1]
	v_cndmask_b32_e64 v72, v74, v72, s[0:1]
	global_load_dwordx2 v[72:73], v[72:73], off
	v_add_co_u32_e32 v74, vcc, v50, v0
	v_addc_co_u32_e32 v75, vcc, 0, v17, vcc
	v_lshlrev_b64 v[76:77], 2, v[74:75]
	v_mov_b32_e32 v78, s33
	v_add_co_u32_e32 v76, vcc, s39, v76
	v_addc_co_u32_e32 v77, vcc, v78, v77, vcc
	v_lshlrev_b64 v[74:75], 3, v[74:75]
	global_store_dword v[76:77], v69, off
	v_mov_b32_e32 v76, s53
	v_add_co_u32_e32 v74, vcc, s52, v74
	v_addc_co_u32_e32 v75, vcc, v76, v75, vcc
	s_waitcnt vmcnt(1)
	global_store_dwordx2 v[74:75], v[72:73], off
.LBB77_105:                             ;   in Loop: Header=BB77_21 Depth=1
	s_or_b64 exec, exec, s[50:51]
	s_mov_b64 s[50:51], exec
	v_readlane_b32 vcc_lo, v79, 23
	v_readlane_b32 vcc_hi, v79, 24
	s_and_b64 vcc, s[50:51], vcc
	s_mov_b64 exec, vcc
	s_cbranch_execz .LBB77_107
; %bb.106:                              ;   in Loop: Header=BB77_21 Depth=1
	v_add_co_u32_e32 v72, vcc, v51, v62
	v_addc_co_u32_e32 v73, vcc, 0, v71, vcc
	v_add_co_u32_e32 v72, vcc, s73, v72
	v_addc_co_u32_e32 v73, vcc, 0, v73, vcc
	v_add_co_u32_e32 v74, vcc, v60, v38
	v_addc_co_u32_e32 v75, vcc, v61, v39, vcc
	v_add_co_u32_e32 v74, vcc, 0x500, v74
	v_addc_co_u32_e32 v75, vcc, 0, v75, vcc
	v_cndmask_b32_e64 v73, v75, v73, s[0:1]
	v_cndmask_b32_e64 v72, v74, v72, s[0:1]
	global_load_dwordx2 v[72:73], v[72:73], off
	v_add_co_u32_e32 v74, vcc, v50, v0
	v_addc_co_u32_e32 v75, vcc, 0, v17, vcc
	v_lshlrev_b64 v[76:77], 2, v[74:75]
	v_mov_b32_e32 v78, s55
	v_add_co_u32_e32 v76, vcc, s54, v76
	v_addc_co_u32_e32 v77, vcc, v78, v77, vcc
	v_lshlrev_b64 v[74:75], 3, v[74:75]
	global_store_dword v[76:77], v68, off
	v_mov_b32_e32 v76, s57
	v_add_co_u32_e32 v74, vcc, s56, v74
	v_addc_co_u32_e32 v75, vcc, v76, v75, vcc
	s_waitcnt vmcnt(1)
	global_store_dwordx2 v[74:75], v[72:73], off
.LBB77_107:                             ;   in Loop: Header=BB77_21 Depth=1
	;; [unrolled: 33-line block ×4, first 2 shown]
	s_or_b64 exec, exec, s[50:51]
	s_mov_b64 s[50:51], exec
	v_readlane_b32 vcc_lo, v79, 29
	v_readlane_b32 vcc_hi, v79, 30
	s_and_b64 vcc, s[50:51], vcc
	s_mov_b64 exec, vcc
	s_cbranch_execz .LBB77_113
; %bb.112:                              ;   in Loop: Header=BB77_21 Depth=1
	v_add_co_u32_e32 v72, vcc, v51, v62
	v_addc_co_u32_e32 v73, vcc, 0, v71, vcc
	v_add_co_u32_e32 v74, vcc, v60, v44
	v_addc_co_u32_e32 v75, vcc, v61, v45, vcc
	v_cndmask_b32_e64 v73, v75, v73, s[0:1]
	v_cndmask_b32_e64 v72, v74, v72, s[0:1]
	global_load_dwordx2 v[72:73], v[72:73], off offset:1280
	v_add_co_u32_e32 v74, vcc, v50, v0
	v_addc_co_u32_e32 v75, vcc, 0, v17, vcc
	v_lshlrev_b64 v[76:77], 2, v[74:75]
	v_mov_b32_e32 v78, s3
	v_add_co_u32_e32 v76, vcc, s2, v76
	v_addc_co_u32_e32 v77, vcc, v78, v77, vcc
	v_lshlrev_b64 v[74:75], 3, v[74:75]
	global_store_dword v[76:77], v65, off
	v_mov_b32_e32 v76, s65
	v_add_co_u32_e32 v74, vcc, s64, v74
	v_addc_co_u32_e32 v75, vcc, v76, v75, vcc
	s_waitcnt vmcnt(1)
	global_store_dwordx2 v[74:75], v[72:73], off
.LBB77_113:                             ;   in Loop: Header=BB77_21 Depth=1
	s_or_b64 exec, exec, s[50:51]
	s_mov_b64 s[50:51], exec
	v_readlane_b32 vcc_lo, v79, 31
	v_readlane_b32 vcc_hi, v79, 32
	s_and_b64 vcc, s[50:51], vcc
	s_mov_b64 exec, vcc
	s_cbranch_execz .LBB77_115
; %bb.114:                              ;   in Loop: Header=BB77_21 Depth=1
	v_add_co_u32_e32 v72, vcc, v51, v62
	v_addc_co_u32_e32 v73, vcc, 0, v71, vcc
	v_add_co_u32_e32 v72, vcc, s77, v72
	v_addc_co_u32_e32 v73, vcc, 0, v73, vcc
	;; [unrolled: 2-line block ×4, first 2 shown]
	v_cndmask_b32_e64 v73, v75, v73, s[0:1]
	v_cndmask_b32_e64 v72, v74, v72, s[0:1]
	global_load_dwordx2 v[72:73], v[72:73], off
	v_add_co_u32_e32 v74, vcc, v50, v0
	v_addc_co_u32_e32 v75, vcc, 0, v17, vcc
	v_lshlrev_b64 v[76:77], 2, v[74:75]
	v_mov_b32_e32 v78, s67
	v_add_co_u32_e32 v76, vcc, s66, v76
	v_addc_co_u32_e32 v77, vcc, v78, v77, vcc
	v_lshlrev_b64 v[74:75], 3, v[74:75]
	global_store_dword v[76:77], v64, off
	v_mov_b32_e32 v76, s69
	v_add_co_u32_e32 v74, vcc, s68, v74
	v_addc_co_u32_e32 v75, vcc, v76, v75, vcc
	s_waitcnt vmcnt(1)
	global_store_dwordx2 v[74:75], v[72:73], off
.LBB77_115:                             ;   in Loop: Header=BB77_21 Depth=1
	s_or_b64 exec, exec, s[50:51]
	s_and_saveexec_b64 s[50:51], s[14:15]
	s_cbranch_execz .LBB77_117
; %bb.116:                              ;   in Loop: Header=BB77_21 Depth=1
	v_add_co_u32_e32 v51, vcc, v51, v62
	v_addc_co_u32_e32 v71, vcc, 0, v71, vcc
	v_add_co_u32_e32 v51, vcc, s6, v51
	v_addc_co_u32_e32 v71, vcc, 0, v71, vcc
	v_add_co_u32_e32 v72, vcc, v60, v48
	v_addc_co_u32_e32 v73, vcc, v61, v49, vcc
	v_add_co_u32_e32 v72, vcc, 0x500, v72
	v_addc_co_u32_e32 v73, vcc, 0, v73, vcc
	v_cndmask_b32_e64 v73, v73, v71, s[0:1]
	v_cndmask_b32_e64 v72, v72, v51, s[0:1]
	global_load_dwordx2 v[72:73], v[72:73], off
	v_add_co_u32_e32 v50, vcc, v50, v0
	v_addc_co_u32_e32 v51, vcc, 0, v17, vcc
	v_lshlrev_b64 v[74:75], 2, v[50:51]
	v_mov_b32_e32 v17, s13
	v_add_co_u32_e32 v74, vcc, s12, v74
	v_addc_co_u32_e32 v75, vcc, v17, v75, vcc
	v_lshlrev_b64 v[50:51], 3, v[50:51]
	v_mov_b32_e32 v17, s71
	v_add_co_u32_e32 v50, vcc, s70, v50
	v_addc_co_u32_e32 v51, vcc, v17, v51, vcc
	global_store_dword v[74:75], v70, off
	s_waitcnt vmcnt(1)
	global_store_dwordx2 v[50:51], v[72:73], off
.LBB77_117:                             ;   in Loop: Header=BB77_21 Depth=1
	s_or_b64 exec, exec, s[50:51]
	v_add_co_u32_e32 v71, vcc, s78, v14
	v_pk_mov_b32 v[50:51], s[44:45], s[44:45] op_sel:[0,1]
	v_mov_b32_e32 v17, s80
	v_mad_u64_u32 v[50:51], s[50:51], v71, s36, v[50:51]
	v_addc_co_u32_e32 v17, vcc, v13, v17, vcc
	v_mov_b32_e32 v72, v51
	v_mad_u64_u32 v[72:73], s[50:51], v17, s36, v[72:73]
	v_mov_b32_e32 v71, s79
	v_add_co_u32_e32 v51, vcc, s7, v30
	v_mov_b32_e32 v17, v72
	v_addc_co_u32_e32 v71, vcc, v71, v31, vcc
	s_and_saveexec_b64 s[50:51], s[82:83]
	s_cbranch_execnz .LBB77_134
; %bb.118:                              ;   in Loop: Header=BB77_21 Depth=1
	s_or_b64 exec, exec, s[50:51]
	s_and_saveexec_b64 s[50:51], s[84:85]
	s_cbranch_execnz .LBB77_135
.LBB77_119:                             ;   in Loop: Header=BB77_21 Depth=1
	s_or_b64 exec, exec, s[50:51]
	s_and_saveexec_b64 s[50:51], s[86:87]
	s_cbranch_execnz .LBB77_136
.LBB77_120:                             ;   in Loop: Header=BB77_21 Depth=1
	s_or_b64 exec, exec, s[50:51]
	s_and_saveexec_b64 s[50:51], s[88:89]
	s_cbranch_execnz .LBB77_137
.LBB77_121:                             ;   in Loop: Header=BB77_21 Depth=1
	s_or_b64 exec, exec, s[50:51]
	s_and_saveexec_b64 s[50:51], s[90:91]
	s_cbranch_execnz .LBB77_138
.LBB77_122:                             ;   in Loop: Header=BB77_21 Depth=1
	s_or_b64 exec, exec, s[50:51]
	s_and_saveexec_b64 s[50:51], s[8:9]
	s_cbranch_execnz .LBB77_139
.LBB77_123:                             ;   in Loop: Header=BB77_21 Depth=1
	s_or_b64 exec, exec, s[50:51]
	s_and_saveexec_b64 s[50:51], s[92:93]
	s_cbranch_execnz .LBB77_140
.LBB77_124:                             ;   in Loop: Header=BB77_21 Depth=1
	s_or_b64 exec, exec, s[50:51]
	s_and_saveexec_b64 s[50:51], s[16:17]
	s_cbranch_execz .LBB77_126
.LBB77_125:                             ;   in Loop: Header=BB77_21 Depth=1
	v_add_co_u32_e32 v51, vcc, v51, v62
	v_addc_co_u32_e32 v71, vcc, 0, v71, vcc
	v_add_co_u32_e32 v51, vcc, s6, v51
	v_addc_co_u32_e32 v71, vcc, 0, v71, vcc
	;; [unrolled: 2-line block ×4, first 2 shown]
	v_cndmask_b32_e64 v73, v73, v71, s[0:1]
	v_cndmask_b32_e64 v72, v72, v51, s[0:1]
	global_load_dwordx2 v[72:73], v[72:73], off
	v_add_co_u32_e32 v50, vcc, v50, v0
	v_addc_co_u32_e32 v51, vcc, 0, v17, vcc
	v_lshlrev_b64 v[74:75], 2, v[50:51]
	v_mov_b32_e32 v17, s13
	v_add_co_u32_e32 v74, vcc, s12, v74
	v_addc_co_u32_e32 v75, vcc, v17, v75, vcc
	v_lshlrev_b64 v[50:51], 3, v[50:51]
	v_mov_b32_e32 v17, s71
	v_add_co_u32_e32 v50, vcc, s70, v50
	v_addc_co_u32_e32 v51, vcc, v17, v51, vcc
	global_store_dword v[74:75], v70, off
	s_waitcnt vmcnt(1)
	global_store_dwordx2 v[50:51], v[72:73], off
.LBB77_126:                             ;   in Loop: Header=BB77_21 Depth=1
	s_or_b64 exec, exec, s[50:51]
	v_add_co_u32_e32 v71, vcc, s78, v16
	v_pk_mov_b32 v[50:51], s[44:45], s[44:45] op_sel:[0,1]
	v_mov_b32_e32 v17, s80
	v_mad_u64_u32 v[50:51], s[50:51], v71, s36, v[50:51]
	v_addc_co_u32_e32 v17, vcc, v15, v17, vcc
	v_mov_b32_e32 v72, v51
	v_mad_u64_u32 v[72:73], s[50:51], v17, s36, v[72:73]
	v_mov_b32_e32 v71, s79
	v_add_co_u32_e32 v51, vcc, s7, v32
	v_mov_b32_e32 v17, v72
	v_addc_co_u32_e32 v71, vcc, v71, v33, vcc
	s_and_saveexec_b64 s[50:51], s[94:95]
	s_cbranch_execnz .LBB77_141
; %bb.127:                              ;   in Loop: Header=BB77_21 Depth=1
	s_or_b64 exec, exec, s[50:51]
	s_and_saveexec_b64 s[50:51], s[20:21]
	s_cbranch_execnz .LBB77_142
.LBB77_128:                             ;   in Loop: Header=BB77_21 Depth=1
	s_or_b64 exec, exec, s[50:51]
	s_and_saveexec_b64 s[50:51], s[22:23]
	s_cbranch_execnz .LBB77_143
.LBB77_129:                             ;   in Loop: Header=BB77_21 Depth=1
	s_or_b64 exec, exec, s[50:51]
	s_and_saveexec_b64 s[50:51], s[24:25]
	s_cbranch_execnz .LBB77_144
.LBB77_130:                             ;   in Loop: Header=BB77_21 Depth=1
	s_or_b64 exec, exec, s[50:51]
	s_and_saveexec_b64 s[50:51], s[26:27]
	s_cbranch_execnz .LBB77_145
.LBB77_131:                             ;   in Loop: Header=BB77_21 Depth=1
	s_or_b64 exec, exec, s[50:51]
	s_and_saveexec_b64 s[50:51], s[28:29]
	s_cbranch_execnz .LBB77_146
.LBB77_132:                             ;   in Loop: Header=BB77_21 Depth=1
	s_or_b64 exec, exec, s[50:51]
	s_and_saveexec_b64 s[50:51], s[30:31]
	s_cbranch_execnz .LBB77_147
.LBB77_133:                             ;   in Loop: Header=BB77_21 Depth=1
	s_or_b64 exec, exec, s[50:51]
	s_and_saveexec_b64 s[50:51], s[18:19]
	s_cbranch_execz .LBB77_20
	s_branch .LBB77_148
.LBB77_134:                             ;   in Loop: Header=BB77_21 Depth=1
	v_add_co_u32_e32 v72, vcc, v51, v62
	v_addc_co_u32_e32 v73, vcc, 0, v71, vcc
	v_add_co_u32_e32 v74, vcc, v60, v34
	v_addc_co_u32_e32 v75, vcc, v61, v35, vcc
	;; [unrolled: 2-line block ×3, first 2 shown]
	v_cndmask_b32_e64 v73, v75, v73, s[0:1]
	v_cndmask_b32_e64 v72, v74, v72, s[0:1]
	global_load_dwordx2 v[72:73], v[72:73], off
	v_add_co_u32_e32 v74, vcc, v50, v0
	v_addc_co_u32_e32 v75, vcc, 0, v17, vcc
	v_lshlrev_b64 v[76:77], 2, v[74:75]
	v_mov_b32_e32 v78, s5
	v_add_co_u32_e32 v76, vcc, s4, v76
	v_addc_co_u32_e32 v77, vcc, v78, v77, vcc
	v_lshlrev_b64 v[74:75], 3, v[74:75]
	global_store_dword v[76:77], v63, off
	v_mov_b32_e32 v76, s47
	v_add_co_u32_e32 v74, vcc, s46, v74
	v_addc_co_u32_e32 v75, vcc, v76, v75, vcc
	s_waitcnt vmcnt(1)
	global_store_dwordx2 v[74:75], v[72:73], off
	s_or_b64 exec, exec, s[50:51]
	s_and_saveexec_b64 s[50:51], s[84:85]
	s_cbranch_execz .LBB77_119
.LBB77_135:                             ;   in Loop: Header=BB77_21 Depth=1
	v_add_co_u32_e32 v72, vcc, v51, v62
	v_addc_co_u32_e32 v73, vcc, 0, v71, vcc
	v_add_co_u32_e32 v72, vcc, s72, v72
	v_addc_co_u32_e32 v73, vcc, 0, v73, vcc
	;; [unrolled: 2-line block ×4, first 2 shown]
	v_cndmask_b32_e64 v73, v75, v73, s[0:1]
	v_cndmask_b32_e64 v72, v74, v72, s[0:1]
	global_load_dwordx2 v[72:73], v[72:73], off
	v_add_co_u32_e32 v74, vcc, v50, v0
	v_addc_co_u32_e32 v75, vcc, 0, v17, vcc
	v_lshlrev_b64 v[76:77], 2, v[74:75]
	v_mov_b32_e32 v78, s33
	v_add_co_u32_e32 v76, vcc, s39, v76
	v_addc_co_u32_e32 v77, vcc, v78, v77, vcc
	v_lshlrev_b64 v[74:75], 3, v[74:75]
	global_store_dword v[76:77], v69, off
	v_mov_b32_e32 v76, s53
	v_add_co_u32_e32 v74, vcc, s52, v74
	v_addc_co_u32_e32 v75, vcc, v76, v75, vcc
	s_waitcnt vmcnt(1)
	global_store_dwordx2 v[74:75], v[72:73], off
	s_or_b64 exec, exec, s[50:51]
	s_and_saveexec_b64 s[50:51], s[86:87]
	s_cbranch_execz .LBB77_120
.LBB77_136:                             ;   in Loop: Header=BB77_21 Depth=1
	v_add_co_u32_e32 v72, vcc, v51, v62
	v_addc_co_u32_e32 v73, vcc, 0, v71, vcc
	v_add_co_u32_e32 v72, vcc, s73, v72
	v_addc_co_u32_e32 v73, vcc, 0, v73, vcc
	;; [unrolled: 2-line block ×4, first 2 shown]
	v_cndmask_b32_e64 v73, v75, v73, s[0:1]
	v_cndmask_b32_e64 v72, v74, v72, s[0:1]
	global_load_dwordx2 v[72:73], v[72:73], off
	v_add_co_u32_e32 v74, vcc, v50, v0
	v_addc_co_u32_e32 v75, vcc, 0, v17, vcc
	v_lshlrev_b64 v[76:77], 2, v[74:75]
	v_mov_b32_e32 v78, s55
	v_add_co_u32_e32 v76, vcc, s54, v76
	v_addc_co_u32_e32 v77, vcc, v78, v77, vcc
	v_lshlrev_b64 v[74:75], 3, v[74:75]
	global_store_dword v[76:77], v68, off
	v_mov_b32_e32 v76, s57
	v_add_co_u32_e32 v74, vcc, s56, v74
	v_addc_co_u32_e32 v75, vcc, v76, v75, vcc
	s_waitcnt vmcnt(1)
	global_store_dwordx2 v[74:75], v[72:73], off
	s_or_b64 exec, exec, s[50:51]
	s_and_saveexec_b64 s[50:51], s[88:89]
	s_cbranch_execz .LBB77_121
.LBB77_137:                             ;   in Loop: Header=BB77_21 Depth=1
	v_add_co_u32_e32 v72, vcc, v51, v62
	v_addc_co_u32_e32 v73, vcc, 0, v71, vcc
	v_add_co_u32_e32 v72, vcc, s74, v72
	v_addc_co_u32_e32 v73, vcc, 0, v73, vcc
	;; [unrolled: 2-line block ×4, first 2 shown]
	v_cndmask_b32_e64 v73, v75, v73, s[0:1]
	v_cndmask_b32_e64 v72, v74, v72, s[0:1]
	global_load_dwordx2 v[72:73], v[72:73], off
	v_add_co_u32_e32 v74, vcc, v50, v0
	v_addc_co_u32_e32 v75, vcc, 0, v17, vcc
	v_lshlrev_b64 v[76:77], 2, v[74:75]
	v_mov_b32_e32 v78, s11
	v_add_co_u32_e32 v76, vcc, s10, v76
	v_addc_co_u32_e32 v77, vcc, v78, v77, vcc
	v_lshlrev_b64 v[74:75], 3, v[74:75]
	global_store_dword v[76:77], v67, off
	v_mov_b32_e32 v76, s59
	v_add_co_u32_e32 v74, vcc, s58, v74
	v_addc_co_u32_e32 v75, vcc, v76, v75, vcc
	s_waitcnt vmcnt(1)
	global_store_dwordx2 v[74:75], v[72:73], off
	s_or_b64 exec, exec, s[50:51]
	s_and_saveexec_b64 s[50:51], s[90:91]
	s_cbranch_execz .LBB77_122
.LBB77_138:                             ;   in Loop: Header=BB77_21 Depth=1
	v_add_co_u32_e32 v72, vcc, v51, v62
	v_addc_co_u32_e32 v73, vcc, 0, v71, vcc
	v_add_co_u32_e32 v72, vcc, s75, v72
	v_addc_co_u32_e32 v73, vcc, 0, v73, vcc
	;; [unrolled: 2-line block ×4, first 2 shown]
	v_cndmask_b32_e64 v73, v75, v73, s[0:1]
	v_cndmask_b32_e64 v72, v74, v72, s[0:1]
	global_load_dwordx2 v[72:73], v[72:73], off
	v_add_co_u32_e32 v74, vcc, v50, v0
	v_addc_co_u32_e32 v75, vcc, 0, v17, vcc
	v_lshlrev_b64 v[76:77], 2, v[74:75]
	v_mov_b32_e32 v78, s61
	v_add_co_u32_e32 v76, vcc, s60, v76
	v_addc_co_u32_e32 v77, vcc, v78, v77, vcc
	v_lshlrev_b64 v[74:75], 3, v[74:75]
	global_store_dword v[76:77], v66, off
	v_mov_b32_e32 v76, s63
	v_add_co_u32_e32 v74, vcc, s62, v74
	v_addc_co_u32_e32 v75, vcc, v76, v75, vcc
	s_waitcnt vmcnt(1)
	global_store_dwordx2 v[74:75], v[72:73], off
	s_or_b64 exec, exec, s[50:51]
	s_and_saveexec_b64 s[50:51], s[8:9]
	s_cbranch_execz .LBB77_123
.LBB77_139:                             ;   in Loop: Header=BB77_21 Depth=1
	v_add_co_u32_e32 v72, vcc, v51, v62
	v_addc_co_u32_e32 v73, vcc, 0, v71, vcc
	v_add_co_u32_e32 v72, vcc, s76, v72
	v_addc_co_u32_e32 v73, vcc, 0, v73, vcc
	;; [unrolled: 2-line block ×4, first 2 shown]
	v_cndmask_b32_e64 v73, v75, v73, s[0:1]
	v_cndmask_b32_e64 v72, v74, v72, s[0:1]
	global_load_dwordx2 v[72:73], v[72:73], off
	v_add_co_u32_e32 v74, vcc, v50, v0
	v_addc_co_u32_e32 v75, vcc, 0, v17, vcc
	v_lshlrev_b64 v[76:77], 2, v[74:75]
	v_mov_b32_e32 v78, s3
	v_add_co_u32_e32 v76, vcc, s2, v76
	v_addc_co_u32_e32 v77, vcc, v78, v77, vcc
	v_lshlrev_b64 v[74:75], 3, v[74:75]
	global_store_dword v[76:77], v65, off
	v_mov_b32_e32 v76, s65
	v_add_co_u32_e32 v74, vcc, s64, v74
	v_addc_co_u32_e32 v75, vcc, v76, v75, vcc
	s_waitcnt vmcnt(1)
	global_store_dwordx2 v[74:75], v[72:73], off
	s_or_b64 exec, exec, s[50:51]
	s_and_saveexec_b64 s[50:51], s[92:93]
	s_cbranch_execz .LBB77_124
.LBB77_140:                             ;   in Loop: Header=BB77_21 Depth=1
	v_add_co_u32_e32 v72, vcc, v51, v62
	v_addc_co_u32_e32 v73, vcc, 0, v71, vcc
	v_add_co_u32_e32 v74, vcc, v60, v46
	v_addc_co_u32_e32 v75, vcc, v61, v47, vcc
	v_cndmask_b32_e64 v73, v75, v73, s[0:1]
	v_cndmask_b32_e64 v72, v74, v72, s[0:1]
	global_load_dwordx2 v[72:73], v[72:73], off offset:1536
	v_add_co_u32_e32 v74, vcc, v50, v0
	v_addc_co_u32_e32 v75, vcc, 0, v17, vcc
	v_lshlrev_b64 v[76:77], 2, v[74:75]
	v_mov_b32_e32 v78, s67
	v_add_co_u32_e32 v76, vcc, s66, v76
	v_addc_co_u32_e32 v77, vcc, v78, v77, vcc
	v_lshlrev_b64 v[74:75], 3, v[74:75]
	global_store_dword v[76:77], v64, off
	v_mov_b32_e32 v76, s69
	v_add_co_u32_e32 v74, vcc, s68, v74
	v_addc_co_u32_e32 v75, vcc, v76, v75, vcc
	s_waitcnt vmcnt(1)
	global_store_dwordx2 v[74:75], v[72:73], off
	s_or_b64 exec, exec, s[50:51]
	s_and_saveexec_b64 s[50:51], s[16:17]
	s_cbranch_execnz .LBB77_125
	s_branch .LBB77_126
.LBB77_141:                             ;   in Loop: Header=BB77_21 Depth=1
	v_add_co_u32_e32 v72, vcc, v51, v62
	v_addc_co_u32_e32 v73, vcc, 0, v71, vcc
	v_add_co_u32_e32 v74, vcc, v60, v34
	v_addc_co_u32_e32 v75, vcc, v61, v35, vcc
	;; [unrolled: 2-line block ×3, first 2 shown]
	v_cndmask_b32_e64 v73, v75, v73, s[0:1]
	v_cndmask_b32_e64 v72, v74, v72, s[0:1]
	global_load_dwordx2 v[72:73], v[72:73], off
	v_add_co_u32_e32 v74, vcc, v50, v0
	v_addc_co_u32_e32 v75, vcc, 0, v17, vcc
	v_lshlrev_b64 v[76:77], 2, v[74:75]
	v_mov_b32_e32 v78, s5
	v_add_co_u32_e32 v76, vcc, s4, v76
	v_addc_co_u32_e32 v77, vcc, v78, v77, vcc
	v_lshlrev_b64 v[74:75], 3, v[74:75]
	global_store_dword v[76:77], v63, off
	v_mov_b32_e32 v63, s47
	v_add_co_u32_e32 v74, vcc, s46, v74
	v_addc_co_u32_e32 v75, vcc, v63, v75, vcc
	s_waitcnt vmcnt(1)
	global_store_dwordx2 v[74:75], v[72:73], off
	s_or_b64 exec, exec, s[50:51]
	s_and_saveexec_b64 s[50:51], s[20:21]
	s_cbranch_execz .LBB77_128
.LBB77_142:                             ;   in Loop: Header=BB77_21 Depth=1
	v_add_co_u32_e32 v63, vcc, v51, v62
	v_addc_co_u32_e32 v72, vcc, 0, v71, vcc
	v_add_co_u32_e32 v63, vcc, s72, v63
	v_addc_co_u32_e32 v72, vcc, 0, v72, vcc
	;; [unrolled: 2-line block ×4, first 2 shown]
	v_cndmask_b32_e64 v73, v73, v72, s[0:1]
	v_cndmask_b32_e64 v72, v75, v63, s[0:1]
	global_load_dwordx2 v[72:73], v[72:73], off
	v_add_co_u32_e32 v74, vcc, v50, v0
	v_addc_co_u32_e32 v75, vcc, 0, v17, vcc
	v_lshlrev_b64 v[76:77], 2, v[74:75]
	v_mov_b32_e32 v63, s33
	v_add_co_u32_e32 v76, vcc, s39, v76
	v_addc_co_u32_e32 v77, vcc, v63, v77, vcc
	v_lshlrev_b64 v[74:75], 3, v[74:75]
	v_mov_b32_e32 v63, s53
	v_add_co_u32_e32 v74, vcc, s52, v74
	v_addc_co_u32_e32 v75, vcc, v63, v75, vcc
	global_store_dword v[76:77], v69, off
	s_waitcnt vmcnt(1)
	global_store_dwordx2 v[74:75], v[72:73], off
	s_or_b64 exec, exec, s[50:51]
	s_and_saveexec_b64 s[50:51], s[22:23]
	s_cbranch_execz .LBB77_129
.LBB77_143:                             ;   in Loop: Header=BB77_21 Depth=1
	v_add_co_u32_e32 v63, vcc, v51, v62
	v_addc_co_u32_e32 v69, vcc, 0, v71, vcc
	v_add_co_u32_e32 v63, vcc, s73, v63
	v_addc_co_u32_e32 v69, vcc, 0, v69, vcc
	;; [unrolled: 2-line block ×4, first 2 shown]
	v_cndmask_b32_e64 v73, v73, v69, s[0:1]
	v_cndmask_b32_e64 v72, v72, v63, s[0:1]
	global_load_dwordx2 v[72:73], v[72:73], off
	v_add_co_u32_e32 v74, vcc, v50, v0
	v_addc_co_u32_e32 v75, vcc, 0, v17, vcc
	v_lshlrev_b64 v[76:77], 2, v[74:75]
	v_mov_b32_e32 v63, s55
	v_add_co_u32_e32 v76, vcc, s54, v76
	v_addc_co_u32_e32 v77, vcc, v63, v77, vcc
	global_store_dword v[76:77], v68, off
	v_lshlrev_b64 v[68:69], 3, v[74:75]
	v_mov_b32_e32 v63, s57
	v_add_co_u32_e32 v68, vcc, s56, v68
	v_addc_co_u32_e32 v69, vcc, v63, v69, vcc
	s_waitcnt vmcnt(1)
	global_store_dwordx2 v[68:69], v[72:73], off
	s_or_b64 exec, exec, s[50:51]
	s_and_saveexec_b64 s[50:51], s[24:25]
	s_cbranch_execz .LBB77_130
.LBB77_144:                             ;   in Loop: Header=BB77_21 Depth=1
	v_add_co_u32_e32 v63, vcc, v51, v62
	v_addc_co_u32_e32 v68, vcc, 0, v71, vcc
	v_add_co_u32_e32 v63, vcc, s74, v63
	v_addc_co_u32_e32 v68, vcc, 0, v68, vcc
	;; [unrolled: 2-line block ×4, first 2 shown]
	v_cndmask_b32_e64 v69, v69, v68, s[0:1]
	v_cndmask_b32_e64 v68, v73, v63, s[0:1]
	global_load_dwordx2 v[68:69], v[68:69], off
	v_add_co_u32_e32 v72, vcc, v50, v0
	v_addc_co_u32_e32 v73, vcc, 0, v17, vcc
	v_lshlrev_b64 v[74:75], 2, v[72:73]
	v_mov_b32_e32 v63, s11
	v_add_co_u32_e32 v74, vcc, s10, v74
	v_addc_co_u32_e32 v75, vcc, v63, v75, vcc
	v_lshlrev_b64 v[72:73], 3, v[72:73]
	v_mov_b32_e32 v63, s59
	v_add_co_u32_e32 v72, vcc, s58, v72
	v_addc_co_u32_e32 v73, vcc, v63, v73, vcc
	global_store_dword v[74:75], v67, off
	s_waitcnt vmcnt(1)
	global_store_dwordx2 v[72:73], v[68:69], off
	s_or_b64 exec, exec, s[50:51]
	s_and_saveexec_b64 s[50:51], s[26:27]
	s_cbranch_execz .LBB77_131
.LBB77_145:                             ;   in Loop: Header=BB77_21 Depth=1
	v_add_co_u32_e32 v63, vcc, v51, v62
	v_addc_co_u32_e32 v67, vcc, 0, v71, vcc
	v_add_co_u32_e32 v63, vcc, s75, v63
	v_addc_co_u32_e32 v67, vcc, 0, v67, vcc
	;; [unrolled: 2-line block ×4, first 2 shown]
	v_cndmask_b32_e64 v69, v69, v67, s[0:1]
	v_cndmask_b32_e64 v68, v68, v63, s[0:1]
	global_load_dwordx2 v[68:69], v[68:69], off
	v_add_co_u32_e32 v72, vcc, v50, v0
	v_addc_co_u32_e32 v73, vcc, 0, v17, vcc
	v_lshlrev_b64 v[74:75], 2, v[72:73]
	v_mov_b32_e32 v63, s61
	v_add_co_u32_e32 v74, vcc, s60, v74
	v_addc_co_u32_e32 v75, vcc, v63, v75, vcc
	global_store_dword v[74:75], v66, off
	v_lshlrev_b64 v[66:67], 3, v[72:73]
	v_mov_b32_e32 v63, s63
	v_add_co_u32_e32 v66, vcc, s62, v66
	v_addc_co_u32_e32 v67, vcc, v63, v67, vcc
	s_waitcnt vmcnt(1)
	global_store_dwordx2 v[66:67], v[68:69], off
	s_or_b64 exec, exec, s[50:51]
	s_and_saveexec_b64 s[50:51], s[28:29]
	s_cbranch_execz .LBB77_132
.LBB77_146:                             ;   in Loop: Header=BB77_21 Depth=1
	v_add_co_u32_e32 v63, vcc, v51, v62
	v_addc_co_u32_e32 v66, vcc, 0, v71, vcc
	v_add_co_u32_e32 v63, vcc, s76, v63
	v_addc_co_u32_e32 v66, vcc, 0, v66, vcc
	;; [unrolled: 2-line block ×4, first 2 shown]
	v_cndmask_b32_e64 v67, v67, v66, s[0:1]
	v_cndmask_b32_e64 v66, v69, v63, s[0:1]
	global_load_dwordx2 v[66:67], v[66:67], off
	v_add_co_u32_e32 v68, vcc, v50, v0
	v_addc_co_u32_e32 v69, vcc, 0, v17, vcc
	v_lshlrev_b64 v[72:73], 2, v[68:69]
	v_mov_b32_e32 v63, s3
	v_add_co_u32_e32 v72, vcc, s2, v72
	v_addc_co_u32_e32 v73, vcc, v63, v73, vcc
	v_lshlrev_b64 v[68:69], 3, v[68:69]
	v_mov_b32_e32 v63, s65
	v_add_co_u32_e32 v68, vcc, s64, v68
	v_addc_co_u32_e32 v69, vcc, v63, v69, vcc
	global_store_dword v[72:73], v65, off
	s_waitcnt vmcnt(1)
	global_store_dwordx2 v[68:69], v[66:67], off
	s_or_b64 exec, exec, s[50:51]
	s_and_saveexec_b64 s[50:51], s[30:31]
	s_cbranch_execz .LBB77_133
.LBB77_147:                             ;   in Loop: Header=BB77_21 Depth=1
	v_add_co_u32_e32 v63, vcc, v51, v62
	v_addc_co_u32_e32 v65, vcc, 0, v71, vcc
	v_add_co_u32_e32 v63, vcc, s77, v63
	v_addc_co_u32_e32 v65, vcc, 0, v65, vcc
	;; [unrolled: 2-line block ×4, first 2 shown]
	v_cndmask_b32_e64 v67, v67, v65, s[0:1]
	v_cndmask_b32_e64 v66, v66, v63, s[0:1]
	global_load_dwordx2 v[66:67], v[66:67], off
	v_add_co_u32_e32 v68, vcc, v50, v0
	v_addc_co_u32_e32 v69, vcc, 0, v17, vcc
	v_lshlrev_b64 v[72:73], 2, v[68:69]
	v_mov_b32_e32 v63, s67
	v_add_co_u32_e32 v72, vcc, s66, v72
	v_addc_co_u32_e32 v73, vcc, v63, v73, vcc
	global_store_dword v[72:73], v64, off
	v_lshlrev_b64 v[64:65], 3, v[68:69]
	v_mov_b32_e32 v63, s69
	v_add_co_u32_e32 v64, vcc, s68, v64
	v_addc_co_u32_e32 v65, vcc, v63, v65, vcc
	s_waitcnt vmcnt(1)
	global_store_dwordx2 v[64:65], v[66:67], off
	s_or_b64 exec, exec, s[50:51]
	s_and_saveexec_b64 s[50:51], s[18:19]
	s_cbranch_execz .LBB77_20
.LBB77_148:                             ;   in Loop: Header=BB77_21 Depth=1
	v_add_co_u32_e32 v51, vcc, v51, v62
	v_addc_co_u32_e32 v62, vcc, 0, v71, vcc
	v_add_co_u32_e32 v60, vcc, v60, v48
	v_addc_co_u32_e32 v61, vcc, v61, v49, vcc
	v_cndmask_b32_e64 v61, v61, v62, s[0:1]
	v_cndmask_b32_e64 v60, v60, v51, s[0:1]
	global_load_dwordx2 v[60:61], v[60:61], off offset:1792
	v_add_co_u32_e32 v50, vcc, v50, v0
	v_addc_co_u32_e32 v51, vcc, 0, v17, vcc
	v_lshlrev_b64 v[62:63], 2, v[50:51]
	v_mov_b32_e32 v17, s13
	v_add_co_u32_e32 v62, vcc, s12, v62
	v_addc_co_u32_e32 v63, vcc, v17, v63, vcc
	v_lshlrev_b64 v[50:51], 3, v[50:51]
	v_mov_b32_e32 v17, s71
	v_add_co_u32_e32 v50, vcc, s70, v50
	v_addc_co_u32_e32 v51, vcc, v17, v51, vcc
	global_store_dword v[62:63], v70, off
	s_waitcnt vmcnt(1)
	global_store_dwordx2 v[50:51], v[60:61], off
	s_branch .LBB77_20
.LBB77_149:
	s_endpgm
	.section	.rodata,"a",@progbits
	.p2align	6, 0x0
	.amdhsa_kernel _ZN9rocsparseL35bsr2csr_block_per_row_33_256_kernelILj1024ELj256ELj32ElliEEv20rocsparse_direction_T4_S2_21rocsparse_index_base_PKT2_PKT3_PKS2_S2_S3_PS4_PS7_PS2_
		.amdhsa_group_segment_fixed_size 0
		.amdhsa_private_segment_fixed_size 0
		.amdhsa_kernarg_size 72
		.amdhsa_user_sgpr_count 6
		.amdhsa_user_sgpr_private_segment_buffer 1
		.amdhsa_user_sgpr_dispatch_ptr 0
		.amdhsa_user_sgpr_queue_ptr 0
		.amdhsa_user_sgpr_kernarg_segment_ptr 1
		.amdhsa_user_sgpr_dispatch_id 0
		.amdhsa_user_sgpr_flat_scratch_init 0
		.amdhsa_user_sgpr_kernarg_preload_length 0
		.amdhsa_user_sgpr_kernarg_preload_offset 0
		.amdhsa_user_sgpr_private_segment_size 0
		.amdhsa_uses_dynamic_stack 0
		.amdhsa_system_sgpr_private_segment_wavefront_offset 0
		.amdhsa_system_sgpr_workgroup_id_x 1
		.amdhsa_system_sgpr_workgroup_id_y 0
		.amdhsa_system_sgpr_workgroup_id_z 0
		.amdhsa_system_sgpr_workgroup_info 0
		.amdhsa_system_vgpr_workitem_id 0
		.amdhsa_next_free_vgpr 81
		.amdhsa_next_free_sgpr 96
		.amdhsa_accum_offset 84
		.amdhsa_reserve_vcc 1
		.amdhsa_reserve_flat_scratch 0
		.amdhsa_float_round_mode_32 0
		.amdhsa_float_round_mode_16_64 0
		.amdhsa_float_denorm_mode_32 3
		.amdhsa_float_denorm_mode_16_64 3
		.amdhsa_dx10_clamp 1
		.amdhsa_ieee_mode 1
		.amdhsa_fp16_overflow 0
		.amdhsa_tg_split 0
		.amdhsa_exception_fp_ieee_invalid_op 0
		.amdhsa_exception_fp_denorm_src 0
		.amdhsa_exception_fp_ieee_div_zero 0
		.amdhsa_exception_fp_ieee_overflow 0
		.amdhsa_exception_fp_ieee_underflow 0
		.amdhsa_exception_fp_ieee_inexact 0
		.amdhsa_exception_int_div_zero 0
	.end_amdhsa_kernel
	.section	.text._ZN9rocsparseL35bsr2csr_block_per_row_33_256_kernelILj1024ELj256ELj32ElliEEv20rocsparse_direction_T4_S2_21rocsparse_index_base_PKT2_PKT3_PKS2_S2_S3_PS4_PS7_PS2_,"axG",@progbits,_ZN9rocsparseL35bsr2csr_block_per_row_33_256_kernelILj1024ELj256ELj32ElliEEv20rocsparse_direction_T4_S2_21rocsparse_index_base_PKT2_PKT3_PKS2_S2_S3_PS4_PS7_PS2_,comdat
.Lfunc_end77:
	.size	_ZN9rocsparseL35bsr2csr_block_per_row_33_256_kernelILj1024ELj256ELj32ElliEEv20rocsparse_direction_T4_S2_21rocsparse_index_base_PKT2_PKT3_PKS2_S2_S3_PS4_PS7_PS2_, .Lfunc_end77-_ZN9rocsparseL35bsr2csr_block_per_row_33_256_kernelILj1024ELj256ELj32ElliEEv20rocsparse_direction_T4_S2_21rocsparse_index_base_PKT2_PKT3_PKS2_S2_S3_PS4_PS7_PS2_
                                        ; -- End function
	.section	.AMDGPU.csdata,"",@progbits
; Kernel info:
; codeLenInByte = 13488
; NumSgprs: 100
; NumVgprs: 81
; NumAgprs: 0
; TotalNumVgprs: 81
; ScratchSize: 0
; MemoryBound: 0
; FloatMode: 240
; IeeeMode: 1
; LDSByteSize: 0 bytes/workgroup (compile time only)
; SGPRBlocks: 12
; VGPRBlocks: 10
; NumSGPRsForWavesPerEU: 100
; NumVGPRsForWavesPerEU: 81
; AccumOffset: 84
; Occupancy: 5
; WaveLimiterHint : 1
; COMPUTE_PGM_RSRC2:SCRATCH_EN: 0
; COMPUTE_PGM_RSRC2:USER_SGPR: 6
; COMPUTE_PGM_RSRC2:TRAP_HANDLER: 0
; COMPUTE_PGM_RSRC2:TGID_X_EN: 1
; COMPUTE_PGM_RSRC2:TGID_Y_EN: 0
; COMPUTE_PGM_RSRC2:TGID_Z_EN: 0
; COMPUTE_PGM_RSRC2:TIDIG_COMP_CNT: 0
; COMPUTE_PGM_RSRC3_GFX90A:ACCUM_OFFSET: 20
; COMPUTE_PGM_RSRC3_GFX90A:TG_SPLIT: 0
	.section	.text._ZN9rocsparseL35bsr2csr_block_dim_equals_one_kernelILj1024ElilEEvT2_S1_21rocsparse_index_base_PKT0_PKT1_PKS1_S2_PS3_PS6_PS1_,"axG",@progbits,_ZN9rocsparseL35bsr2csr_block_dim_equals_one_kernelILj1024ElilEEvT2_S1_21rocsparse_index_base_PKT0_PKT1_PKS1_S2_PS3_PS6_PS1_,comdat
	.globl	_ZN9rocsparseL35bsr2csr_block_dim_equals_one_kernelILj1024ElilEEvT2_S1_21rocsparse_index_base_PKT0_PKT1_PKS1_S2_PS3_PS6_PS1_ ; -- Begin function _ZN9rocsparseL35bsr2csr_block_dim_equals_one_kernelILj1024ElilEEvT2_S1_21rocsparse_index_base_PKT0_PKT1_PKS1_S2_PS3_PS6_PS1_
	.p2align	8
	.type	_ZN9rocsparseL35bsr2csr_block_dim_equals_one_kernelILj1024ElilEEvT2_S1_21rocsparse_index_base_PKT0_PKT1_PKS1_S2_PS3_PS6_PS1_,@function
_ZN9rocsparseL35bsr2csr_block_dim_equals_one_kernelILj1024ElilEEvT2_S1_21rocsparse_index_base_PKT0_PKT1_PKS1_S2_PS3_PS6_PS1_: ; @_ZN9rocsparseL35bsr2csr_block_dim_equals_one_kernelILj1024ElilEEvT2_S1_21rocsparse_index_base_PKT0_PKT1_PKS1_S2_PS3_PS6_PS1_
; %bb.0:
	v_lshl_or_b32 v0, s6, 10, v0
	v_mov_b32_e32 v1, 0
	s_load_dwordx2 s[14:15], s[4:5], 0x0
	s_load_dword s20, s[4:5], 0x10
	s_load_dwordx4 s[0:3], s[4:5], 0x18
	s_load_dwordx2 s[8:9], s[4:5], 0x28
	s_load_dword s21, s[4:5], 0x30
	s_load_dwordx2 s[10:11], s[4:5], 0x48
	s_load_dwordx2 s[12:13], s[4:5], 0x38
	s_waitcnt lgkmcnt(0)
	v_cmp_gt_i64_e32 vcc, s[14:15], v[0:1]
	s_and_saveexec_b64 s[6:7], vcc
	s_cbranch_execz .LBB78_6
; %bb.1:
	s_load_dwordx2 s[16:17], s[4:5], 0x40
	v_cmp_ne_u32_e32 vcc, 0, v0
                                        ; implicit-def: $sgpr22
	s_and_saveexec_b64 s[18:19], vcc
	s_xor_b64 s[18:19], exec, s[18:19]
; %bb.2:
	s_sub_i32 s22, s21, s20
; %bb.3:
	s_or_saveexec_b64 s[18:19], s[18:19]
	v_mov_b32_e32 v2, s22
	s_xor_b64 exec, exec, s[18:19]
	s_cbranch_execz .LBB78_5
; %bb.4:
	s_load_dword s22, s[2:3], 0x0
	s_sub_i32 s23, s21, s20
	v_mov_b32_e32 v2, 0
	s_waitcnt lgkmcnt(0)
	s_add_i32 s22, s23, s22
	v_mov_b32_e32 v3, s22
	global_store_dword v2, v3, s[16:17]
	v_mov_b32_e32 v2, s23
.LBB78_5:
	s_or_b64 exec, exec, s[18:19]
	v_lshlrev_b64 v[4:5], 2, v[0:1]
	v_mov_b32_e32 v3, s3
	v_add_co_u32_e32 v6, vcc, s2, v4
	v_addc_co_u32_e32 v7, vcc, v3, v5, vcc
	global_load_dword v3, v[6:7], off offset:4
	s_waitcnt lgkmcnt(0)
	v_mov_b32_e32 v6, s17
	s_waitcnt vmcnt(0)
	v_add_u32_e32 v7, v2, v3
	v_add_co_u32_e32 v2, vcc, s16, v4
	v_addc_co_u32_e32 v3, vcc, v6, v5, vcc
	global_store_dword v[2:3], v7, off offset:4
.LBB78_6:
	s_or_b64 exec, exec, s[6:7]
	s_lshl_b64 s[6:7], s[14:15], 2
	s_add_u32 s6, s2, s6
	s_addc_u32 s7, s3, s7
	s_load_dword s14, s[6:7], 0x0
	s_load_dword s15, s[2:3], 0x0
	s_waitcnt lgkmcnt(0)
	s_sub_i32 s2, s14, s15
	s_ashr_i32 s3, s2, 31
	v_cmp_gt_i64_e32 vcc, s[2:3], v[0:1]
	s_and_saveexec_b64 s[6:7], vcc
	s_cbranch_execz .LBB78_9
; %bb.7:
	s_load_dword s4, s[4:5], 0x50
	s_sub_u32 s16, s21, s20
	s_mov_b32 s5, 0
	s_subb_u32 s17, 0, 0
	v_lshlrev_b64 v[2:3], 3, v[0:1]
	s_waitcnt lgkmcnt(0)
	s_lshl_b32 s4, s4, 10
	s_lshl_b64 s[6:7], s[4:5], 3
	s_mov_b64 s[14:15], 0
	v_mov_b32_e32 v4, s9
	v_mov_b32_e32 v5, s17
	;; [unrolled: 1-line block ×7, first 2 shown]
.LBB78_8:                               ; =>This Inner Loop Header: Depth=1
	v_add_co_u32_e32 v12, vcc, s8, v2
	v_addc_co_u32_e32 v13, vcc, v4, v3, vcc
	v_add_co_u32_e32 v14, vcc, s0, v2
	v_addc_co_u32_e32 v15, vcc, v7, v3, vcc
	global_load_dwordx2 v[16:17], v[12:13], off
	global_load_dwordx2 v[18:19], v[14:15], off
	v_add_co_u32_e32 v12, vcc, s10, v2
	v_addc_co_u32_e32 v13, vcc, v6, v3, vcc
	v_add_co_u32_e32 v14, vcc, s12, v2
	v_addc_co_u32_e32 v15, vcc, v8, v3, vcc
	;; [unrolled: 2-line block ×4, first 2 shown]
	v_cmp_le_i64_e32 vcc, s[2:3], v[0:1]
	s_or_b64 s[14:15], vcc, s[14:15]
	s_waitcnt vmcnt(1)
	v_add_co_u32_e32 v16, vcc, s16, v16
	v_addc_co_u32_e32 v17, vcc, v5, v17, vcc
	s_waitcnt vmcnt(0)
	global_store_dwordx2 v[14:15], v[18:19], off
	global_store_dwordx2 v[12:13], v[16:17], off
	s_andn2_b64 exec, exec, s[14:15]
	s_cbranch_execnz .LBB78_8
.LBB78_9:
	s_endpgm
	.section	.rodata,"a",@progbits
	.p2align	6, 0x0
	.amdhsa_kernel _ZN9rocsparseL35bsr2csr_block_dim_equals_one_kernelILj1024ElilEEvT2_S1_21rocsparse_index_base_PKT0_PKT1_PKS1_S2_PS3_PS6_PS1_
		.amdhsa_group_segment_fixed_size 0
		.amdhsa_private_segment_fixed_size 0
		.amdhsa_kernarg_size 336
		.amdhsa_user_sgpr_count 6
		.amdhsa_user_sgpr_private_segment_buffer 1
		.amdhsa_user_sgpr_dispatch_ptr 0
		.amdhsa_user_sgpr_queue_ptr 0
		.amdhsa_user_sgpr_kernarg_segment_ptr 1
		.amdhsa_user_sgpr_dispatch_id 0
		.amdhsa_user_sgpr_flat_scratch_init 0
		.amdhsa_user_sgpr_kernarg_preload_length 0
		.amdhsa_user_sgpr_kernarg_preload_offset 0
		.amdhsa_user_sgpr_private_segment_size 0
		.amdhsa_uses_dynamic_stack 0
		.amdhsa_system_sgpr_private_segment_wavefront_offset 0
		.amdhsa_system_sgpr_workgroup_id_x 1
		.amdhsa_system_sgpr_workgroup_id_y 0
		.amdhsa_system_sgpr_workgroup_id_z 0
		.amdhsa_system_sgpr_workgroup_info 0
		.amdhsa_system_vgpr_workitem_id 0
		.amdhsa_next_free_vgpr 20
		.amdhsa_next_free_sgpr 24
		.amdhsa_accum_offset 20
		.amdhsa_reserve_vcc 1
		.amdhsa_reserve_flat_scratch 0
		.amdhsa_float_round_mode_32 0
		.amdhsa_float_round_mode_16_64 0
		.amdhsa_float_denorm_mode_32 3
		.amdhsa_float_denorm_mode_16_64 3
		.amdhsa_dx10_clamp 1
		.amdhsa_ieee_mode 1
		.amdhsa_fp16_overflow 0
		.amdhsa_tg_split 0
		.amdhsa_exception_fp_ieee_invalid_op 0
		.amdhsa_exception_fp_denorm_src 0
		.amdhsa_exception_fp_ieee_div_zero 0
		.amdhsa_exception_fp_ieee_overflow 0
		.amdhsa_exception_fp_ieee_underflow 0
		.amdhsa_exception_fp_ieee_inexact 0
		.amdhsa_exception_int_div_zero 0
	.end_amdhsa_kernel
	.section	.text._ZN9rocsparseL35bsr2csr_block_dim_equals_one_kernelILj1024ElilEEvT2_S1_21rocsparse_index_base_PKT0_PKT1_PKS1_S2_PS3_PS6_PS1_,"axG",@progbits,_ZN9rocsparseL35bsr2csr_block_dim_equals_one_kernelILj1024ElilEEvT2_S1_21rocsparse_index_base_PKT0_PKT1_PKS1_S2_PS3_PS6_PS1_,comdat
.Lfunc_end78:
	.size	_ZN9rocsparseL35bsr2csr_block_dim_equals_one_kernelILj1024ElilEEvT2_S1_21rocsparse_index_base_PKT0_PKT1_PKS1_S2_PS3_PS6_PS1_, .Lfunc_end78-_ZN9rocsparseL35bsr2csr_block_dim_equals_one_kernelILj1024ElilEEvT2_S1_21rocsparse_index_base_PKT0_PKT1_PKS1_S2_PS3_PS6_PS1_
                                        ; -- End function
	.section	.AMDGPU.csdata,"",@progbits
; Kernel info:
; codeLenInByte = 472
; NumSgprs: 28
; NumVgprs: 20
; NumAgprs: 0
; TotalNumVgprs: 20
; ScratchSize: 0
; MemoryBound: 0
; FloatMode: 240
; IeeeMode: 1
; LDSByteSize: 0 bytes/workgroup (compile time only)
; SGPRBlocks: 3
; VGPRBlocks: 2
; NumSGPRsForWavesPerEU: 28
; NumVGPRsForWavesPerEU: 20
; AccumOffset: 20
; Occupancy: 8
; WaveLimiterHint : 0
; COMPUTE_PGM_RSRC2:SCRATCH_EN: 0
; COMPUTE_PGM_RSRC2:USER_SGPR: 6
; COMPUTE_PGM_RSRC2:TRAP_HANDLER: 0
; COMPUTE_PGM_RSRC2:TGID_X_EN: 1
; COMPUTE_PGM_RSRC2:TGID_Y_EN: 0
; COMPUTE_PGM_RSRC2:TGID_Z_EN: 0
; COMPUTE_PGM_RSRC2:TIDIG_COMP_CNT: 0
; COMPUTE_PGM_RSRC3_GFX90A:ACCUM_OFFSET: 4
; COMPUTE_PGM_RSRC3_GFX90A:TG_SPLIT: 0
	.section	.text._ZN9rocsparseL32bsr2csr_block_per_row_2_7_kernelILj256ELj2ElilEEv20rocsparse_direction_T3_S2_21rocsparse_index_base_PKT1_PKT2_PKS2_S2_S3_PS4_PS7_PS2_,"axG",@progbits,_ZN9rocsparseL32bsr2csr_block_per_row_2_7_kernelILj256ELj2ElilEEv20rocsparse_direction_T3_S2_21rocsparse_index_base_PKT1_PKT2_PKS2_S2_S3_PS4_PS7_PS2_,comdat
	.globl	_ZN9rocsparseL32bsr2csr_block_per_row_2_7_kernelILj256ELj2ElilEEv20rocsparse_direction_T3_S2_21rocsparse_index_base_PKT1_PKT2_PKS2_S2_S3_PS4_PS7_PS2_ ; -- Begin function _ZN9rocsparseL32bsr2csr_block_per_row_2_7_kernelILj256ELj2ElilEEv20rocsparse_direction_T3_S2_21rocsparse_index_base_PKT1_PKT2_PKS2_S2_S3_PS4_PS7_PS2_
	.p2align	8
	.type	_ZN9rocsparseL32bsr2csr_block_per_row_2_7_kernelILj256ELj2ElilEEv20rocsparse_direction_T3_S2_21rocsparse_index_base_PKT1_PKT2_PKS2_S2_S3_PS4_PS7_PS2_,@function
_ZN9rocsparseL32bsr2csr_block_per_row_2_7_kernelILj256ELj2ElilEEv20rocsparse_direction_T3_S2_21rocsparse_index_base_PKT1_PKT2_PKS2_S2_S3_PS4_PS7_PS2_: ; @_ZN9rocsparseL32bsr2csr_block_per_row_2_7_kernelILj256ELj2ElilEEv20rocsparse_direction_T3_S2_21rocsparse_index_base_PKT1_PKT2_PKS2_S2_S3_PS4_PS7_PS2_
; %bb.0:
	s_load_dwordx2 s[0:1], s[4:5], 0x28
	s_load_dword s12, s[4:5], 0x40
	s_load_dwordx2 s[2:3], s[4:5], 0x50
	s_mov_b32 s7, 0
	s_lshl_b64 s[8:9], s[6:7], 2
	s_waitcnt lgkmcnt(0)
	s_add_u32 s0, s0, s8
	s_addc_u32 s1, s1, s9
	s_load_dwordx2 s[0:1], s[0:1], 0x0
	v_or_b32_e32 v1, s6, v0
	v_cmp_eq_u32_e32 vcc, 0, v1
	s_and_saveexec_b64 s[8:9], vcc
	s_cbranch_execz .LBB79_2
; %bb.1:
	v_mov_b32_e32 v1, 0
	v_mov_b32_e32 v2, s12
	global_store_dword v1, v2, s[2:3]
.LBB79_2:
	s_or_b64 exec, exec, s[8:9]
	s_load_dword s13, s[4:5], 0x18
	v_and_b32_e32 v10, 1, v0
	s_lshl_b64 s[6:7], s[6:7], 3
	v_lshl_or_b32 v3, v10, 2, s6
	v_mov_b32_e32 v5, s7
	s_waitcnt lgkmcnt(0)
	s_sub_i32 s8, s0, s13
	s_sub_i32 s14, s1, s13
	;; [unrolled: 1-line block ×3, first 2 shown]
	s_lshl_b32 s9, s9, 1
	s_lshl_b32 s1, s8, 2
	v_mul_lo_u32 v2, s9, v10
	s_add_i32 s9, s9, s12
	s_add_i32 s9, s9, s1
	v_mov_b32_e32 v6, s3
	v_add_co_u32_e32 v4, vcc, s2, v3
	v_lshrrev_b32_e32 v1, 1, v0
	v_add_u32_e32 v0, s9, v2
	v_addc_co_u32_e32 v5, vcc, v6, v5, vcc
	global_store_dword v[4:5], v0, off offset:4
	v_add_u32_e32 v0, s8, v1
	v_cmp_gt_i32_e32 vcc, s14, v0
	s_and_saveexec_b64 s[2:3], vcc
	s_cbranch_execz .LBB79_5
; %bb.3:
	s_load_dwordx2 s[2:3], s[4:5], 0x30
	s_load_dwordx2 s[6:7], s[4:5], 0x48
	;; [unrolled: 1-line block ×3, first 2 shown]
	s_load_dword s1, s[4:5], 0x0
	s_load_dwordx2 s[10:11], s[4:5], 0x58
	v_lshlrev_b32_e32 v1, 1, v1
	v_mov_b32_e32 v3, 0
	s_mov_b32 s17, 0
	s_waitcnt lgkmcnt(0)
	s_cmp_eq_u32 s1, 0
	s_cselect_b64 vcc, -1, 0
	s_add_u32 s15, s8, 8
	s_addc_u32 s1, s9, 0
	s_add_u32 s16, s8, 16
	s_addc_u32 s19, s9, 0
	s_lshl_b32 s0, s0, 2
	v_add3_u32 v1, v2, s0, v1
	s_lshl_b32 s0, s13, 2
	v_lshlrev_b32_e32 v4, 1, v10
	v_mov_b32_e32 v5, v3
	v_subrev_u32_e32 v6, s0, v1
	v_lshlrev_b32_e32 v11, 2, v0
	s_mov_b64 s[4:5], 0
	v_mov_b32_e32 v12, s3
	v_mov_b32_e32 v13, s17
	;; [unrolled: 1-line block ×9, first 2 shown]
.LBB79_4:                               ; =>This Inner Loop Header: Depth=1
	v_ashrrev_i32_e32 v1, 31, v0
	v_lshlrev_b64 v[22:23], 3, v[0:1]
	v_add_u32_e32 v2, v10, v11
	v_or_b32_e32 v20, v4, v11
	v_mov_b32_e32 v21, v5
	v_add_co_u32_e64 v22, s[0:1], s2, v22
	v_cndmask_b32_e32 v8, v2, v20, vcc
	v_lshlrev_b64 v[20:21], 3, v[20:21]
	v_addc_co_u32_e64 v23, s[0:1], v12, v23, s[0:1]
	v_add_co_u32_e64 v1, s[0:1], s15, v20
	v_lshlrev_b64 v[24:25], 3, v[2:3]
	v_addc_co_u32_e64 v2, s[0:1], v18, v21, s[0:1]
	v_add_co_u32_e64 v7, s[0:1], s16, v24
	v_lshlrev_b64 v[26:27], 3, v[8:9]
	v_addc_co_u32_e64 v8, s[0:1], v19, v25, s[0:1]
	global_load_dwordx2 v[24:25], v[22:23], off
	v_add_co_u32_e64 v26, s[0:1], s8, v26
	v_addc_co_u32_e64 v27, s[0:1], v16, v27, s[0:1]
	v_cndmask_b32_e32 v29, v8, v2, vcc
	v_cndmask_b32_e32 v28, v7, v1, vcc
	global_load_dwordx2 v[20:21], v[26:27], off
	global_load_dwordx2 v[22:23], v[28:29], off
	v_ashrrev_i32_e32 v7, 31, v6
	v_lshlrev_b64 v[26:27], 3, v[6:7]
	v_add_co_u32_e64 v28, s[0:1], s10, v26
	v_addc_co_u32_e64 v29, s[0:1], v15, v27, s[0:1]
	v_add_co_u32_e64 v26, s[0:1], s6, v26
	v_add_u32_e32 v0, 0x80, v0
	v_addc_co_u32_e64 v27, s[0:1], v17, v27, s[0:1]
	v_cmp_le_i32_e64 s[0:1], s14, v0
	s_or_b64 s[4:5], s[0:1], s[4:5]
	v_add_u32_e32 v11, 0x200, v11
	v_add_u32_e32 v6, 0x100, v6
	s_waitcnt vmcnt(2)
	v_subrev_co_u32_e64 v24, s[0:1], s13, v24
	v_subb_co_u32_e64 v25, s[0:1], v25, v13, s[0:1]
	v_lshlrev_b64 v[24:25], 1, v[24:25]
	s_waitcnt vmcnt(0)
	global_store_dwordx4 v[26:27], v[20:23], off
	s_nop 0
	v_add_co_u32_e64 v20, s[0:1], s12, v24
	v_addc_co_u32_e64 v21, s[0:1], v25, v14, s[0:1]
	v_add_co_u32_e64 v22, s[0:1], 1, v20
	v_addc_co_u32_e64 v23, s[0:1], 0, v21, s[0:1]
	global_store_dwordx4 v[28:29], v[20:23], off
	s_andn2_b64 exec, exec, s[4:5]
	s_cbranch_execnz .LBB79_4
.LBB79_5:
	s_endpgm
	.section	.rodata,"a",@progbits
	.p2align	6, 0x0
	.amdhsa_kernel _ZN9rocsparseL32bsr2csr_block_per_row_2_7_kernelILj256ELj2ElilEEv20rocsparse_direction_T3_S2_21rocsparse_index_base_PKT1_PKT2_PKS2_S2_S3_PS4_PS7_PS2_
		.amdhsa_group_segment_fixed_size 0
		.amdhsa_private_segment_fixed_size 0
		.amdhsa_kernarg_size 96
		.amdhsa_user_sgpr_count 6
		.amdhsa_user_sgpr_private_segment_buffer 1
		.amdhsa_user_sgpr_dispatch_ptr 0
		.amdhsa_user_sgpr_queue_ptr 0
		.amdhsa_user_sgpr_kernarg_segment_ptr 1
		.amdhsa_user_sgpr_dispatch_id 0
		.amdhsa_user_sgpr_flat_scratch_init 0
		.amdhsa_user_sgpr_kernarg_preload_length 0
		.amdhsa_user_sgpr_kernarg_preload_offset 0
		.amdhsa_user_sgpr_private_segment_size 0
		.amdhsa_uses_dynamic_stack 0
		.amdhsa_system_sgpr_private_segment_wavefront_offset 0
		.amdhsa_system_sgpr_workgroup_id_x 1
		.amdhsa_system_sgpr_workgroup_id_y 0
		.amdhsa_system_sgpr_workgroup_id_z 0
		.amdhsa_system_sgpr_workgroup_info 0
		.amdhsa_system_vgpr_workitem_id 0
		.amdhsa_next_free_vgpr 30
		.amdhsa_next_free_sgpr 20
		.amdhsa_accum_offset 32
		.amdhsa_reserve_vcc 1
		.amdhsa_reserve_flat_scratch 0
		.amdhsa_float_round_mode_32 0
		.amdhsa_float_round_mode_16_64 0
		.amdhsa_float_denorm_mode_32 3
		.amdhsa_float_denorm_mode_16_64 3
		.amdhsa_dx10_clamp 1
		.amdhsa_ieee_mode 1
		.amdhsa_fp16_overflow 0
		.amdhsa_tg_split 0
		.amdhsa_exception_fp_ieee_invalid_op 0
		.amdhsa_exception_fp_denorm_src 0
		.amdhsa_exception_fp_ieee_div_zero 0
		.amdhsa_exception_fp_ieee_overflow 0
		.amdhsa_exception_fp_ieee_underflow 0
		.amdhsa_exception_fp_ieee_inexact 0
		.amdhsa_exception_int_div_zero 0
	.end_amdhsa_kernel
	.section	.text._ZN9rocsparseL32bsr2csr_block_per_row_2_7_kernelILj256ELj2ElilEEv20rocsparse_direction_T3_S2_21rocsparse_index_base_PKT1_PKT2_PKS2_S2_S3_PS4_PS7_PS2_,"axG",@progbits,_ZN9rocsparseL32bsr2csr_block_per_row_2_7_kernelILj256ELj2ElilEEv20rocsparse_direction_T3_S2_21rocsparse_index_base_PKT1_PKT2_PKS2_S2_S3_PS4_PS7_PS2_,comdat
.Lfunc_end79:
	.size	_ZN9rocsparseL32bsr2csr_block_per_row_2_7_kernelILj256ELj2ElilEEv20rocsparse_direction_T3_S2_21rocsparse_index_base_PKT1_PKT2_PKS2_S2_S3_PS4_PS7_PS2_, .Lfunc_end79-_ZN9rocsparseL32bsr2csr_block_per_row_2_7_kernelILj256ELj2ElilEEv20rocsparse_direction_T3_S2_21rocsparse_index_base_PKT1_PKT2_PKS2_S2_S3_PS4_PS7_PS2_
                                        ; -- End function
	.section	.AMDGPU.csdata,"",@progbits
; Kernel info:
; codeLenInByte = 676
; NumSgprs: 24
; NumVgprs: 30
; NumAgprs: 0
; TotalNumVgprs: 30
; ScratchSize: 0
; MemoryBound: 0
; FloatMode: 240
; IeeeMode: 1
; LDSByteSize: 0 bytes/workgroup (compile time only)
; SGPRBlocks: 2
; VGPRBlocks: 3
; NumSGPRsForWavesPerEU: 24
; NumVGPRsForWavesPerEU: 30
; AccumOffset: 32
; Occupancy: 8
; WaveLimiterHint : 0
; COMPUTE_PGM_RSRC2:SCRATCH_EN: 0
; COMPUTE_PGM_RSRC2:USER_SGPR: 6
; COMPUTE_PGM_RSRC2:TRAP_HANDLER: 0
; COMPUTE_PGM_RSRC2:TGID_X_EN: 1
; COMPUTE_PGM_RSRC2:TGID_Y_EN: 0
; COMPUTE_PGM_RSRC2:TGID_Z_EN: 0
; COMPUTE_PGM_RSRC2:TIDIG_COMP_CNT: 0
; COMPUTE_PGM_RSRC3_GFX90A:ACCUM_OFFSET: 7
; COMPUTE_PGM_RSRC3_GFX90A:TG_SPLIT: 0
	.section	.text._ZN9rocsparseL32bsr2csr_block_per_row_2_7_kernelILj256ELj3ElilEEv20rocsparse_direction_T3_S2_21rocsparse_index_base_PKT1_PKT2_PKS2_S2_S3_PS4_PS7_PS2_,"axG",@progbits,_ZN9rocsparseL32bsr2csr_block_per_row_2_7_kernelILj256ELj3ElilEEv20rocsparse_direction_T3_S2_21rocsparse_index_base_PKT1_PKT2_PKS2_S2_S3_PS4_PS7_PS2_,comdat
	.globl	_ZN9rocsparseL32bsr2csr_block_per_row_2_7_kernelILj256ELj3ElilEEv20rocsparse_direction_T3_S2_21rocsparse_index_base_PKT1_PKT2_PKS2_S2_S3_PS4_PS7_PS2_ ; -- Begin function _ZN9rocsparseL32bsr2csr_block_per_row_2_7_kernelILj256ELj3ElilEEv20rocsparse_direction_T3_S2_21rocsparse_index_base_PKT1_PKT2_PKS2_S2_S3_PS4_PS7_PS2_
	.p2align	8
	.type	_ZN9rocsparseL32bsr2csr_block_per_row_2_7_kernelILj256ELj3ElilEEv20rocsparse_direction_T3_S2_21rocsparse_index_base_PKT1_PKT2_PKS2_S2_S3_PS4_PS7_PS2_,@function
_ZN9rocsparseL32bsr2csr_block_per_row_2_7_kernelILj256ELj3ElilEEv20rocsparse_direction_T3_S2_21rocsparse_index_base_PKT1_PKT2_PKS2_S2_S3_PS4_PS7_PS2_: ; @_ZN9rocsparseL32bsr2csr_block_per_row_2_7_kernelILj256ELj3ElilEEv20rocsparse_direction_T3_S2_21rocsparse_index_base_PKT1_PKT2_PKS2_S2_S3_PS4_PS7_PS2_
; %bb.0:
	s_load_dwordx2 s[2:3], s[4:5], 0x28
	s_load_dword s8, s[4:5], 0x40
	s_load_dwordx2 s[0:1], s[4:5], 0x50
	s_mov_b32 s7, 0
	s_lshl_b64 s[10:11], s[6:7], 2
	s_waitcnt lgkmcnt(0)
	s_add_u32 s10, s2, s10
	v_or_b32_e32 v1, s6, v0
	s_addc_u32 s11, s3, s11
	v_cmp_eq_u32_e32 vcc, 0, v1
	s_and_saveexec_b64 s[2:3], vcc
	s_cbranch_execz .LBB80_2
; %bb.1:
	v_mov_b32_e32 v1, 0
	v_mov_b32_e32 v2, s8
	global_store_dword v1, v2, s[0:1]
.LBB80_2:
	s_or_b64 exec, exec, s[2:3]
	v_and_b32_e32 v1, 3, v0
	v_cmp_ne_u32_e32 vcc, 3, v1
	s_and_saveexec_b64 s[2:3], vcc
	s_cbranch_execz .LBB80_6
; %bb.3:
	s_load_dwordx2 s[2:3], s[10:11], 0x0
	s_load_dword s14, s[4:5], 0x18
	v_lshrrev_b32_e32 v4, 2, v0
	v_lshlrev_b32_e32 v2, 2, v1
	s_waitcnt lgkmcnt(0)
	s_sub_i32 s7, s2, s14
	s_sub_i32 s15, s3, s14
	;; [unrolled: 1-line block ×3, first 2 shown]
	s_mul_i32 s9, s9, 3
	s_mul_i32 s3, s7, 9
	v_mul_lo_u32 v5, s9, v1
	s_add_i32 s9, s9, s8
	s_add_i32 s9, s9, s3
	s_mul_hi_u32 s3, s6, 12
	s_mul_i32 s6, s6, 12
	s_add_u32 s0, s0, s6
	v_add_u32_e32 v0, s9, v5
	s_addc_u32 s1, s1, s3
	global_store_dword v2, v0, s[0:1] offset:4
	v_add_u32_e32 v0, s7, v4
	v_cmp_gt_i32_e32 vcc, s15, v0
	s_and_b64 exec, exec, vcc
	s_cbranch_execz .LBB80_6
; %bb.4:
	s_load_dwordx2 s[6:7], s[4:5], 0x30
	s_load_dwordx2 s[10:11], s[4:5], 0x48
	;; [unrolled: 1-line block ×3, first 2 shown]
	s_load_dword s3, s[4:5], 0x0
	s_load_dwordx2 s[12:13], s[4:5], 0x58
	v_lshlrev_b32_e32 v2, 3, v1
	v_lshlrev_b32_e32 v1, 4, v1
	s_waitcnt lgkmcnt(0)
	v_mov_b32_e32 v7, s1
	v_add_co_u32_e64 v6, s[0:1], s0, v2
	v_addc_co_u32_e64 v7, s[0:1], 0, v7, s[0:1]
	v_add_co_u32_e64 v8, s[0:1], v6, v1
	v_addc_co_u32_e64 v9, s[0:1], 0, v7, s[0:1]
	s_mul_i32 s0, s2, 9
	v_mul_u32_u24_e32 v1, 3, v4
	s_mov_b32 s16, 0
	s_cmp_eq_u32 s3, 0
	v_add3_u32 v1, v5, s0, v1
	s_mul_i32 s0, s14, 9
	v_mov_b32_e32 v3, 0
	s_mov_b32 s9, s16
	s_cselect_b64 vcc, -1, 0
	v_lshl_add_u32 v2, v0, 3, v0
	v_subrev_u32_e32 v4, s0, v1
	s_mov_b64 s[4:5], 0
	v_mov_b32_e32 v10, s7
	v_mov_b32_e32 v11, s16
	v_mov_b32_e32 v12, s13
	v_mov_b32_e32 v13, s11
.LBB80_5:                               ; =>This Inner Loop Header: Depth=1
	v_ashrrev_i32_e32 v1, 31, v0
	v_lshlrev_b64 v[14:15], 3, v[2:3]
	v_lshlrev_b64 v[16:17], 3, v[0:1]
	v_add_co_u32_e64 v1, s[0:1], v6, v14
	v_addc_co_u32_e64 v5, s[0:1], v7, v15, s[0:1]
	v_add_co_u32_e64 v14, s[0:1], v8, v14
	v_addc_co_u32_e64 v15, s[0:1], v9, v15, s[0:1]
	;; [unrolled: 2-line block ×6, first 2 shown]
	v_cndmask_b32_e32 v19, v5, v15, vcc
	v_cndmask_b32_e32 v18, v1, v14, vcc
	v_add_co_u32_e64 v1, s[0:1], 48, v1
	v_addc_co_u32_e64 v5, s[0:1], 0, v5, s[0:1]
	global_load_dwordx2 v[20:21], v[16:17], off
	global_load_dwordx2 v[14:15], v[18:19], off
	v_cndmask_b32_e32 v19, v25, v23, vcc
	v_cndmask_b32_e32 v18, v24, v22, vcc
	;; [unrolled: 1-line block ×4, first 2 shown]
	global_load_dwordx2 v[16:17], v[18:19], off
	global_load_dwordx2 v[24:25], v[22:23], off
	v_ashrrev_i32_e32 v5, 31, v4
	v_lshlrev_b64 v[18:19], 3, v[4:5]
	v_add_co_u32_e64 v22, s[0:1], s12, v18
	v_addc_co_u32_e64 v23, s[0:1], v12, v19, s[0:1]
	v_add_co_u32_e64 v18, s[0:1], s10, v18
	v_add_u32_e32 v0, 64, v0
	v_addc_co_u32_e64 v19, s[0:1], v13, v19, s[0:1]
	v_cmp_le_i32_e64 s[0:1], s15, v0
	s_or_b64 s[4:5], s[0:1], s[4:5]
	v_add_u32_e32 v2, 0x240, v2
	v_add_u32_e32 v4, 0xc0, v4
	s_waitcnt vmcnt(1)
	global_store_dwordx4 v[18:19], v[14:17], off
	s_waitcnt vmcnt(1)
	global_store_dwordx2 v[18:19], v[24:25], off offset:16
	v_subrev_co_u32_e64 v1, s[0:1], s14, v20
	v_subb_co_u32_e64 v5, s[0:1], v21, v11, s[0:1]
	v_mad_u64_u32 v[20:21], s[0:1], v1, 3, s[8:9]
	v_mov_b32_e32 v16, v21
	v_mad_u64_u32 v[16:17], s[0:1], v5, 3, v[16:17]
	v_mov_b32_e32 v1, v16
	v_mov_b32_e32 v15, v16
	v_add_co_u32_e64 v16, s[2:3], 1, v20
	v_mov_b32_e32 v14, v20
	v_add_co_u32_e64 v18, s[0:1], 2, v20
	v_addc_co_u32_e64 v17, s[2:3], 0, v1, s[2:3]
	v_addc_co_u32_e64 v19, s[0:1], 0, v1, s[0:1]
	global_store_dwordx4 v[22:23], v[14:17], off
	global_store_dwordx2 v[22:23], v[18:19], off offset:16
	s_andn2_b64 exec, exec, s[4:5]
	s_cbranch_execnz .LBB80_5
.LBB80_6:
	s_endpgm
	.section	.rodata,"a",@progbits
	.p2align	6, 0x0
	.amdhsa_kernel _ZN9rocsparseL32bsr2csr_block_per_row_2_7_kernelILj256ELj3ElilEEv20rocsparse_direction_T3_S2_21rocsparse_index_base_PKT1_PKT2_PKS2_S2_S3_PS4_PS7_PS2_
		.amdhsa_group_segment_fixed_size 0
		.amdhsa_private_segment_fixed_size 0
		.amdhsa_kernarg_size 96
		.amdhsa_user_sgpr_count 6
		.amdhsa_user_sgpr_private_segment_buffer 1
		.amdhsa_user_sgpr_dispatch_ptr 0
		.amdhsa_user_sgpr_queue_ptr 0
		.amdhsa_user_sgpr_kernarg_segment_ptr 1
		.amdhsa_user_sgpr_dispatch_id 0
		.amdhsa_user_sgpr_flat_scratch_init 0
		.amdhsa_user_sgpr_kernarg_preload_length 0
		.amdhsa_user_sgpr_kernarg_preload_offset 0
		.amdhsa_user_sgpr_private_segment_size 0
		.amdhsa_uses_dynamic_stack 0
		.amdhsa_system_sgpr_private_segment_wavefront_offset 0
		.amdhsa_system_sgpr_workgroup_id_x 1
		.amdhsa_system_sgpr_workgroup_id_y 0
		.amdhsa_system_sgpr_workgroup_id_z 0
		.amdhsa_system_sgpr_workgroup_info 0
		.amdhsa_system_vgpr_workitem_id 0
		.amdhsa_next_free_vgpr 28
		.amdhsa_next_free_sgpr 17
		.amdhsa_accum_offset 28
		.amdhsa_reserve_vcc 1
		.amdhsa_reserve_flat_scratch 0
		.amdhsa_float_round_mode_32 0
		.amdhsa_float_round_mode_16_64 0
		.amdhsa_float_denorm_mode_32 3
		.amdhsa_float_denorm_mode_16_64 3
		.amdhsa_dx10_clamp 1
		.amdhsa_ieee_mode 1
		.amdhsa_fp16_overflow 0
		.amdhsa_tg_split 0
		.amdhsa_exception_fp_ieee_invalid_op 0
		.amdhsa_exception_fp_denorm_src 0
		.amdhsa_exception_fp_ieee_div_zero 0
		.amdhsa_exception_fp_ieee_overflow 0
		.amdhsa_exception_fp_ieee_underflow 0
		.amdhsa_exception_fp_ieee_inexact 0
		.amdhsa_exception_int_div_zero 0
	.end_amdhsa_kernel
	.section	.text._ZN9rocsparseL32bsr2csr_block_per_row_2_7_kernelILj256ELj3ElilEEv20rocsparse_direction_T3_S2_21rocsparse_index_base_PKT1_PKT2_PKS2_S2_S3_PS4_PS7_PS2_,"axG",@progbits,_ZN9rocsparseL32bsr2csr_block_per_row_2_7_kernelILj256ELj3ElilEEv20rocsparse_direction_T3_S2_21rocsparse_index_base_PKT1_PKT2_PKS2_S2_S3_PS4_PS7_PS2_,comdat
.Lfunc_end80:
	.size	_ZN9rocsparseL32bsr2csr_block_per_row_2_7_kernelILj256ELj3ElilEEv20rocsparse_direction_T3_S2_21rocsparse_index_base_PKT1_PKT2_PKS2_S2_S3_PS4_PS7_PS2_, .Lfunc_end80-_ZN9rocsparseL32bsr2csr_block_per_row_2_7_kernelILj256ELj3ElilEEv20rocsparse_direction_T3_S2_21rocsparse_index_base_PKT1_PKT2_PKS2_S2_S3_PS4_PS7_PS2_
                                        ; -- End function
	.section	.AMDGPU.csdata,"",@progbits
; Kernel info:
; codeLenInByte = 760
; NumSgprs: 21
; NumVgprs: 28
; NumAgprs: 0
; TotalNumVgprs: 28
; ScratchSize: 0
; MemoryBound: 0
; FloatMode: 240
; IeeeMode: 1
; LDSByteSize: 0 bytes/workgroup (compile time only)
; SGPRBlocks: 2
; VGPRBlocks: 3
; NumSGPRsForWavesPerEU: 21
; NumVGPRsForWavesPerEU: 28
; AccumOffset: 28
; Occupancy: 8
; WaveLimiterHint : 0
; COMPUTE_PGM_RSRC2:SCRATCH_EN: 0
; COMPUTE_PGM_RSRC2:USER_SGPR: 6
; COMPUTE_PGM_RSRC2:TRAP_HANDLER: 0
; COMPUTE_PGM_RSRC2:TGID_X_EN: 1
; COMPUTE_PGM_RSRC2:TGID_Y_EN: 0
; COMPUTE_PGM_RSRC2:TGID_Z_EN: 0
; COMPUTE_PGM_RSRC2:TIDIG_COMP_CNT: 0
; COMPUTE_PGM_RSRC3_GFX90A:ACCUM_OFFSET: 6
; COMPUTE_PGM_RSRC3_GFX90A:TG_SPLIT: 0
	.section	.text._ZN9rocsparseL32bsr2csr_block_per_row_2_7_kernelILj256ELj4ElilEEv20rocsparse_direction_T3_S2_21rocsparse_index_base_PKT1_PKT2_PKS2_S2_S3_PS4_PS7_PS2_,"axG",@progbits,_ZN9rocsparseL32bsr2csr_block_per_row_2_7_kernelILj256ELj4ElilEEv20rocsparse_direction_T3_S2_21rocsparse_index_base_PKT1_PKT2_PKS2_S2_S3_PS4_PS7_PS2_,comdat
	.globl	_ZN9rocsparseL32bsr2csr_block_per_row_2_7_kernelILj256ELj4ElilEEv20rocsparse_direction_T3_S2_21rocsparse_index_base_PKT1_PKT2_PKS2_S2_S3_PS4_PS7_PS2_ ; -- Begin function _ZN9rocsparseL32bsr2csr_block_per_row_2_7_kernelILj256ELj4ElilEEv20rocsparse_direction_T3_S2_21rocsparse_index_base_PKT1_PKT2_PKS2_S2_S3_PS4_PS7_PS2_
	.p2align	8
	.type	_ZN9rocsparseL32bsr2csr_block_per_row_2_7_kernelILj256ELj4ElilEEv20rocsparse_direction_T3_S2_21rocsparse_index_base_PKT1_PKT2_PKS2_S2_S3_PS4_PS7_PS2_,@function
_ZN9rocsparseL32bsr2csr_block_per_row_2_7_kernelILj256ELj4ElilEEv20rocsparse_direction_T3_S2_21rocsparse_index_base_PKT1_PKT2_PKS2_S2_S3_PS4_PS7_PS2_: ; @_ZN9rocsparseL32bsr2csr_block_per_row_2_7_kernelILj256ELj4ElilEEv20rocsparse_direction_T3_S2_21rocsparse_index_base_PKT1_PKT2_PKS2_S2_S3_PS4_PS7_PS2_
; %bb.0:
	s_load_dwordx2 s[0:1], s[4:5], 0x28
	s_load_dword s12, s[4:5], 0x40
	s_load_dwordx2 s[2:3], s[4:5], 0x50
	s_mov_b32 s7, 0
	s_lshl_b64 s[8:9], s[6:7], 2
	s_waitcnt lgkmcnt(0)
	s_add_u32 s0, s0, s8
	s_addc_u32 s1, s1, s9
	s_load_dwordx2 s[0:1], s[0:1], 0x0
	v_or_b32_e32 v1, s6, v0
	v_cmp_eq_u32_e32 vcc, 0, v1
	s_and_saveexec_b64 s[8:9], vcc
	s_cbranch_execz .LBB81_2
; %bb.1:
	v_mov_b32_e32 v1, 0
	v_mov_b32_e32 v2, s12
	global_store_dword v1, v2, s[2:3]
.LBB81_2:
	s_or_b64 exec, exec, s[8:9]
	s_load_dword s13, s[4:5], 0x18
	v_and_b32_e32 v10, 3, v0
	s_lshl_b64 s[6:7], s[6:7], 4
	v_lshl_or_b32 v3, v10, 2, s6
	v_mov_b32_e32 v5, s7
	s_waitcnt lgkmcnt(0)
	s_sub_i32 s8, s0, s13
	s_sub_i32 s14, s1, s13
	;; [unrolled: 1-line block ×3, first 2 shown]
	s_lshl_b32 s9, s9, 2
	s_lshl_b32 s1, s8, 4
	v_mul_lo_u32 v2, s9, v10
	s_add_i32 s9, s9, s12
	s_add_i32 s9, s9, s1
	v_mov_b32_e32 v6, s3
	v_add_co_u32_e32 v4, vcc, s2, v3
	v_lshrrev_b32_e32 v1, 2, v0
	v_add_u32_e32 v0, s9, v2
	v_addc_co_u32_e32 v5, vcc, v6, v5, vcc
	global_store_dword v[4:5], v0, off offset:4
	v_add_u32_e32 v0, s8, v1
	v_cmp_gt_i32_e32 vcc, s14, v0
	s_and_saveexec_b64 s[2:3], vcc
	s_cbranch_execz .LBB81_5
; %bb.3:
	s_load_dwordx2 s[2:3], s[4:5], 0x30
	s_load_dwordx2 s[6:7], s[4:5], 0x48
	;; [unrolled: 1-line block ×3, first 2 shown]
	s_load_dword s1, s[4:5], 0x0
	s_load_dwordx2 s[10:11], s[4:5], 0x58
	v_lshlrev_b32_e32 v1, 2, v1
	v_mov_b32_e32 v3, 0
	s_mov_b32 s15, 0
	s_waitcnt lgkmcnt(0)
	s_cmp_eq_u32 s1, 0
	s_cselect_b64 vcc, -1, 0
	s_lshl_b32 s0, s0, 4
	v_add3_u32 v1, v2, s0, v1
	s_lshl_b32 s0, s13, 4
	v_lshlrev_b32_e32 v4, 2, v10
	v_mov_b32_e32 v5, v3
	v_subrev_u32_e32 v6, s0, v1
	v_lshlrev_b32_e32 v11, 4, v0
	s_mov_b64 s[4:5], 0
	v_mov_b32_e32 v12, s3
	v_mov_b32_e32 v13, s15
	;; [unrolled: 1-line block ×6, first 2 shown]
	s_movk_i32 s3, 0x60
	v_mov_b32_e32 v9, 0
.LBB81_4:                               ; =>This Inner Loop Header: Depth=1
	v_ashrrev_i32_e32 v1, 31, v0
	v_lshlrev_b64 v[20:21], 3, v[0:1]
	v_add_u32_e32 v2, v10, v11
	v_or_b32_e32 v18, v4, v11
	v_mov_b32_e32 v19, v5
	v_add_co_u32_e64 v20, s[0:1], s2, v20
	v_cndmask_b32_e32 v8, v2, v18, vcc
	v_lshlrev_b64 v[18:19], 3, v[18:19]
	v_addc_co_u32_e64 v21, s[0:1], v12, v21, s[0:1]
	v_add_co_u32_e64 v1, s[0:1], s8, v18
	v_lshlrev_b64 v[22:23], 3, v[2:3]
	v_addc_co_u32_e64 v2, s[0:1], v16, v19, s[0:1]
	v_add_co_u32_e64 v7, s[0:1], s8, v22
	;; [unrolled: 3-line block ×3, first 2 shown]
	v_addc_co_u32_e64 v19, s[0:1], v16, v25, s[0:1]
	global_load_dwordx2 v[26:27], v[20:21], off
	v_add_co_u32_e64 v20, s[0:1], 8, v1
	v_addc_co_u32_e64 v21, s[0:1], 0, v2, s[0:1]
	v_add_co_u32_e64 v22, s[0:1], 32, v7
	v_addc_co_u32_e64 v23, s[0:1], 0, v8, s[0:1]
	;; [unrolled: 2-line block ×6, first 2 shown]
	v_cndmask_b32_e32 v29, v23, v21, vcc
	v_cndmask_b32_e32 v28, v22, v20, vcc
	global_load_dwordx2 v[18:19], v[18:19], off
	v_cndmask_b32_e32 v31, v31, v25, vcc
	v_cndmask_b32_e32 v30, v30, v24, vcc
	v_cndmask_b32_e32 v33, v8, v2, vcc
	v_cndmask_b32_e32 v32, v7, v1, vcc
	global_load_dwordx2 v[20:21], v[28:29], off
	global_load_dwordx2 v[22:23], v[30:31], off
	;; [unrolled: 1-line block ×3, first 2 shown]
	v_ashrrev_i32_e32 v7, 31, v6
	v_lshlrev_b64 v[28:29], 3, v[6:7]
	v_add_co_u32_e64 v30, s[0:1], s10, v28
	v_addc_co_u32_e64 v31, s[0:1], v15, v29, s[0:1]
	v_add_co_u32_e64 v28, s[0:1], s6, v28
	v_add_u32_e32 v0, 64, v0
	v_addc_co_u32_e64 v29, s[0:1], v17, v29, s[0:1]
	v_cmp_le_i32_e64 s[0:1], s14, v0
	s_or_b64 s[4:5], s[0:1], s[4:5]
	v_add_u32_e32 v11, 0x400, v11
	v_add_u32_e32 v6, 0x100, v6
	s_waitcnt vmcnt(2)
	global_store_dwordx4 v[28:29], v[18:21], off
	s_waitcnt vmcnt(1)
	global_store_dwordx4 v[28:29], v[22:25], off offset:16
	v_subrev_co_u32_e64 v26, s[0:1], s13, v26
	v_subb_co_u32_e64 v27, s[0:1], v27, v13, s[0:1]
	v_lshlrev_b64 v[26:27], 2, v[26:27]
	v_add_co_u32_e64 v26, s[0:1], s12, v26
	v_addc_co_u32_e64 v27, s[0:1], v27, v14, s[0:1]
	v_add_co_u32_e64 v28, s[0:1], 1, v26
	v_addc_co_u32_e64 v29, s[0:1], 0, v27, s[0:1]
	;; [unrolled: 2-line block ×4, first 2 shown]
	global_store_dwordx4 v[30:31], v[26:29], off
	global_store_dwordx4 v[30:31], v[18:21], off offset:16
	s_andn2_b64 exec, exec, s[4:5]
	s_cbranch_execnz .LBB81_4
.LBB81_5:
	s_endpgm
	.section	.rodata,"a",@progbits
	.p2align	6, 0x0
	.amdhsa_kernel _ZN9rocsparseL32bsr2csr_block_per_row_2_7_kernelILj256ELj4ElilEEv20rocsparse_direction_T3_S2_21rocsparse_index_base_PKT1_PKT2_PKS2_S2_S3_PS4_PS7_PS2_
		.amdhsa_group_segment_fixed_size 0
		.amdhsa_private_segment_fixed_size 0
		.amdhsa_kernarg_size 96
		.amdhsa_user_sgpr_count 6
		.amdhsa_user_sgpr_private_segment_buffer 1
		.amdhsa_user_sgpr_dispatch_ptr 0
		.amdhsa_user_sgpr_queue_ptr 0
		.amdhsa_user_sgpr_kernarg_segment_ptr 1
		.amdhsa_user_sgpr_dispatch_id 0
		.amdhsa_user_sgpr_flat_scratch_init 0
		.amdhsa_user_sgpr_kernarg_preload_length 0
		.amdhsa_user_sgpr_kernarg_preload_offset 0
		.amdhsa_user_sgpr_private_segment_size 0
		.amdhsa_uses_dynamic_stack 0
		.amdhsa_system_sgpr_private_segment_wavefront_offset 0
		.amdhsa_system_sgpr_workgroup_id_x 1
		.amdhsa_system_sgpr_workgroup_id_y 0
		.amdhsa_system_sgpr_workgroup_id_z 0
		.amdhsa_system_sgpr_workgroup_info 0
		.amdhsa_system_vgpr_workitem_id 0
		.amdhsa_next_free_vgpr 34
		.amdhsa_next_free_sgpr 16
		.amdhsa_accum_offset 36
		.amdhsa_reserve_vcc 1
		.amdhsa_reserve_flat_scratch 0
		.amdhsa_float_round_mode_32 0
		.amdhsa_float_round_mode_16_64 0
		.amdhsa_float_denorm_mode_32 3
		.amdhsa_float_denorm_mode_16_64 3
		.amdhsa_dx10_clamp 1
		.amdhsa_ieee_mode 1
		.amdhsa_fp16_overflow 0
		.amdhsa_tg_split 0
		.amdhsa_exception_fp_ieee_invalid_op 0
		.amdhsa_exception_fp_denorm_src 0
		.amdhsa_exception_fp_ieee_div_zero 0
		.amdhsa_exception_fp_ieee_overflow 0
		.amdhsa_exception_fp_ieee_underflow 0
		.amdhsa_exception_fp_ieee_inexact 0
		.amdhsa_exception_int_div_zero 0
	.end_amdhsa_kernel
	.section	.text._ZN9rocsparseL32bsr2csr_block_per_row_2_7_kernelILj256ELj4ElilEEv20rocsparse_direction_T3_S2_21rocsparse_index_base_PKT1_PKT2_PKS2_S2_S3_PS4_PS7_PS2_,"axG",@progbits,_ZN9rocsparseL32bsr2csr_block_per_row_2_7_kernelILj256ELj4ElilEEv20rocsparse_direction_T3_S2_21rocsparse_index_base_PKT1_PKT2_PKS2_S2_S3_PS4_PS7_PS2_,comdat
.Lfunc_end81:
	.size	_ZN9rocsparseL32bsr2csr_block_per_row_2_7_kernelILj256ELj4ElilEEv20rocsparse_direction_T3_S2_21rocsparse_index_base_PKT1_PKT2_PKS2_S2_S3_PS4_PS7_PS2_, .Lfunc_end81-_ZN9rocsparseL32bsr2csr_block_per_row_2_7_kernelILj256ELj4ElilEEv20rocsparse_direction_T3_S2_21rocsparse_index_base_PKT1_PKT2_PKS2_S2_S3_PS4_PS7_PS2_
                                        ; -- End function
	.section	.AMDGPU.csdata,"",@progbits
; Kernel info:
; codeLenInByte = 824
; NumSgprs: 20
; NumVgprs: 34
; NumAgprs: 0
; TotalNumVgprs: 34
; ScratchSize: 0
; MemoryBound: 0
; FloatMode: 240
; IeeeMode: 1
; LDSByteSize: 0 bytes/workgroup (compile time only)
; SGPRBlocks: 2
; VGPRBlocks: 4
; NumSGPRsForWavesPerEU: 20
; NumVGPRsForWavesPerEU: 34
; AccumOffset: 36
; Occupancy: 8
; WaveLimiterHint : 0
; COMPUTE_PGM_RSRC2:SCRATCH_EN: 0
; COMPUTE_PGM_RSRC2:USER_SGPR: 6
; COMPUTE_PGM_RSRC2:TRAP_HANDLER: 0
; COMPUTE_PGM_RSRC2:TGID_X_EN: 1
; COMPUTE_PGM_RSRC2:TGID_Y_EN: 0
; COMPUTE_PGM_RSRC2:TGID_Z_EN: 0
; COMPUTE_PGM_RSRC2:TIDIG_COMP_CNT: 0
; COMPUTE_PGM_RSRC3_GFX90A:ACCUM_OFFSET: 8
; COMPUTE_PGM_RSRC3_GFX90A:TG_SPLIT: 0
	.section	.text._ZN9rocsparseL32bsr2csr_block_per_row_2_7_kernelILj256ELj5ElilEEv20rocsparse_direction_T3_S2_21rocsparse_index_base_PKT1_PKT2_PKS2_S2_S3_PS4_PS7_PS2_,"axG",@progbits,_ZN9rocsparseL32bsr2csr_block_per_row_2_7_kernelILj256ELj5ElilEEv20rocsparse_direction_T3_S2_21rocsparse_index_base_PKT1_PKT2_PKS2_S2_S3_PS4_PS7_PS2_,comdat
	.globl	_ZN9rocsparseL32bsr2csr_block_per_row_2_7_kernelILj256ELj5ElilEEv20rocsparse_direction_T3_S2_21rocsparse_index_base_PKT1_PKT2_PKS2_S2_S3_PS4_PS7_PS2_ ; -- Begin function _ZN9rocsparseL32bsr2csr_block_per_row_2_7_kernelILj256ELj5ElilEEv20rocsparse_direction_T3_S2_21rocsparse_index_base_PKT1_PKT2_PKS2_S2_S3_PS4_PS7_PS2_
	.p2align	8
	.type	_ZN9rocsparseL32bsr2csr_block_per_row_2_7_kernelILj256ELj5ElilEEv20rocsparse_direction_T3_S2_21rocsparse_index_base_PKT1_PKT2_PKS2_S2_S3_PS4_PS7_PS2_,@function
_ZN9rocsparseL32bsr2csr_block_per_row_2_7_kernelILj256ELj5ElilEEv20rocsparse_direction_T3_S2_21rocsparse_index_base_PKT1_PKT2_PKS2_S2_S3_PS4_PS7_PS2_: ; @_ZN9rocsparseL32bsr2csr_block_per_row_2_7_kernelILj256ELj5ElilEEv20rocsparse_direction_T3_S2_21rocsparse_index_base_PKT1_PKT2_PKS2_S2_S3_PS4_PS7_PS2_
; %bb.0:
	s_load_dwordx2 s[2:3], s[4:5], 0x28
	s_load_dword s8, s[4:5], 0x40
	s_load_dwordx2 s[0:1], s[4:5], 0x50
	s_mov_b32 s7, 0
	s_lshl_b64 s[10:11], s[6:7], 2
	s_waitcnt lgkmcnt(0)
	s_add_u32 s10, s2, s10
	v_or_b32_e32 v1, s6, v0
	s_addc_u32 s11, s3, s11
	v_cmp_eq_u32_e32 vcc, 0, v1
	s_and_saveexec_b64 s[2:3], vcc
	s_cbranch_execz .LBB82_2
; %bb.1:
	v_mov_b32_e32 v1, 0
	v_mov_b32_e32 v2, s8
	global_store_dword v1, v2, s[0:1]
.LBB82_2:
	s_or_b64 exec, exec, s[2:3]
	v_and_b32_e32 v1, 7, v0
	v_cmp_gt_u32_e32 vcc, 5, v1
	s_and_saveexec_b64 s[2:3], vcc
	s_cbranch_execz .LBB82_6
; %bb.3:
	s_load_dwordx2 s[2:3], s[10:11], 0x0
	s_load_dword s18, s[4:5], 0x18
	v_lshrrev_b32_e32 v4, 3, v0
	v_lshlrev_b32_e32 v2, 2, v1
	s_waitcnt lgkmcnt(0)
	s_sub_i32 s7, s2, s18
	s_sub_i32 s19, s3, s18
	;; [unrolled: 1-line block ×3, first 2 shown]
	s_mul_i32 s9, s9, 5
	s_mul_i32 s3, s7, 25
	v_mul_lo_u32 v5, s9, v1
	s_add_i32 s9, s9, s8
	s_add_i32 s9, s9, s3
	s_mul_hi_u32 s3, s6, 20
	s_mul_i32 s6, s6, 20
	s_add_u32 s0, s0, s6
	v_add_u32_e32 v0, s9, v5
	s_addc_u32 s1, s1, s3
	global_store_dword v2, v0, s[0:1] offset:4
	v_add_u32_e32 v0, s7, v4
	v_cmp_gt_i32_e32 vcc, s19, v0
	s_and_b64 exec, exec, vcc
	s_cbranch_execz .LBB82_6
; %bb.4:
	s_load_dwordx2 s[10:11], s[4:5], 0x30
	s_load_dwordx2 s[12:13], s[4:5], 0x48
	;; [unrolled: 1-line block ×3, first 2 shown]
	s_load_dword s0, s[4:5], 0x0
	s_load_dwordx2 s[14:15], s[4:5], 0x58
	v_lshlrev_b32_e32 v2, 3, v1
	v_lshlrev_b32_e32 v1, 5, v1
	s_waitcnt lgkmcnt(0)
	v_mov_b32_e32 v7, s7
	v_add_co_u32_e32 v6, vcc, s6, v2
	v_addc_co_u32_e32 v7, vcc, 0, v7, vcc
	v_add_co_u32_e32 v8, vcc, v6, v1
	s_mul_i32 s2, s2, 25
	v_mul_u32_u24_e32 v1, 5, v4
	s_mov_b32 s3, 0
	s_cmp_eq_u32 s0, 0
	v_add3_u32 v1, v5, s2, v1
	s_mul_i32 s2, s18, 25
	v_mov_b32_e32 v3, 0
	s_mov_b32 s9, s3
	s_cselect_b64 s[0:1], -1, 0
	v_addc_co_u32_e32 v9, vcc, 0, v7, vcc
	v_mul_lo_u32 v2, v0, 25
	v_subrev_u32_e32 v4, s2, v1
	s_mov_b64 s[16:17], 0
	v_mov_b32_e32 v10, s11
	v_mov_b32_e32 v11, s3
	;; [unrolled: 1-line block ×4, first 2 shown]
	s_movk_i32 s11, 0x50
	s_movk_i32 s13, 0x78
	;; [unrolled: 1-line block ×3, first 2 shown]
.LBB82_5:                               ; =>This Inner Loop Header: Depth=1
	v_ashrrev_i32_e32 v1, 31, v0
	v_lshlrev_b64 v[14:15], 3, v[2:3]
	v_lshlrev_b64 v[16:17], 3, v[0:1]
	v_add_co_u32_e32 v1, vcc, v6, v14
	v_addc_co_u32_e32 v5, vcc, v7, v15, vcc
	v_add_co_u32_e32 v14, vcc, v8, v14
	v_addc_co_u32_e32 v15, vcc, v9, v15, vcc
	;; [unrolled: 2-line block ×9, first 2 shown]
	v_add_co_u32_e32 v34, vcc, 32, v14
	v_cndmask_b32_e64 v19, v5, v15, s[0:1]
	v_cndmask_b32_e64 v18, v1, v14, s[0:1]
	v_addc_co_u32_e32 v35, vcc, 0, v15, vcc
	global_load_dwordx2 v[22:23], v[16:17], off
	global_load_dwordx2 v[14:15], v[18:19], off
	v_cndmask_b32_e64 v25, v25, v21, s[0:1]
	v_cndmask_b32_e64 v24, v24, v20, s[0:1]
	v_add_co_u32_e32 v1, vcc, s15, v1
	v_cndmask_b32_e64 v27, v29, v27, s[0:1]
	v_cndmask_b32_e64 v26, v28, v26, s[0:1]
	;; [unrolled: 1-line block ×4, first 2 shown]
	global_load_dwordx2 v[16:17], v[24:25], off
	global_load_dwordx2 v[18:19], v[26:27], off
	;; [unrolled: 1-line block ×3, first 2 shown]
	v_addc_co_u32_e32 v5, vcc, 0, v5, vcc
	v_cndmask_b32_e64 v30, v1, v34, s[0:1]
	v_cndmask_b32_e64 v31, v5, v35, s[0:1]
	global_load_dwordx2 v[24:25], v[30:31], off
	v_ashrrev_i32_e32 v5, 31, v4
	v_lshlrev_b64 v[26:27], 3, v[4:5]
	v_add_co_u32_e32 v28, vcc, s14, v26
	v_addc_co_u32_e32 v29, vcc, v12, v27, vcc
	v_add_co_u32_e32 v26, vcc, s12, v26
	v_add_u32_e32 v0, 32, v0
	v_addc_co_u32_e32 v27, vcc, v13, v27, vcc
	v_cmp_le_i32_e32 vcc, s19, v0
	s_or_b64 s[16:17], vcc, s[16:17]
	v_add_u32_e32 v2, 0x320, v2
	v_add_u32_e32 v4, 0xa0, v4
	s_waitcnt vmcnt(3)
	global_store_dwordx4 v[26:27], v[14:17], off
	s_waitcnt vmcnt(2)
	global_store_dwordx4 v[26:27], v[18:21], off offset:16
	v_subrev_co_u32_e32 v1, vcc, s18, v22
	v_subb_co_u32_e32 v5, vcc, v23, v11, vcc
	v_mad_u64_u32 v[22:23], s[2:3], v1, 5, s[8:9]
	v_mov_b32_e32 v16, v23
	v_mad_u64_u32 v[16:17], s[2:3], v5, 5, v[16:17]
	v_mov_b32_e32 v1, v16
	v_mov_b32_e32 v15, v16
	v_add_co_u32_e64 v16, s[6:7], 1, v22
	v_mov_b32_e32 v14, v22
	s_waitcnt vmcnt(2)
	global_store_dwordx2 v[26:27], v[24:25], off offset:32
	v_add_co_u32_e32 v18, vcc, 2, v22
	v_add_co_u32_e64 v20, s[2:3], 3, v22
	v_add_co_u32_e64 v24, s[4:5], 4, v22
	v_addc_co_u32_e64 v17, s[6:7], 0, v1, s[6:7]
	v_addc_co_u32_e32 v19, vcc, 0, v1, vcc
	v_addc_co_u32_e64 v21, vcc, 0, v1, s[2:3]
	v_addc_co_u32_e64 v25, vcc, 0, v1, s[4:5]
	global_store_dwordx4 v[28:29], v[14:17], off
	global_store_dwordx4 v[28:29], v[18:21], off offset:16
	global_store_dwordx2 v[28:29], v[24:25], off offset:32
	s_andn2_b64 exec, exec, s[16:17]
	s_cbranch_execnz .LBB82_5
.LBB82_6:
	s_endpgm
	.section	.rodata,"a",@progbits
	.p2align	6, 0x0
	.amdhsa_kernel _ZN9rocsparseL32bsr2csr_block_per_row_2_7_kernelILj256ELj5ElilEEv20rocsparse_direction_T3_S2_21rocsparse_index_base_PKT1_PKT2_PKS2_S2_S3_PS4_PS7_PS2_
		.amdhsa_group_segment_fixed_size 0
		.amdhsa_private_segment_fixed_size 0
		.amdhsa_kernarg_size 96
		.amdhsa_user_sgpr_count 6
		.amdhsa_user_sgpr_private_segment_buffer 1
		.amdhsa_user_sgpr_dispatch_ptr 0
		.amdhsa_user_sgpr_queue_ptr 0
		.amdhsa_user_sgpr_kernarg_segment_ptr 1
		.amdhsa_user_sgpr_dispatch_id 0
		.amdhsa_user_sgpr_flat_scratch_init 0
		.amdhsa_user_sgpr_kernarg_preload_length 0
		.amdhsa_user_sgpr_kernarg_preload_offset 0
		.amdhsa_user_sgpr_private_segment_size 0
		.amdhsa_uses_dynamic_stack 0
		.amdhsa_system_sgpr_private_segment_wavefront_offset 0
		.amdhsa_system_sgpr_workgroup_id_x 1
		.amdhsa_system_sgpr_workgroup_id_y 0
		.amdhsa_system_sgpr_workgroup_id_z 0
		.amdhsa_system_sgpr_workgroup_info 0
		.amdhsa_system_vgpr_workitem_id 0
		.amdhsa_next_free_vgpr 36
		.amdhsa_next_free_sgpr 20
		.amdhsa_accum_offset 36
		.amdhsa_reserve_vcc 1
		.amdhsa_reserve_flat_scratch 0
		.amdhsa_float_round_mode_32 0
		.amdhsa_float_round_mode_16_64 0
		.amdhsa_float_denorm_mode_32 3
		.amdhsa_float_denorm_mode_16_64 3
		.amdhsa_dx10_clamp 1
		.amdhsa_ieee_mode 1
		.amdhsa_fp16_overflow 0
		.amdhsa_tg_split 0
		.amdhsa_exception_fp_ieee_invalid_op 0
		.amdhsa_exception_fp_denorm_src 0
		.amdhsa_exception_fp_ieee_div_zero 0
		.amdhsa_exception_fp_ieee_overflow 0
		.amdhsa_exception_fp_ieee_underflow 0
		.amdhsa_exception_fp_ieee_inexact 0
		.amdhsa_exception_int_div_zero 0
	.end_amdhsa_kernel
	.section	.text._ZN9rocsparseL32bsr2csr_block_per_row_2_7_kernelILj256ELj5ElilEEv20rocsparse_direction_T3_S2_21rocsparse_index_base_PKT1_PKT2_PKS2_S2_S3_PS4_PS7_PS2_,"axG",@progbits,_ZN9rocsparseL32bsr2csr_block_per_row_2_7_kernelILj256ELj5ElilEEv20rocsparse_direction_T3_S2_21rocsparse_index_base_PKT1_PKT2_PKS2_S2_S3_PS4_PS7_PS2_,comdat
.Lfunc_end82:
	.size	_ZN9rocsparseL32bsr2csr_block_per_row_2_7_kernelILj256ELj5ElilEEv20rocsparse_direction_T3_S2_21rocsparse_index_base_PKT1_PKT2_PKS2_S2_S3_PS4_PS7_PS2_, .Lfunc_end82-_ZN9rocsparseL32bsr2csr_block_per_row_2_7_kernelILj256ELj5ElilEEv20rocsparse_direction_T3_S2_21rocsparse_index_base_PKT1_PKT2_PKS2_S2_S3_PS4_PS7_PS2_
                                        ; -- End function
	.section	.AMDGPU.csdata,"",@progbits
; Kernel info:
; codeLenInByte = 820
; NumSgprs: 24
; NumVgprs: 36
; NumAgprs: 0
; TotalNumVgprs: 36
; ScratchSize: 0
; MemoryBound: 0
; FloatMode: 240
; IeeeMode: 1
; LDSByteSize: 0 bytes/workgroup (compile time only)
; SGPRBlocks: 2
; VGPRBlocks: 4
; NumSGPRsForWavesPerEU: 24
; NumVGPRsForWavesPerEU: 36
; AccumOffset: 36
; Occupancy: 8
; WaveLimiterHint : 0
; COMPUTE_PGM_RSRC2:SCRATCH_EN: 0
; COMPUTE_PGM_RSRC2:USER_SGPR: 6
; COMPUTE_PGM_RSRC2:TRAP_HANDLER: 0
; COMPUTE_PGM_RSRC2:TGID_X_EN: 1
; COMPUTE_PGM_RSRC2:TGID_Y_EN: 0
; COMPUTE_PGM_RSRC2:TGID_Z_EN: 0
; COMPUTE_PGM_RSRC2:TIDIG_COMP_CNT: 0
; COMPUTE_PGM_RSRC3_GFX90A:ACCUM_OFFSET: 8
; COMPUTE_PGM_RSRC3_GFX90A:TG_SPLIT: 0
	.section	.text._ZN9rocsparseL32bsr2csr_block_per_row_2_7_kernelILj256ELj6ElilEEv20rocsparse_direction_T3_S2_21rocsparse_index_base_PKT1_PKT2_PKS2_S2_S3_PS4_PS7_PS2_,"axG",@progbits,_ZN9rocsparseL32bsr2csr_block_per_row_2_7_kernelILj256ELj6ElilEEv20rocsparse_direction_T3_S2_21rocsparse_index_base_PKT1_PKT2_PKS2_S2_S3_PS4_PS7_PS2_,comdat
	.globl	_ZN9rocsparseL32bsr2csr_block_per_row_2_7_kernelILj256ELj6ElilEEv20rocsparse_direction_T3_S2_21rocsparse_index_base_PKT1_PKT2_PKS2_S2_S3_PS4_PS7_PS2_ ; -- Begin function _ZN9rocsparseL32bsr2csr_block_per_row_2_7_kernelILj256ELj6ElilEEv20rocsparse_direction_T3_S2_21rocsparse_index_base_PKT1_PKT2_PKS2_S2_S3_PS4_PS7_PS2_
	.p2align	8
	.type	_ZN9rocsparseL32bsr2csr_block_per_row_2_7_kernelILj256ELj6ElilEEv20rocsparse_direction_T3_S2_21rocsparse_index_base_PKT1_PKT2_PKS2_S2_S3_PS4_PS7_PS2_,@function
_ZN9rocsparseL32bsr2csr_block_per_row_2_7_kernelILj256ELj6ElilEEv20rocsparse_direction_T3_S2_21rocsparse_index_base_PKT1_PKT2_PKS2_S2_S3_PS4_PS7_PS2_: ; @_ZN9rocsparseL32bsr2csr_block_per_row_2_7_kernelILj256ELj6ElilEEv20rocsparse_direction_T3_S2_21rocsparse_index_base_PKT1_PKT2_PKS2_S2_S3_PS4_PS7_PS2_
; %bb.0:
	s_load_dwordx2 s[2:3], s[4:5], 0x28
	s_load_dword s10, s[4:5], 0x40
	s_load_dwordx2 s[0:1], s[4:5], 0x50
	s_mov_b32 s7, 0
	s_lshl_b64 s[8:9], s[6:7], 2
	s_waitcnt lgkmcnt(0)
	s_add_u32 s8, s2, s8
	v_or_b32_e32 v1, s6, v0
	s_addc_u32 s9, s3, s9
	v_cmp_eq_u32_e32 vcc, 0, v1
	s_and_saveexec_b64 s[2:3], vcc
	s_cbranch_execz .LBB83_2
; %bb.1:
	v_mov_b32_e32 v1, 0
	v_mov_b32_e32 v2, s10
	global_store_dword v1, v2, s[0:1]
.LBB83_2:
	s_or_b64 exec, exec, s[2:3]
	v_and_b32_e32 v1, 7, v0
	v_cmp_gt_u32_e32 vcc, 6, v1
	s_and_saveexec_b64 s[2:3], vcc
	s_cbranch_execz .LBB83_6
; %bb.3:
	s_load_dwordx2 s[2:3], s[8:9], 0x0
	s_load_dword s20, s[4:5], 0x18
	v_lshrrev_b32_e32 v8, 3, v0
	v_lshlrev_b32_e32 v2, 2, v1
	s_waitcnt lgkmcnt(0)
	s_sub_i32 s7, s2, s20
	s_sub_i32 s21, s3, s20
	;; [unrolled: 1-line block ×3, first 2 shown]
	s_mul_i32 s8, s8, 6
	s_mul_i32 s3, s7, 36
	v_mul_lo_u32 v9, s8, v1
	s_add_i32 s8, s8, s10
	s_add_i32 s8, s8, s3
	s_mul_hi_u32 s3, s6, 24
	s_mul_i32 s6, s6, 24
	s_add_u32 s0, s0, s6
	v_add_u32_e32 v0, s8, v9
	s_addc_u32 s1, s1, s3
	global_store_dword v2, v0, s[0:1] offset:4
	v_add_u32_e32 v0, s7, v8
	v_cmp_gt_i32_e32 vcc, s21, v0
	s_and_b64 exec, exec, vcc
	s_cbranch_execz .LBB83_6
; %bb.4:
	s_load_dwordx2 s[12:13], s[4:5], 0x30
	s_load_dwordx2 s[14:15], s[4:5], 0x48
	;; [unrolled: 1-line block ×3, first 2 shown]
	s_load_dword s3, s[4:5], 0x0
	s_load_dwordx2 s[16:17], s[4:5], 0x58
	v_lshlrev_b32_e32 v2, 3, v1
	s_mov_b32 s4, 0
	s_waitcnt lgkmcnt(0)
	v_mov_b32_e32 v5, s1
	v_add_co_u32_e64 v4, s[0:1], s0, v2
	v_addc_co_u32_e64 v5, s[0:1], 0, v5, s[0:1]
	v_mad_u64_u32 v[6:7], s[0:1], v1, 40, v[4:5]
	s_mul_i32 s0, s2, 36
	v_mul_u32_u24_e32 v1, 6, v8
	s_cmp_eq_u32 s3, 0
	v_add3_u32 v1, v9, s0, v1
	s_mul_i32 s0, s20, 36
	v_mov_b32_e32 v3, 0
	s_mov_b32 s11, s4
	s_cselect_b64 vcc, -1, 0
	v_mul_lo_u32 v2, v0, 36
	v_subrev_u32_e32 v8, s0, v1
	s_mov_b64 s[18:19], 0
	v_mov_b32_e32 v10, s13
	v_mov_b32_e32 v11, s4
	;; [unrolled: 1-line block ×4, first 2 shown]
	s_movk_i32 s13, 0x60
	s_movk_i32 s15, 0x90
	;; [unrolled: 1-line block ×4, first 2 shown]
.LBB83_5:                               ; =>This Inner Loop Header: Depth=1
	v_ashrrev_i32_e32 v1, 31, v0
	v_lshlrev_b64 v[14:15], 3, v[2:3]
	v_lshlrev_b64 v[16:17], 3, v[0:1]
	v_add_co_u32_e64 v1, s[0:1], v4, v14
	v_addc_co_u32_e64 v9, s[0:1], v5, v15, s[0:1]
	v_add_co_u32_e64 v14, s[0:1], v6, v14
	v_addc_co_u32_e64 v15, s[0:1], v7, v15, s[0:1]
	v_add_co_u32_e64 v16, s[0:1], s12, v16
	v_addc_co_u32_e64 v17, s[0:1], v10, v17, s[0:1]
	v_add_co_u32_e64 v20, s[0:1], 8, v14
	v_addc_co_u32_e64 v21, s[0:1], 0, v15, s[0:1]
	v_add_co_u32_e64 v22, s[0:1], 48, v1
	v_addc_co_u32_e64 v23, s[0:1], 0, v9, s[0:1]
	v_add_co_u32_e64 v24, s[0:1], 16, v14
	v_addc_co_u32_e64 v25, s[0:1], 0, v15, s[0:1]
	v_add_co_u32_e64 v30, s[0:1], s13, v1
	v_addc_co_u32_e64 v31, s[0:1], 0, v9, s[0:1]
	v_add_co_u32_e64 v32, s[0:1], 24, v14
	v_addc_co_u32_e64 v33, s[0:1], 0, v15, s[0:1]
	v_add_co_u32_e64 v34, s[0:1], s15, v1
	v_addc_co_u32_e64 v35, s[0:1], 0, v9, s[0:1]
	v_add_co_u32_e64 v36, s[0:1], 32, v14
	v_addc_co_u32_e64 v37, s[0:1], 0, v15, s[0:1]
	v_add_co_u32_e64 v38, s[0:1], s17, v1
	v_addc_co_u32_e64 v39, s[0:1], 0, v9, s[0:1]
	v_add_co_u32_e64 v40, s[0:1], 40, v14
	v_addc_co_u32_e64 v41, s[0:1], 0, v15, s[0:1]
	v_cndmask_b32_e32 v18, v1, v14, vcc
	v_add_co_u32_e64 v1, s[0:1], s22, v1
	v_cndmask_b32_e32 v19, v9, v15, vcc
	v_addc_co_u32_e64 v9, s[0:1], 0, v9, s[0:1]
	global_load_dwordx2 v[26:27], v[16:17], off
	global_load_dwordx2 v[14:15], v[18:19], off
	v_cndmask_b32_e32 v29, v23, v21, vcc
	v_cndmask_b32_e32 v28, v22, v20, vcc
	;; [unrolled: 1-line block ×10, first 2 shown]
	global_load_dwordx2 v[16:17], v[28:29], off
	global_load_dwordx2 v[18:19], v[30:31], off
	;; [unrolled: 1-line block ×5, first 2 shown]
	v_ashrrev_i32_e32 v9, 31, v8
	v_lshlrev_b64 v[28:29], 3, v[8:9]
	v_add_co_u32_e64 v30, s[0:1], s16, v28
	v_addc_co_u32_e64 v31, s[0:1], v12, v29, s[0:1]
	v_add_co_u32_e64 v28, s[0:1], s14, v28
	v_add_u32_e32 v0, 32, v0
	v_addc_co_u32_e64 v29, s[0:1], v13, v29, s[0:1]
	v_cmp_le_i32_e64 s[0:1], s21, v0
	s_or_b64 s[18:19], s[0:1], s[18:19]
	v_add_u32_e32 v2, 0x480, v2
	v_add_u32_e32 v8, 0xc0, v8
	s_waitcnt vmcnt(4)
	global_store_dwordx4 v[28:29], v[14:17], off
	s_waitcnt vmcnt(3)
	global_store_dwordx4 v[28:29], v[18:21], off offset:16
	s_waitcnt vmcnt(2)
	global_store_dwordx4 v[28:29], v[22:25], off offset:32
	v_subrev_co_u32_e64 v1, s[0:1], s20, v26
	v_subb_co_u32_e64 v9, s[0:1], v27, v11, s[0:1]
	v_mad_u64_u32 v[26:27], s[0:1], v1, 6, s[10:11]
	v_mov_b32_e32 v16, v27
	v_mad_u64_u32 v[16:17], s[0:1], v9, 6, v[16:17]
	v_mov_b32_e32 v1, v16
	v_mov_b32_e32 v15, v16
	v_add_co_u32_e64 v16, s[8:9], 1, v26
	v_mov_b32_e32 v14, v26
	v_add_co_u32_e64 v18, s[0:1], 2, v26
	v_add_co_u32_e64 v20, s[2:3], 3, v26
	;; [unrolled: 1-line block ×4, first 2 shown]
	v_addc_co_u32_e64 v17, s[8:9], 0, v1, s[8:9]
	v_addc_co_u32_e64 v19, s[0:1], 0, v1, s[0:1]
	;; [unrolled: 1-line block ×5, first 2 shown]
	global_store_dwordx4 v[30:31], v[14:17], off
	global_store_dwordx4 v[30:31], v[18:21], off offset:16
	global_store_dwordx4 v[30:31], v[22:25], off offset:32
	s_andn2_b64 exec, exec, s[18:19]
	s_cbranch_execnz .LBB83_5
.LBB83_6:
	s_endpgm
	.section	.rodata,"a",@progbits
	.p2align	6, 0x0
	.amdhsa_kernel _ZN9rocsparseL32bsr2csr_block_per_row_2_7_kernelILj256ELj6ElilEEv20rocsparse_direction_T3_S2_21rocsparse_index_base_PKT1_PKT2_PKS2_S2_S3_PS4_PS7_PS2_
		.amdhsa_group_segment_fixed_size 0
		.amdhsa_private_segment_fixed_size 0
		.amdhsa_kernarg_size 96
		.amdhsa_user_sgpr_count 6
		.amdhsa_user_sgpr_private_segment_buffer 1
		.amdhsa_user_sgpr_dispatch_ptr 0
		.amdhsa_user_sgpr_queue_ptr 0
		.amdhsa_user_sgpr_kernarg_segment_ptr 1
		.amdhsa_user_sgpr_dispatch_id 0
		.amdhsa_user_sgpr_flat_scratch_init 0
		.amdhsa_user_sgpr_kernarg_preload_length 0
		.amdhsa_user_sgpr_kernarg_preload_offset 0
		.amdhsa_user_sgpr_private_segment_size 0
		.amdhsa_uses_dynamic_stack 0
		.amdhsa_system_sgpr_private_segment_wavefront_offset 0
		.amdhsa_system_sgpr_workgroup_id_x 1
		.amdhsa_system_sgpr_workgroup_id_y 0
		.amdhsa_system_sgpr_workgroup_id_z 0
		.amdhsa_system_sgpr_workgroup_info 0
		.amdhsa_system_vgpr_workitem_id 0
		.amdhsa_next_free_vgpr 42
		.amdhsa_next_free_sgpr 23
		.amdhsa_accum_offset 44
		.amdhsa_reserve_vcc 1
		.amdhsa_reserve_flat_scratch 0
		.amdhsa_float_round_mode_32 0
		.amdhsa_float_round_mode_16_64 0
		.amdhsa_float_denorm_mode_32 3
		.amdhsa_float_denorm_mode_16_64 3
		.amdhsa_dx10_clamp 1
		.amdhsa_ieee_mode 1
		.amdhsa_fp16_overflow 0
		.amdhsa_tg_split 0
		.amdhsa_exception_fp_ieee_invalid_op 0
		.amdhsa_exception_fp_denorm_src 0
		.amdhsa_exception_fp_ieee_div_zero 0
		.amdhsa_exception_fp_ieee_overflow 0
		.amdhsa_exception_fp_ieee_underflow 0
		.amdhsa_exception_fp_ieee_inexact 0
		.amdhsa_exception_int_div_zero 0
	.end_amdhsa_kernel
	.section	.text._ZN9rocsparseL32bsr2csr_block_per_row_2_7_kernelILj256ELj6ElilEEv20rocsparse_direction_T3_S2_21rocsparse_index_base_PKT1_PKT2_PKS2_S2_S3_PS4_PS7_PS2_,"axG",@progbits,_ZN9rocsparseL32bsr2csr_block_per_row_2_7_kernelILj256ELj6ElilEEv20rocsparse_direction_T3_S2_21rocsparse_index_base_PKT1_PKT2_PKS2_S2_S3_PS4_PS7_PS2_,comdat
.Lfunc_end83:
	.size	_ZN9rocsparseL32bsr2csr_block_per_row_2_7_kernelILj256ELj6ElilEEv20rocsparse_direction_T3_S2_21rocsparse_index_base_PKT1_PKT2_PKS2_S2_S3_PS4_PS7_PS2_, .Lfunc_end83-_ZN9rocsparseL32bsr2csr_block_per_row_2_7_kernelILj256ELj6ElilEEv20rocsparse_direction_T3_S2_21rocsparse_index_base_PKT1_PKT2_PKS2_S2_S3_PS4_PS7_PS2_
                                        ; -- End function
	.section	.AMDGPU.csdata,"",@progbits
; Kernel info:
; codeLenInByte = 976
; NumSgprs: 27
; NumVgprs: 42
; NumAgprs: 0
; TotalNumVgprs: 42
; ScratchSize: 0
; MemoryBound: 0
; FloatMode: 240
; IeeeMode: 1
; LDSByteSize: 0 bytes/workgroup (compile time only)
; SGPRBlocks: 3
; VGPRBlocks: 5
; NumSGPRsForWavesPerEU: 27
; NumVGPRsForWavesPerEU: 42
; AccumOffset: 44
; Occupancy: 8
; WaveLimiterHint : 0
; COMPUTE_PGM_RSRC2:SCRATCH_EN: 0
; COMPUTE_PGM_RSRC2:USER_SGPR: 6
; COMPUTE_PGM_RSRC2:TRAP_HANDLER: 0
; COMPUTE_PGM_RSRC2:TGID_X_EN: 1
; COMPUTE_PGM_RSRC2:TGID_Y_EN: 0
; COMPUTE_PGM_RSRC2:TGID_Z_EN: 0
; COMPUTE_PGM_RSRC2:TIDIG_COMP_CNT: 0
; COMPUTE_PGM_RSRC3_GFX90A:ACCUM_OFFSET: 10
; COMPUTE_PGM_RSRC3_GFX90A:TG_SPLIT: 0
	.section	.text._ZN9rocsparseL32bsr2csr_block_per_row_2_7_kernelILj256ELj7ElilEEv20rocsparse_direction_T3_S2_21rocsparse_index_base_PKT1_PKT2_PKS2_S2_S3_PS4_PS7_PS2_,"axG",@progbits,_ZN9rocsparseL32bsr2csr_block_per_row_2_7_kernelILj256ELj7ElilEEv20rocsparse_direction_T3_S2_21rocsparse_index_base_PKT1_PKT2_PKS2_S2_S3_PS4_PS7_PS2_,comdat
	.globl	_ZN9rocsparseL32bsr2csr_block_per_row_2_7_kernelILj256ELj7ElilEEv20rocsparse_direction_T3_S2_21rocsparse_index_base_PKT1_PKT2_PKS2_S2_S3_PS4_PS7_PS2_ ; -- Begin function _ZN9rocsparseL32bsr2csr_block_per_row_2_7_kernelILj256ELj7ElilEEv20rocsparse_direction_T3_S2_21rocsparse_index_base_PKT1_PKT2_PKS2_S2_S3_PS4_PS7_PS2_
	.p2align	8
	.type	_ZN9rocsparseL32bsr2csr_block_per_row_2_7_kernelILj256ELj7ElilEEv20rocsparse_direction_T3_S2_21rocsparse_index_base_PKT1_PKT2_PKS2_S2_S3_PS4_PS7_PS2_,@function
_ZN9rocsparseL32bsr2csr_block_per_row_2_7_kernelILj256ELj7ElilEEv20rocsparse_direction_T3_S2_21rocsparse_index_base_PKT1_PKT2_PKS2_S2_S3_PS4_PS7_PS2_: ; @_ZN9rocsparseL32bsr2csr_block_per_row_2_7_kernelILj256ELj7ElilEEv20rocsparse_direction_T3_S2_21rocsparse_index_base_PKT1_PKT2_PKS2_S2_S3_PS4_PS7_PS2_
; %bb.0:
	s_load_dwordx2 s[2:3], s[4:5], 0x28
	s_load_dword s12, s[4:5], 0x40
	s_load_dwordx2 s[0:1], s[4:5], 0x50
	s_mov_b32 s7, 0
	s_lshl_b64 s[8:9], s[6:7], 2
	s_waitcnt lgkmcnt(0)
	s_add_u32 s8, s2, s8
	v_or_b32_e32 v1, s6, v0
	s_addc_u32 s9, s3, s9
	v_cmp_eq_u32_e32 vcc, 0, v1
	s_and_saveexec_b64 s[2:3], vcc
	s_cbranch_execz .LBB84_2
; %bb.1:
	v_mov_b32_e32 v1, 0
	v_mov_b32_e32 v2, s12
	global_store_dword v1, v2, s[0:1]
.LBB84_2:
	s_or_b64 exec, exec, s[2:3]
	v_and_b32_e32 v1, 7, v0
	v_cmp_ne_u32_e32 vcc, 7, v1
	s_and_saveexec_b64 s[2:3], vcc
	s_cbranch_execz .LBB84_6
; %bb.3:
	s_load_dwordx2 s[2:3], s[8:9], 0x0
	s_load_dword s22, s[4:5], 0x18
	v_lshrrev_b32_e32 v8, 3, v0
	v_lshlrev_b32_e32 v2, 2, v1
	s_waitcnt lgkmcnt(0)
	s_sub_i32 s7, s2, s22
	s_sub_i32 s23, s3, s22
	;; [unrolled: 1-line block ×3, first 2 shown]
	s_mul_i32 s8, s8, 7
	s_mul_i32 s3, s7, 49
	v_mul_lo_u32 v9, s8, v1
	s_add_i32 s8, s8, s12
	s_add_i32 s8, s8, s3
	s_mul_hi_u32 s3, s6, 28
	s_mul_i32 s6, s6, 28
	s_add_u32 s0, s0, s6
	v_add_u32_e32 v0, s8, v9
	s_addc_u32 s1, s1, s3
	global_store_dword v2, v0, s[0:1] offset:4
	v_add_u32_e32 v0, s7, v8
	v_cmp_gt_i32_e32 vcc, s23, v0
	s_and_b64 exec, exec, vcc
	s_cbranch_execz .LBB84_6
; %bb.4:
	s_load_dwordx2 s[14:15], s[4:5], 0x30
	s_load_dwordx2 s[16:17], s[4:5], 0x48
	;; [unrolled: 1-line block ×3, first 2 shown]
	s_load_dword s0, s[4:5], 0x0
	s_load_dwordx2 s[18:19], s[4:5], 0x58
	v_lshlrev_b32_e32 v2, 3, v1
	s_mul_i32 s2, s2, 49
	s_waitcnt lgkmcnt(0)
	v_mov_b32_e32 v5, s7
	v_add_co_u32_e32 v4, vcc, s6, v2
	v_addc_co_u32_e32 v5, vcc, 0, v5, vcc
	v_mad_u64_u32 v[6:7], s[4:5], v1, 48, v[4:5]
	v_mul_u32_u24_e32 v1, 7, v8
	s_mov_b32 s3, 0
	s_cmp_eq_u32 s0, 0
	v_add3_u32 v1, v9, s2, v1
	s_mul_i32 s2, s22, 49
	v_mov_b32_e32 v3, 0
	s_mov_b32 s13, s3
	s_cselect_b64 s[0:1], -1, 0
	v_mul_lo_u32 v2, v0, 49
	v_subrev_u32_e32 v8, s2, v1
	s_mov_b64 s[20:21], 0
	v_mov_b32_e32 v10, s15
	v_mov_b32_e32 v11, s3
	;; [unrolled: 1-line block ×4, first 2 shown]
	s_movk_i32 s15, 0x70
	s_movk_i32 s17, 0xa8
	;; [unrolled: 1-line block ×5, first 2 shown]
.LBB84_5:                               ; =>This Inner Loop Header: Depth=1
	v_ashrrev_i32_e32 v1, 31, v0
	v_lshlrev_b64 v[14:15], 3, v[2:3]
	v_lshlrev_b64 v[16:17], 3, v[0:1]
	v_add_co_u32_e32 v1, vcc, v4, v14
	v_addc_co_u32_e32 v9, vcc, v5, v15, vcc
	v_add_co_u32_e32 v14, vcc, v6, v14
	v_addc_co_u32_e32 v15, vcc, v7, v15, vcc
	;; [unrolled: 2-line block ×13, first 2 shown]
	v_add_co_u32_e32 v44, vcc, 48, v14
	v_cndmask_b32_e64 v19, v9, v15, s[0:1]
	v_cndmask_b32_e64 v18, v1, v14, s[0:1]
	v_addc_co_u32_e32 v45, vcc, 0, v15, vcc
	global_load_dwordx2 v[26:27], v[16:17], off
	global_load_dwordx2 v[14:15], v[18:19], off
	v_cndmask_b32_e64 v29, v23, v21, s[0:1]
	v_cndmask_b32_e64 v28, v22, v20, s[0:1]
	v_add_co_u32_e32 v1, vcc, s25, v1
	v_cndmask_b32_e64 v31, v31, v25, s[0:1]
	v_cndmask_b32_e64 v30, v30, v24, s[0:1]
	;; [unrolled: 1-line block ×8, first 2 shown]
	global_load_dwordx2 v[16:17], v[28:29], off
	global_load_dwordx2 v[18:19], v[30:31], off
	;; [unrolled: 1-line block ×5, first 2 shown]
	v_addc_co_u32_e32 v9, vcc, 0, v9, vcc
	v_cndmask_b32_e64 v38, v1, v44, s[0:1]
	v_cndmask_b32_e64 v39, v9, v45, s[0:1]
	global_load_dwordx2 v[28:29], v[38:39], off
	v_ashrrev_i32_e32 v9, 31, v8
	v_lshlrev_b64 v[30:31], 3, v[8:9]
	v_add_co_u32_e32 v32, vcc, s18, v30
	v_addc_co_u32_e32 v33, vcc, v12, v31, vcc
	v_add_co_u32_e32 v30, vcc, s16, v30
	v_add_u32_e32 v0, 32, v0
	v_addc_co_u32_e32 v31, vcc, v13, v31, vcc
	v_cmp_le_i32_e32 vcc, s23, v0
	s_or_b64 s[20:21], vcc, s[20:21]
	v_add_u32_e32 v2, 0x620, v2
	v_add_u32_e32 v8, 0xe0, v8
	s_waitcnt vmcnt(5)
	global_store_dwordx4 v[30:31], v[14:17], off
	s_waitcnt vmcnt(4)
	global_store_dwordx4 v[30:31], v[18:21], off offset:16
	s_waitcnt vmcnt(3)
	global_store_dwordx4 v[30:31], v[22:25], off offset:32
	v_subrev_co_u32_e32 v1, vcc, s22, v26
	v_subb_co_u32_e32 v9, vcc, v27, v11, vcc
	v_mad_u64_u32 v[26:27], s[2:3], v1, 7, s[12:13]
	v_mov_b32_e32 v16, v27
	v_mad_u64_u32 v[16:17], s[2:3], v9, 7, v[16:17]
	v_mov_b32_e32 v1, v16
	v_mov_b32_e32 v15, v16
	v_add_co_u32_e64 v16, s[10:11], 1, v26
	v_mov_b32_e32 v14, v26
	s_waitcnt vmcnt(3)
	global_store_dwordx2 v[30:31], v[28:29], off offset:48
	v_add_co_u32_e32 v18, vcc, 2, v26
	v_add_co_u32_e64 v20, s[2:3], 3, v26
	v_add_co_u32_e64 v22, s[4:5], 4, v26
	;; [unrolled: 1-line block ×4, first 2 shown]
	v_addc_co_u32_e64 v17, s[10:11], 0, v1, s[10:11]
	v_addc_co_u32_e32 v19, vcc, 0, v1, vcc
	v_addc_co_u32_e64 v21, vcc, 0, v1, s[2:3]
	v_addc_co_u32_e64 v23, vcc, 0, v1, s[4:5]
	;; [unrolled: 1-line block ×4, first 2 shown]
	global_store_dwordx4 v[32:33], v[14:17], off
	global_store_dwordx4 v[32:33], v[18:21], off offset:16
	global_store_dwordx4 v[32:33], v[22:25], off offset:32
	global_store_dwordx2 v[32:33], v[28:29], off offset:48
	s_andn2_b64 exec, exec, s[20:21]
	s_cbranch_execnz .LBB84_5
.LBB84_6:
	s_endpgm
	.section	.rodata,"a",@progbits
	.p2align	6, 0x0
	.amdhsa_kernel _ZN9rocsparseL32bsr2csr_block_per_row_2_7_kernelILj256ELj7ElilEEv20rocsparse_direction_T3_S2_21rocsparse_index_base_PKT1_PKT2_PKS2_S2_S3_PS4_PS7_PS2_
		.amdhsa_group_segment_fixed_size 0
		.amdhsa_private_segment_fixed_size 0
		.amdhsa_kernarg_size 96
		.amdhsa_user_sgpr_count 6
		.amdhsa_user_sgpr_private_segment_buffer 1
		.amdhsa_user_sgpr_dispatch_ptr 0
		.amdhsa_user_sgpr_queue_ptr 0
		.amdhsa_user_sgpr_kernarg_segment_ptr 1
		.amdhsa_user_sgpr_dispatch_id 0
		.amdhsa_user_sgpr_flat_scratch_init 0
		.amdhsa_user_sgpr_kernarg_preload_length 0
		.amdhsa_user_sgpr_kernarg_preload_offset 0
		.amdhsa_user_sgpr_private_segment_size 0
		.amdhsa_uses_dynamic_stack 0
		.amdhsa_system_sgpr_private_segment_wavefront_offset 0
		.amdhsa_system_sgpr_workgroup_id_x 1
		.amdhsa_system_sgpr_workgroup_id_y 0
		.amdhsa_system_sgpr_workgroup_id_z 0
		.amdhsa_system_sgpr_workgroup_info 0
		.amdhsa_system_vgpr_workitem_id 0
		.amdhsa_next_free_vgpr 46
		.amdhsa_next_free_sgpr 26
		.amdhsa_accum_offset 48
		.amdhsa_reserve_vcc 1
		.amdhsa_reserve_flat_scratch 0
		.amdhsa_float_round_mode_32 0
		.amdhsa_float_round_mode_16_64 0
		.amdhsa_float_denorm_mode_32 3
		.amdhsa_float_denorm_mode_16_64 3
		.amdhsa_dx10_clamp 1
		.amdhsa_ieee_mode 1
		.amdhsa_fp16_overflow 0
		.amdhsa_tg_split 0
		.amdhsa_exception_fp_ieee_invalid_op 0
		.amdhsa_exception_fp_denorm_src 0
		.amdhsa_exception_fp_ieee_div_zero 0
		.amdhsa_exception_fp_ieee_overflow 0
		.amdhsa_exception_fp_ieee_underflow 0
		.amdhsa_exception_fp_ieee_inexact 0
		.amdhsa_exception_int_div_zero 0
	.end_amdhsa_kernel
	.section	.text._ZN9rocsparseL32bsr2csr_block_per_row_2_7_kernelILj256ELj7ElilEEv20rocsparse_direction_T3_S2_21rocsparse_index_base_PKT1_PKT2_PKS2_S2_S3_PS4_PS7_PS2_,"axG",@progbits,_ZN9rocsparseL32bsr2csr_block_per_row_2_7_kernelILj256ELj7ElilEEv20rocsparse_direction_T3_S2_21rocsparse_index_base_PKT1_PKT2_PKS2_S2_S3_PS4_PS7_PS2_,comdat
.Lfunc_end84:
	.size	_ZN9rocsparseL32bsr2csr_block_per_row_2_7_kernelILj256ELj7ElilEEv20rocsparse_direction_T3_S2_21rocsparse_index_base_PKT1_PKT2_PKS2_S2_S3_PS4_PS7_PS2_, .Lfunc_end84-_ZN9rocsparseL32bsr2csr_block_per_row_2_7_kernelILj256ELj7ElilEEv20rocsparse_direction_T3_S2_21rocsparse_index_base_PKT1_PKT2_PKS2_S2_S3_PS4_PS7_PS2_
                                        ; -- End function
	.section	.AMDGPU.csdata,"",@progbits
; Kernel info:
; codeLenInByte = 956
; NumSgprs: 30
; NumVgprs: 46
; NumAgprs: 0
; TotalNumVgprs: 46
; ScratchSize: 0
; MemoryBound: 0
; FloatMode: 240
; IeeeMode: 1
; LDSByteSize: 0 bytes/workgroup (compile time only)
; SGPRBlocks: 3
; VGPRBlocks: 5
; NumSGPRsForWavesPerEU: 30
; NumVGPRsForWavesPerEU: 46
; AccumOffset: 48
; Occupancy: 8
; WaveLimiterHint : 0
; COMPUTE_PGM_RSRC2:SCRATCH_EN: 0
; COMPUTE_PGM_RSRC2:USER_SGPR: 6
; COMPUTE_PGM_RSRC2:TRAP_HANDLER: 0
; COMPUTE_PGM_RSRC2:TGID_X_EN: 1
; COMPUTE_PGM_RSRC2:TGID_Y_EN: 0
; COMPUTE_PGM_RSRC2:TGID_Z_EN: 0
; COMPUTE_PGM_RSRC2:TIDIG_COMP_CNT: 0
; COMPUTE_PGM_RSRC3_GFX90A:ACCUM_OFFSET: 11
; COMPUTE_PGM_RSRC3_GFX90A:TG_SPLIT: 0
	.section	.text._ZN9rocsparseL33bsr2csr_block_per_row_8_32_kernelILj1024ELj8ElilEEv20rocsparse_direction_T3_S2_21rocsparse_index_base_PKT1_PKT2_PKS2_S2_S3_PS4_PS7_PS2_,"axG",@progbits,_ZN9rocsparseL33bsr2csr_block_per_row_8_32_kernelILj1024ELj8ElilEEv20rocsparse_direction_T3_S2_21rocsparse_index_base_PKT1_PKT2_PKS2_S2_S3_PS4_PS7_PS2_,comdat
	.globl	_ZN9rocsparseL33bsr2csr_block_per_row_8_32_kernelILj1024ELj8ElilEEv20rocsparse_direction_T3_S2_21rocsparse_index_base_PKT1_PKT2_PKS2_S2_S3_PS4_PS7_PS2_ ; -- Begin function _ZN9rocsparseL33bsr2csr_block_per_row_8_32_kernelILj1024ELj8ElilEEv20rocsparse_direction_T3_S2_21rocsparse_index_base_PKT1_PKT2_PKS2_S2_S3_PS4_PS7_PS2_
	.p2align	8
	.type	_ZN9rocsparseL33bsr2csr_block_per_row_8_32_kernelILj1024ELj8ElilEEv20rocsparse_direction_T3_S2_21rocsparse_index_base_PKT1_PKT2_PKS2_S2_S3_PS4_PS7_PS2_,@function
_ZN9rocsparseL33bsr2csr_block_per_row_8_32_kernelILj1024ELj8ElilEEv20rocsparse_direction_T3_S2_21rocsparse_index_base_PKT1_PKT2_PKS2_S2_S3_PS4_PS7_PS2_: ; @_ZN9rocsparseL33bsr2csr_block_per_row_8_32_kernelILj1024ELj8ElilEEv20rocsparse_direction_T3_S2_21rocsparse_index_base_PKT1_PKT2_PKS2_S2_S3_PS4_PS7_PS2_
; %bb.0:
	s_load_dwordx2 s[0:1], s[4:5], 0x28
	s_load_dword s14, s[4:5], 0x40
	s_load_dwordx2 s[8:9], s[4:5], 0x50
	s_mov_b32 s7, 0
	s_lshl_b64 s[2:3], s[6:7], 2
	s_waitcnt lgkmcnt(0)
	s_add_u32 s10, s0, s2
	v_or_b32_e32 v1, s6, v0
	s_addc_u32 s11, s1, s3
	v_cmp_eq_u32_e32 vcc, 0, v1
	s_and_saveexec_b64 s[0:1], vcc
	s_cbranch_execz .LBB85_2
; %bb.1:
	v_mov_b32_e32 v1, 0
	v_mov_b32_e32 v2, s14
	global_store_dword v1, v2, s[8:9]
.LBB85_2:
	s_or_b64 exec, exec, s[0:1]
	s_load_dwordx2 s[2:3], s[4:5], 0x38
	v_mov_b32_e32 v7, 0
	v_and_b32_e32 v6, 7, v0
	v_bfe_u32 v8, v0, 3, 3
	v_mov_b32_e32 v9, v7
	s_waitcnt lgkmcnt(0)
	v_cmp_gt_i64_e32 vcc, s[2:3], v[8:9]
	v_cmp_gt_i64_e64 s[0:1], s[2:3], v[6:7]
	s_and_b64 s[0:1], vcc, s[0:1]
	s_and_saveexec_b64 s[12:13], s[0:1]
	s_cbranch_execz .LBB85_6
; %bb.3:
	s_load_dwordx2 s[0:1], s[10:11], 0x0
	s_load_dword s12, s[4:5], 0x18
	s_mul_i32 s10, s2, s2
	v_lshrrev_b32_e32 v1, 6, v0
	v_lshlrev_b32_e32 v2, 2, v8
	s_waitcnt lgkmcnt(0)
	s_sub_i32 s15, s0, s12
	s_sub_i32 s11, s1, s12
	;; [unrolled: 1-line block ×3, first 2 shown]
	s_mul_i32 s1, s16, s2
	s_mul_i32 s0, s10, s15
	v_mul_lo_u32 v0, s1, v8
	s_add_i32 s1, s1, s14
	s_add_i32 s1, s1, s0
	v_add_u32_e32 v0, s1, v0
	s_mul_i32 s0, s6, s3
	s_mul_hi_u32 s1, s6, s2
	s_add_i32 s1, s1, s0
	s_mul_i32 s0, s6, s2
	s_lshl_b64 s[0:1], s[0:1], 2
	s_add_u32 s0, s8, s0
	s_addc_u32 s1, s9, s1
	global_store_dword v2, v0, s[0:1] offset:4
	v_add_u32_e32 v0, s15, v1
	v_cmp_gt_i32_e32 vcc, s11, v0
	s_and_b64 exec, exec, vcc
	s_cbranch_execz .LBB85_6
; %bb.4:
	s_mul_i32 s13, s2, s3
	s_mul_hi_u32 s17, s2, s2
	s_add_i32 s17, s17, s13
	s_load_dwordx2 s[0:1], s[4:5], 0x30
	s_load_dwordx2 s[6:7], s[4:5], 0x48
	s_load_dwordx2 s[8:9], s[4:5], 0x58
	s_add_i32 s13, s17, s13
	s_load_dwordx2 s[18:19], s[4:5], 0x20
	s_load_dword s17, s[4:5], 0x0
	v_mad_u64_u32 v[4:5], s[4:5], v6, s2, 0
	v_mov_b32_e32 v10, v5
	v_mad_u64_u32 v[10:11], s[4:5], v6, s3, v[10:11]
	v_mov_b32_e32 v5, v10
	v_add_co_u32_e32 v2, vcc, s14, v6
	v_lshlrev_b64 v[4:5], 3, v[4:5]
	v_addc_co_u32_e64 v3, s[4:5], 0, 0, vcc
	s_waitcnt lgkmcnt(0)
	v_mov_b32_e32 v7, s19
	v_add_co_u32_e32 v9, vcc, s18, v4
	v_addc_co_u32_e32 v5, vcc, v7, v5, vcc
	v_lshlrev_b32_e32 v10, 3, v8
	v_add_co_u32_e32 v9, vcc, v9, v10
	v_mad_u64_u32 v[10:11], s[4:5], v8, s2, 0
	v_mov_b32_e32 v12, v11
	v_mad_u64_u32 v[12:13], s[4:5], v8, s3, v[12:13]
	v_mov_b32_e32 v11, v12
	v_addc_co_u32_e32 v5, vcc, 0, v5, vcc
	v_lshlrev_b64 v[10:11], 3, v[10:11]
	v_add_co_u32_e32 v10, vcc, s18, v10
	v_addc_co_u32_e32 v7, vcc, v7, v11, vcc
	v_lshlrev_b32_e32 v11, 3, v6
	v_add_co_u32_e32 v10, vcc, v10, v11
	s_cmp_eq_u32 s17, 0
	v_addc_co_u32_e32 v7, vcc, 0, v7, vcc
	s_cselect_b64 vcc, -1, 0
	v_cndmask_b32_e32 v7, v5, v7, vcc
	s_mul_i32 s4, s2, s15
	v_mul_lo_u32 v5, s16, v8
	v_add3_u32 v1, v1, s4, v5
	s_mov_b32 s20, 0
	v_cndmask_b32_e32 v10, v9, v10, vcc
	v_mad_u64_u32 v[8:9], s[4:5], s2, v1, v[6:7]
	s_lshl_b32 s14, s2, 4
	v_mov_b32_e32 v4, 0
	v_mov_b32_e32 v5, v8
	s_mov_b64 s[4:5], 0
	v_mov_b32_e32 v6, s1
	v_mov_b32_e32 v8, s20
	;; [unrolled: 1-line block ×5, first 2 shown]
.LBB85_5:                               ; =>This Inner Loop Header: Depth=1
	v_ashrrev_i32_e32 v1, 31, v0
	v_lshlrev_b64 v[16:17], 3, v[0:1]
	v_mul_lo_u32 v13, s13, v0
	v_mad_u64_u32 v[14:15], s[14:15], s10, v0, 0
	v_mul_lo_u32 v1, s10, v1
	v_add_co_u32_e32 v16, vcc, s0, v16
	v_addc_co_u32_e32 v17, vcc, v6, v17, vcc
	v_add3_u32 v15, v15, v1, v13
	global_load_dwordx2 v[16:17], v[16:17], off
	v_lshlrev_b64 v[14:15], 3, v[14:15]
	v_add_co_u32_e32 v14, vcc, v10, v14
	v_addc_co_u32_e32 v15, vcc, v7, v15, vcc
	global_load_dwordx2 v[14:15], v[14:15], off
	v_ashrrev_i64 v[18:19], 29, v[4:5]
	v_add_co_u32_e32 v4, vcc, 0, v4
	v_addc_co_u32_e32 v5, vcc, v5, v12, vcc
	v_add_co_u32_e32 v20, vcc, s8, v18
	v_addc_co_u32_e32 v21, vcc, v9, v19, vcc
	;; [unrolled: 2-line block ×3, first 2 shown]
	v_add_u32_e32 v0, 16, v0
	v_cmp_le_i32_e32 vcc, s11, v0
	s_or_b64 s[4:5], vcc, s[4:5]
	s_waitcnt vmcnt(1)
	v_subrev_co_u32_e32 v1, vcc, s12, v16
	v_subb_co_u32_e32 v13, vcc, v17, v8, vcc
	v_mul_lo_u32 v22, v1, s3
	v_mul_lo_u32 v13, v13, s2
	v_mad_u64_u32 v[16:17], s[14:15], v1, s2, v[2:3]
	v_add3_u32 v17, v13, v17, v22
	s_waitcnt vmcnt(0)
	global_store_dwordx2 v[18:19], v[14:15], off
	global_store_dwordx2 v[20:21], v[16:17], off
	s_andn2_b64 exec, exec, s[4:5]
	s_cbranch_execnz .LBB85_5
.LBB85_6:
	s_endpgm
	.section	.rodata,"a",@progbits
	.p2align	6, 0x0
	.amdhsa_kernel _ZN9rocsparseL33bsr2csr_block_per_row_8_32_kernelILj1024ELj8ElilEEv20rocsparse_direction_T3_S2_21rocsparse_index_base_PKT1_PKT2_PKS2_S2_S3_PS4_PS7_PS2_
		.amdhsa_group_segment_fixed_size 0
		.amdhsa_private_segment_fixed_size 0
		.amdhsa_kernarg_size 96
		.amdhsa_user_sgpr_count 6
		.amdhsa_user_sgpr_private_segment_buffer 1
		.amdhsa_user_sgpr_dispatch_ptr 0
		.amdhsa_user_sgpr_queue_ptr 0
		.amdhsa_user_sgpr_kernarg_segment_ptr 1
		.amdhsa_user_sgpr_dispatch_id 0
		.amdhsa_user_sgpr_flat_scratch_init 0
		.amdhsa_user_sgpr_kernarg_preload_length 0
		.amdhsa_user_sgpr_kernarg_preload_offset 0
		.amdhsa_user_sgpr_private_segment_size 0
		.amdhsa_uses_dynamic_stack 0
		.amdhsa_system_sgpr_private_segment_wavefront_offset 0
		.amdhsa_system_sgpr_workgroup_id_x 1
		.amdhsa_system_sgpr_workgroup_id_y 0
		.amdhsa_system_sgpr_workgroup_id_z 0
		.amdhsa_system_sgpr_workgroup_info 0
		.amdhsa_system_vgpr_workitem_id 0
		.amdhsa_next_free_vgpr 23
		.amdhsa_next_free_sgpr 21
		.amdhsa_accum_offset 24
		.amdhsa_reserve_vcc 1
		.amdhsa_reserve_flat_scratch 0
		.amdhsa_float_round_mode_32 0
		.amdhsa_float_round_mode_16_64 0
		.amdhsa_float_denorm_mode_32 3
		.amdhsa_float_denorm_mode_16_64 3
		.amdhsa_dx10_clamp 1
		.amdhsa_ieee_mode 1
		.amdhsa_fp16_overflow 0
		.amdhsa_tg_split 0
		.amdhsa_exception_fp_ieee_invalid_op 0
		.amdhsa_exception_fp_denorm_src 0
		.amdhsa_exception_fp_ieee_div_zero 0
		.amdhsa_exception_fp_ieee_overflow 0
		.amdhsa_exception_fp_ieee_underflow 0
		.amdhsa_exception_fp_ieee_inexact 0
		.amdhsa_exception_int_div_zero 0
	.end_amdhsa_kernel
	.section	.text._ZN9rocsparseL33bsr2csr_block_per_row_8_32_kernelILj1024ELj8ElilEEv20rocsparse_direction_T3_S2_21rocsparse_index_base_PKT1_PKT2_PKS2_S2_S3_PS4_PS7_PS2_,"axG",@progbits,_ZN9rocsparseL33bsr2csr_block_per_row_8_32_kernelILj1024ELj8ElilEEv20rocsparse_direction_T3_S2_21rocsparse_index_base_PKT1_PKT2_PKS2_S2_S3_PS4_PS7_PS2_,comdat
.Lfunc_end85:
	.size	_ZN9rocsparseL33bsr2csr_block_per_row_8_32_kernelILj1024ELj8ElilEEv20rocsparse_direction_T3_S2_21rocsparse_index_base_PKT1_PKT2_PKS2_S2_S3_PS4_PS7_PS2_, .Lfunc_end85-_ZN9rocsparseL33bsr2csr_block_per_row_8_32_kernelILj1024ELj8ElilEEv20rocsparse_direction_T3_S2_21rocsparse_index_base_PKT1_PKT2_PKS2_S2_S3_PS4_PS7_PS2_
                                        ; -- End function
	.section	.AMDGPU.csdata,"",@progbits
; Kernel info:
; codeLenInByte = 728
; NumSgprs: 25
; NumVgprs: 23
; NumAgprs: 0
; TotalNumVgprs: 23
; ScratchSize: 0
; MemoryBound: 0
; FloatMode: 240
; IeeeMode: 1
; LDSByteSize: 0 bytes/workgroup (compile time only)
; SGPRBlocks: 3
; VGPRBlocks: 2
; NumSGPRsForWavesPerEU: 25
; NumVGPRsForWavesPerEU: 23
; AccumOffset: 24
; Occupancy: 8
; WaveLimiterHint : 0
; COMPUTE_PGM_RSRC2:SCRATCH_EN: 0
; COMPUTE_PGM_RSRC2:USER_SGPR: 6
; COMPUTE_PGM_RSRC2:TRAP_HANDLER: 0
; COMPUTE_PGM_RSRC2:TGID_X_EN: 1
; COMPUTE_PGM_RSRC2:TGID_Y_EN: 0
; COMPUTE_PGM_RSRC2:TGID_Z_EN: 0
; COMPUTE_PGM_RSRC2:TIDIG_COMP_CNT: 0
; COMPUTE_PGM_RSRC3_GFX90A:ACCUM_OFFSET: 5
; COMPUTE_PGM_RSRC3_GFX90A:TG_SPLIT: 0
	.section	.text._ZN9rocsparseL33bsr2csr_block_per_row_8_32_kernelILj1024ELj16ElilEEv20rocsparse_direction_T3_S2_21rocsparse_index_base_PKT1_PKT2_PKS2_S2_S3_PS4_PS7_PS2_,"axG",@progbits,_ZN9rocsparseL33bsr2csr_block_per_row_8_32_kernelILj1024ELj16ElilEEv20rocsparse_direction_T3_S2_21rocsparse_index_base_PKT1_PKT2_PKS2_S2_S3_PS4_PS7_PS2_,comdat
	.globl	_ZN9rocsparseL33bsr2csr_block_per_row_8_32_kernelILj1024ELj16ElilEEv20rocsparse_direction_T3_S2_21rocsparse_index_base_PKT1_PKT2_PKS2_S2_S3_PS4_PS7_PS2_ ; -- Begin function _ZN9rocsparseL33bsr2csr_block_per_row_8_32_kernelILj1024ELj16ElilEEv20rocsparse_direction_T3_S2_21rocsparse_index_base_PKT1_PKT2_PKS2_S2_S3_PS4_PS7_PS2_
	.p2align	8
	.type	_ZN9rocsparseL33bsr2csr_block_per_row_8_32_kernelILj1024ELj16ElilEEv20rocsparse_direction_T3_S2_21rocsparse_index_base_PKT1_PKT2_PKS2_S2_S3_PS4_PS7_PS2_,@function
_ZN9rocsparseL33bsr2csr_block_per_row_8_32_kernelILj1024ELj16ElilEEv20rocsparse_direction_T3_S2_21rocsparse_index_base_PKT1_PKT2_PKS2_S2_S3_PS4_PS7_PS2_: ; @_ZN9rocsparseL33bsr2csr_block_per_row_8_32_kernelILj1024ELj16ElilEEv20rocsparse_direction_T3_S2_21rocsparse_index_base_PKT1_PKT2_PKS2_S2_S3_PS4_PS7_PS2_
; %bb.0:
	s_load_dwordx2 s[0:1], s[4:5], 0x28
	s_load_dword s14, s[4:5], 0x40
	s_load_dwordx2 s[8:9], s[4:5], 0x50
	s_mov_b32 s7, 0
	s_lshl_b64 s[2:3], s[6:7], 2
	s_waitcnt lgkmcnt(0)
	s_add_u32 s10, s0, s2
	v_or_b32_e32 v1, s6, v0
	s_addc_u32 s11, s1, s3
	v_cmp_eq_u32_e32 vcc, 0, v1
	s_and_saveexec_b64 s[0:1], vcc
	s_cbranch_execz .LBB86_2
; %bb.1:
	v_mov_b32_e32 v1, 0
	v_mov_b32_e32 v2, s14
	global_store_dword v1, v2, s[8:9]
.LBB86_2:
	s_or_b64 exec, exec, s[0:1]
	s_load_dwordx2 s[2:3], s[4:5], 0x38
	v_mov_b32_e32 v7, 0
	v_and_b32_e32 v6, 15, v0
	v_bfe_u32 v8, v0, 4, 4
	v_mov_b32_e32 v9, v7
	s_waitcnt lgkmcnt(0)
	v_cmp_gt_i64_e32 vcc, s[2:3], v[8:9]
	v_cmp_gt_i64_e64 s[0:1], s[2:3], v[6:7]
	s_and_b64 s[0:1], vcc, s[0:1]
	s_and_saveexec_b64 s[12:13], s[0:1]
	s_cbranch_execz .LBB86_6
; %bb.3:
	s_load_dwordx2 s[0:1], s[10:11], 0x0
	s_load_dword s12, s[4:5], 0x18
	s_mul_i32 s10, s2, s2
	v_lshrrev_b32_e32 v1, 8, v0
	v_lshlrev_b32_e32 v2, 2, v8
	s_waitcnt lgkmcnt(0)
	s_sub_i32 s15, s0, s12
	s_sub_i32 s11, s1, s12
	;; [unrolled: 1-line block ×3, first 2 shown]
	s_mul_i32 s1, s16, s2
	s_mul_i32 s0, s10, s15
	v_mul_lo_u32 v0, s1, v8
	s_add_i32 s1, s1, s14
	s_add_i32 s1, s1, s0
	v_add_u32_e32 v0, s1, v0
	s_mul_i32 s0, s6, s3
	s_mul_hi_u32 s1, s6, s2
	s_add_i32 s1, s1, s0
	s_mul_i32 s0, s6, s2
	s_lshl_b64 s[0:1], s[0:1], 2
	s_add_u32 s0, s8, s0
	s_addc_u32 s1, s9, s1
	global_store_dword v2, v0, s[0:1] offset:4
	v_add_u32_e32 v0, s15, v1
	v_cmp_gt_i32_e32 vcc, s11, v0
	s_and_b64 exec, exec, vcc
	s_cbranch_execz .LBB86_6
; %bb.4:
	s_mul_i32 s13, s2, s3
	s_mul_hi_u32 s17, s2, s2
	s_add_i32 s17, s17, s13
	s_load_dwordx2 s[0:1], s[4:5], 0x30
	s_load_dwordx2 s[6:7], s[4:5], 0x48
	;; [unrolled: 1-line block ×3, first 2 shown]
	s_add_i32 s13, s17, s13
	s_load_dwordx2 s[18:19], s[4:5], 0x20
	s_load_dword s17, s[4:5], 0x0
	v_mad_u64_u32 v[4:5], s[4:5], v6, s2, 0
	v_mov_b32_e32 v10, v5
	v_mad_u64_u32 v[10:11], s[4:5], v6, s3, v[10:11]
	v_mov_b32_e32 v5, v10
	v_add_co_u32_e32 v2, vcc, s14, v6
	v_lshlrev_b64 v[4:5], 3, v[4:5]
	v_addc_co_u32_e64 v3, s[4:5], 0, 0, vcc
	s_waitcnt lgkmcnt(0)
	v_mov_b32_e32 v7, s19
	v_add_co_u32_e32 v9, vcc, s18, v4
	v_addc_co_u32_e32 v5, vcc, v7, v5, vcc
	v_lshlrev_b32_e32 v10, 3, v8
	v_add_co_u32_e32 v9, vcc, v9, v10
	v_mad_u64_u32 v[10:11], s[4:5], v8, s2, 0
	v_mov_b32_e32 v12, v11
	v_mad_u64_u32 v[12:13], s[4:5], v8, s3, v[12:13]
	v_mov_b32_e32 v11, v12
	v_addc_co_u32_e32 v5, vcc, 0, v5, vcc
	v_lshlrev_b64 v[10:11], 3, v[10:11]
	v_add_co_u32_e32 v10, vcc, s18, v10
	v_addc_co_u32_e32 v7, vcc, v7, v11, vcc
	v_lshlrev_b32_e32 v11, 3, v6
	v_add_co_u32_e32 v10, vcc, v10, v11
	s_cmp_eq_u32 s17, 0
	v_addc_co_u32_e32 v7, vcc, 0, v7, vcc
	s_cselect_b64 vcc, -1, 0
	v_cndmask_b32_e32 v7, v5, v7, vcc
	s_mul_i32 s4, s2, s15
	v_mul_lo_u32 v5, s16, v8
	v_add3_u32 v1, v1, s4, v5
	s_mov_b32 s20, 0
	v_cndmask_b32_e32 v10, v9, v10, vcc
	v_mad_u64_u32 v[8:9], s[4:5], s2, v1, v[6:7]
	s_lshl_b32 s14, s2, 2
	v_mov_b32_e32 v4, 0
	v_mov_b32_e32 v5, v8
	s_mov_b64 s[4:5], 0
	v_mov_b32_e32 v6, s1
	v_mov_b32_e32 v8, s20
	;; [unrolled: 1-line block ×5, first 2 shown]
.LBB86_5:                               ; =>This Inner Loop Header: Depth=1
	v_ashrrev_i32_e32 v1, 31, v0
	v_lshlrev_b64 v[16:17], 3, v[0:1]
	v_mul_lo_u32 v13, s13, v0
	v_mad_u64_u32 v[14:15], s[14:15], s10, v0, 0
	v_mul_lo_u32 v1, s10, v1
	v_add_co_u32_e32 v16, vcc, s0, v16
	v_addc_co_u32_e32 v17, vcc, v6, v17, vcc
	v_add3_u32 v15, v15, v1, v13
	global_load_dwordx2 v[16:17], v[16:17], off
	v_lshlrev_b64 v[14:15], 3, v[14:15]
	v_add_co_u32_e32 v14, vcc, v10, v14
	v_addc_co_u32_e32 v15, vcc, v7, v15, vcc
	global_load_dwordx2 v[14:15], v[14:15], off
	v_ashrrev_i64 v[18:19], 29, v[4:5]
	v_add_co_u32_e32 v4, vcc, 0, v4
	v_addc_co_u32_e32 v5, vcc, v5, v12, vcc
	v_add_co_u32_e32 v20, vcc, s8, v18
	v_addc_co_u32_e32 v21, vcc, v9, v19, vcc
	;; [unrolled: 2-line block ×3, first 2 shown]
	v_add_u32_e32 v0, 4, v0
	v_cmp_le_i32_e32 vcc, s11, v0
	s_or_b64 s[4:5], vcc, s[4:5]
	s_waitcnt vmcnt(1)
	v_subrev_co_u32_e32 v1, vcc, s12, v16
	v_subb_co_u32_e32 v13, vcc, v17, v8, vcc
	v_mul_lo_u32 v22, v1, s3
	v_mul_lo_u32 v13, v13, s2
	v_mad_u64_u32 v[16:17], s[14:15], v1, s2, v[2:3]
	v_add3_u32 v17, v13, v17, v22
	s_waitcnt vmcnt(0)
	global_store_dwordx2 v[18:19], v[14:15], off
	global_store_dwordx2 v[20:21], v[16:17], off
	s_andn2_b64 exec, exec, s[4:5]
	s_cbranch_execnz .LBB86_5
.LBB86_6:
	s_endpgm
	.section	.rodata,"a",@progbits
	.p2align	6, 0x0
	.amdhsa_kernel _ZN9rocsparseL33bsr2csr_block_per_row_8_32_kernelILj1024ELj16ElilEEv20rocsparse_direction_T3_S2_21rocsparse_index_base_PKT1_PKT2_PKS2_S2_S3_PS4_PS7_PS2_
		.amdhsa_group_segment_fixed_size 0
		.amdhsa_private_segment_fixed_size 0
		.amdhsa_kernarg_size 96
		.amdhsa_user_sgpr_count 6
		.amdhsa_user_sgpr_private_segment_buffer 1
		.amdhsa_user_sgpr_dispatch_ptr 0
		.amdhsa_user_sgpr_queue_ptr 0
		.amdhsa_user_sgpr_kernarg_segment_ptr 1
		.amdhsa_user_sgpr_dispatch_id 0
		.amdhsa_user_sgpr_flat_scratch_init 0
		.amdhsa_user_sgpr_kernarg_preload_length 0
		.amdhsa_user_sgpr_kernarg_preload_offset 0
		.amdhsa_user_sgpr_private_segment_size 0
		.amdhsa_uses_dynamic_stack 0
		.amdhsa_system_sgpr_private_segment_wavefront_offset 0
		.amdhsa_system_sgpr_workgroup_id_x 1
		.amdhsa_system_sgpr_workgroup_id_y 0
		.amdhsa_system_sgpr_workgroup_id_z 0
		.amdhsa_system_sgpr_workgroup_info 0
		.amdhsa_system_vgpr_workitem_id 0
		.amdhsa_next_free_vgpr 23
		.amdhsa_next_free_sgpr 21
		.amdhsa_accum_offset 24
		.amdhsa_reserve_vcc 1
		.amdhsa_reserve_flat_scratch 0
		.amdhsa_float_round_mode_32 0
		.amdhsa_float_round_mode_16_64 0
		.amdhsa_float_denorm_mode_32 3
		.amdhsa_float_denorm_mode_16_64 3
		.amdhsa_dx10_clamp 1
		.amdhsa_ieee_mode 1
		.amdhsa_fp16_overflow 0
		.amdhsa_tg_split 0
		.amdhsa_exception_fp_ieee_invalid_op 0
		.amdhsa_exception_fp_denorm_src 0
		.amdhsa_exception_fp_ieee_div_zero 0
		.amdhsa_exception_fp_ieee_overflow 0
		.amdhsa_exception_fp_ieee_underflow 0
		.amdhsa_exception_fp_ieee_inexact 0
		.amdhsa_exception_int_div_zero 0
	.end_amdhsa_kernel
	.section	.text._ZN9rocsparseL33bsr2csr_block_per_row_8_32_kernelILj1024ELj16ElilEEv20rocsparse_direction_T3_S2_21rocsparse_index_base_PKT1_PKT2_PKS2_S2_S3_PS4_PS7_PS2_,"axG",@progbits,_ZN9rocsparseL33bsr2csr_block_per_row_8_32_kernelILj1024ELj16ElilEEv20rocsparse_direction_T3_S2_21rocsparse_index_base_PKT1_PKT2_PKS2_S2_S3_PS4_PS7_PS2_,comdat
.Lfunc_end86:
	.size	_ZN9rocsparseL33bsr2csr_block_per_row_8_32_kernelILj1024ELj16ElilEEv20rocsparse_direction_T3_S2_21rocsparse_index_base_PKT1_PKT2_PKS2_S2_S3_PS4_PS7_PS2_, .Lfunc_end86-_ZN9rocsparseL33bsr2csr_block_per_row_8_32_kernelILj1024ELj16ElilEEv20rocsparse_direction_T3_S2_21rocsparse_index_base_PKT1_PKT2_PKS2_S2_S3_PS4_PS7_PS2_
                                        ; -- End function
	.section	.AMDGPU.csdata,"",@progbits
; Kernel info:
; codeLenInByte = 728
; NumSgprs: 25
; NumVgprs: 23
; NumAgprs: 0
; TotalNumVgprs: 23
; ScratchSize: 0
; MemoryBound: 0
; FloatMode: 240
; IeeeMode: 1
; LDSByteSize: 0 bytes/workgroup (compile time only)
; SGPRBlocks: 3
; VGPRBlocks: 2
; NumSGPRsForWavesPerEU: 25
; NumVGPRsForWavesPerEU: 23
; AccumOffset: 24
; Occupancy: 8
; WaveLimiterHint : 0
; COMPUTE_PGM_RSRC2:SCRATCH_EN: 0
; COMPUTE_PGM_RSRC2:USER_SGPR: 6
; COMPUTE_PGM_RSRC2:TRAP_HANDLER: 0
; COMPUTE_PGM_RSRC2:TGID_X_EN: 1
; COMPUTE_PGM_RSRC2:TGID_Y_EN: 0
; COMPUTE_PGM_RSRC2:TGID_Z_EN: 0
; COMPUTE_PGM_RSRC2:TIDIG_COMP_CNT: 0
; COMPUTE_PGM_RSRC3_GFX90A:ACCUM_OFFSET: 5
; COMPUTE_PGM_RSRC3_GFX90A:TG_SPLIT: 0
	.section	.text._ZN9rocsparseL33bsr2csr_block_per_row_8_32_kernelILj1024ELj32ElilEEv20rocsparse_direction_T3_S2_21rocsparse_index_base_PKT1_PKT2_PKS2_S2_S3_PS4_PS7_PS2_,"axG",@progbits,_ZN9rocsparseL33bsr2csr_block_per_row_8_32_kernelILj1024ELj32ElilEEv20rocsparse_direction_T3_S2_21rocsparse_index_base_PKT1_PKT2_PKS2_S2_S3_PS4_PS7_PS2_,comdat
	.globl	_ZN9rocsparseL33bsr2csr_block_per_row_8_32_kernelILj1024ELj32ElilEEv20rocsparse_direction_T3_S2_21rocsparse_index_base_PKT1_PKT2_PKS2_S2_S3_PS4_PS7_PS2_ ; -- Begin function _ZN9rocsparseL33bsr2csr_block_per_row_8_32_kernelILj1024ELj32ElilEEv20rocsparse_direction_T3_S2_21rocsparse_index_base_PKT1_PKT2_PKS2_S2_S3_PS4_PS7_PS2_
	.p2align	8
	.type	_ZN9rocsparseL33bsr2csr_block_per_row_8_32_kernelILj1024ELj32ElilEEv20rocsparse_direction_T3_S2_21rocsparse_index_base_PKT1_PKT2_PKS2_S2_S3_PS4_PS7_PS2_,@function
_ZN9rocsparseL33bsr2csr_block_per_row_8_32_kernelILj1024ELj32ElilEEv20rocsparse_direction_T3_S2_21rocsparse_index_base_PKT1_PKT2_PKS2_S2_S3_PS4_PS7_PS2_: ; @_ZN9rocsparseL33bsr2csr_block_per_row_8_32_kernelILj1024ELj32ElilEEv20rocsparse_direction_T3_S2_21rocsparse_index_base_PKT1_PKT2_PKS2_S2_S3_PS4_PS7_PS2_
; %bb.0:
	s_load_dwordx2 s[0:1], s[4:5], 0x28
	s_load_dword s14, s[4:5], 0x40
	s_load_dwordx2 s[8:9], s[4:5], 0x50
	s_mov_b32 s7, 0
	s_lshl_b64 s[2:3], s[6:7], 2
	s_waitcnt lgkmcnt(0)
	s_add_u32 s10, s0, s2
	v_or_b32_e32 v1, s6, v0
	s_addc_u32 s11, s1, s3
	v_cmp_eq_u32_e32 vcc, 0, v1
	s_and_saveexec_b64 s[0:1], vcc
	s_cbranch_execz .LBB87_2
; %bb.1:
	v_mov_b32_e32 v1, 0
	v_mov_b32_e32 v2, s14
	global_store_dword v1, v2, s[8:9]
.LBB87_2:
	s_or_b64 exec, exec, s[0:1]
	s_load_dwordx2 s[2:3], s[4:5], 0x38
	v_mov_b32_e32 v5, 0
	v_and_b32_e32 v4, 31, v0
	v_lshrrev_b32_e32 v6, 5, v0
	v_mov_b32_e32 v7, v5
	s_waitcnt lgkmcnt(0)
	v_cmp_gt_i64_e32 vcc, s[2:3], v[6:7]
	v_cmp_gt_i64_e64 s[0:1], s[2:3], v[4:5]
	s_and_b64 s[0:1], vcc, s[0:1]
	s_and_saveexec_b64 s[12:13], s[0:1]
	s_cbranch_execz .LBB87_6
; %bb.3:
	s_load_dwordx2 s[16:17], s[10:11], 0x0
	s_load_dword s12, s[4:5], 0x18
	s_mul_i32 s10, s2, s2
	v_lshlrev_b32_e32 v1, 2, v6
	s_waitcnt lgkmcnt(0)
	s_sub_i32 s0, s16, s12
	s_sub_i32 s13, s17, s12
	;; [unrolled: 1-line block ×3, first 2 shown]
	s_mul_i32 s11, s1, s2
	s_mul_i32 s7, s10, s0
	v_mul_lo_u32 v0, s11, v6
	s_add_i32 s11, s11, s14
	s_add_i32 s11, s11, s7
	v_add_u32_e32 v0, s11, v0
	s_mul_i32 s7, s6, s3
	s_mul_hi_u32 s11, s6, s2
	s_add_i32 s7, s11, s7
	s_mul_i32 s6, s6, s2
	s_lshl_b64 s[6:7], s[6:7], 2
	s_add_u32 s6, s8, s6
	s_addc_u32 s7, s9, s7
	s_cmp_ge_i32 s16, s17
	global_store_dword v1, v0, s[6:7] offset:4
	s_cbranch_scc1 .LBB87_6
; %bb.4:
	s_mul_i32 s11, s2, s3
	s_mul_hi_u32 s15, s2, s2
	s_add_i32 s15, s15, s11
	s_load_dwordx2 s[16:17], s[4:5], 0x30
	s_load_dwordx2 s[6:7], s[4:5], 0x48
	;; [unrolled: 1-line block ×3, first 2 shown]
	s_add_i32 s11, s15, s11
	s_load_dwordx2 s[18:19], s[4:5], 0x20
	s_load_dword s15, s[4:5], 0x0
	v_mad_u64_u32 v[2:3], s[4:5], v4, s2, 0
	v_mov_b32_e32 v8, v3
	v_mad_u64_u32 v[8:9], s[4:5], v4, s3, v[8:9]
	v_mov_b32_e32 v3, v8
	v_add_co_u32_e32 v0, vcc, s14, v4
	v_lshlrev_b64 v[2:3], 3, v[2:3]
	v_addc_co_u32_e64 v1, s[4:5], 0, 0, vcc
	s_waitcnt lgkmcnt(0)
	v_mov_b32_e32 v5, s19
	v_add_co_u32_e32 v7, vcc, s18, v2
	v_addc_co_u32_e32 v3, vcc, v5, v3, vcc
	v_lshlrev_b32_e32 v8, 3, v6
	v_add_co_u32_e32 v7, vcc, v7, v8
	v_mad_u64_u32 v[8:9], s[4:5], v6, s2, 0
	v_mov_b32_e32 v10, v9
	v_mad_u64_u32 v[10:11], s[4:5], v6, s3, v[10:11]
	v_mov_b32_e32 v9, v10
	v_addc_co_u32_e32 v3, vcc, 0, v3, vcc
	v_lshlrev_b64 v[8:9], 3, v[8:9]
	v_add_co_u32_e32 v8, vcc, s18, v8
	v_addc_co_u32_e32 v5, vcc, v5, v9, vcc
	v_lshlrev_b32_e32 v9, 3, v4
	v_add_co_u32_e32 v8, vcc, v8, v9
	s_cmp_eq_u32 s15, 0
	v_addc_co_u32_e32 v5, vcc, 0, v5, vcc
	s_cselect_b64 vcc, -1, 0
	v_cndmask_b32_e32 v9, v3, v5, vcc
	s_mul_i32 s4, s2, s0
	v_mul_lo_u32 v3, v6, s1
	v_add_u32_e32 v3, s4, v3
	v_mad_u64_u32 v[4:5], s[4:5], s2, v3, v[4:5]
	s_ashr_i32 s1, s0, 31
	s_lshl_b64 s[4:5], s[0:1], 3
	s_add_u32 s4, s16, s4
	s_mul_hi_u32 s14, s10, s0
	s_mul_i32 s1, s10, s1
	s_addc_u32 s5, s17, s5
	s_add_i32 s1, s14, s1
	s_mul_i32 s14, s11, s0
	s_add_i32 s15, s1, s14
	s_mul_i32 s14, s10, s0
	v_cndmask_b32_e32 v7, v7, v8, vcc
	s_lshl_b64 s[14:15], s[14:15], 3
	v_mov_b32_e32 v3, v4
	v_mov_b32_e32 v5, s15
	v_add_co_u32_e32 v4, vcc, s14, v7
	s_lshl_b64 s[10:11], s[10:11], 3
	v_mov_b32_e32 v2, 0
	v_addc_co_u32_e32 v5, vcc, v9, v5, vcc
	v_mov_b32_e32 v6, s2
	v_mov_b32_e32 v7, s9
	;; [unrolled: 1-line block ×5, first 2 shown]
.LBB87_5:                               ; =>This Inner Loop Header: Depth=1
	global_load_dwordx2 v[12:13], v[4:5], off
	s_load_dwordx2 s[14:15], s[4:5], 0x0
	v_ashrrev_i64 v[14:15], 29, v[2:3]
	v_add_co_u32_e32 v2, vcc, 0, v2
	v_addc_co_u32_e32 v3, vcc, v3, v9, vcc
	s_waitcnt lgkmcnt(0)
	s_sub_u32 s1, s14, s12
	v_add_co_u32_e32 v4, vcc, s10, v4
	s_subb_u32 s7, s15, 0
	v_addc_co_u32_e32 v5, vcc, v5, v10, vcc
	s_mul_i32 s9, s1, s3
	s_mul_i32 s7, s7, s2
	v_add_co_u32_e32 v16, vcc, s8, v14
	s_add_i32 s0, s0, 1
	s_add_i32 s9, s9, s7
	v_addc_co_u32_e32 v17, vcc, v7, v15, vcc
	s_add_u32 s4, s4, 8
	v_add_co_u32_e32 v14, vcc, s6, v14
	v_mad_u64_u32 v[18:19], s[14:15], s1, v6, v[0:1]
	s_addc_u32 s5, s5, 0
	v_addc_co_u32_e32 v15, vcc, v8, v15, vcc
	v_add_u32_e32 v19, s9, v19
	s_cmp_lt_i32 s0, s13
	global_store_dwordx2 v[16:17], v[18:19], off
	s_waitcnt vmcnt(1)
	global_store_dwordx2 v[14:15], v[12:13], off
	s_cbranch_scc1 .LBB87_5
.LBB87_6:
	s_endpgm
	.section	.rodata,"a",@progbits
	.p2align	6, 0x0
	.amdhsa_kernel _ZN9rocsparseL33bsr2csr_block_per_row_8_32_kernelILj1024ELj32ElilEEv20rocsparse_direction_T3_S2_21rocsparse_index_base_PKT1_PKT2_PKS2_S2_S3_PS4_PS7_PS2_
		.amdhsa_group_segment_fixed_size 0
		.amdhsa_private_segment_fixed_size 0
		.amdhsa_kernarg_size 96
		.amdhsa_user_sgpr_count 6
		.amdhsa_user_sgpr_private_segment_buffer 1
		.amdhsa_user_sgpr_dispatch_ptr 0
		.amdhsa_user_sgpr_queue_ptr 0
		.amdhsa_user_sgpr_kernarg_segment_ptr 1
		.amdhsa_user_sgpr_dispatch_id 0
		.amdhsa_user_sgpr_flat_scratch_init 0
		.amdhsa_user_sgpr_kernarg_preload_length 0
		.amdhsa_user_sgpr_kernarg_preload_offset 0
		.amdhsa_user_sgpr_private_segment_size 0
		.amdhsa_uses_dynamic_stack 0
		.amdhsa_system_sgpr_private_segment_wavefront_offset 0
		.amdhsa_system_sgpr_workgroup_id_x 1
		.amdhsa_system_sgpr_workgroup_id_y 0
		.amdhsa_system_sgpr_workgroup_id_z 0
		.amdhsa_system_sgpr_workgroup_info 0
		.amdhsa_system_vgpr_workitem_id 0
		.amdhsa_next_free_vgpr 20
		.amdhsa_next_free_sgpr 20
		.amdhsa_accum_offset 20
		.amdhsa_reserve_vcc 1
		.amdhsa_reserve_flat_scratch 0
		.amdhsa_float_round_mode_32 0
		.amdhsa_float_round_mode_16_64 0
		.amdhsa_float_denorm_mode_32 3
		.amdhsa_float_denorm_mode_16_64 3
		.amdhsa_dx10_clamp 1
		.amdhsa_ieee_mode 1
		.amdhsa_fp16_overflow 0
		.amdhsa_tg_split 0
		.amdhsa_exception_fp_ieee_invalid_op 0
		.amdhsa_exception_fp_denorm_src 0
		.amdhsa_exception_fp_ieee_div_zero 0
		.amdhsa_exception_fp_ieee_overflow 0
		.amdhsa_exception_fp_ieee_underflow 0
		.amdhsa_exception_fp_ieee_inexact 0
		.amdhsa_exception_int_div_zero 0
	.end_amdhsa_kernel
	.section	.text._ZN9rocsparseL33bsr2csr_block_per_row_8_32_kernelILj1024ELj32ElilEEv20rocsparse_direction_T3_S2_21rocsparse_index_base_PKT1_PKT2_PKS2_S2_S3_PS4_PS7_PS2_,"axG",@progbits,_ZN9rocsparseL33bsr2csr_block_per_row_8_32_kernelILj1024ELj32ElilEEv20rocsparse_direction_T3_S2_21rocsparse_index_base_PKT1_PKT2_PKS2_S2_S3_PS4_PS7_PS2_,comdat
.Lfunc_end87:
	.size	_ZN9rocsparseL33bsr2csr_block_per_row_8_32_kernelILj1024ELj32ElilEEv20rocsparse_direction_T3_S2_21rocsparse_index_base_PKT1_PKT2_PKS2_S2_S3_PS4_PS7_PS2_, .Lfunc_end87-_ZN9rocsparseL33bsr2csr_block_per_row_8_32_kernelILj1024ELj32ElilEEv20rocsparse_direction_T3_S2_21rocsparse_index_base_PKT1_PKT2_PKS2_S2_S3_PS4_PS7_PS2_
                                        ; -- End function
	.section	.AMDGPU.csdata,"",@progbits
; Kernel info:
; codeLenInByte = 688
; NumSgprs: 24
; NumVgprs: 20
; NumAgprs: 0
; TotalNumVgprs: 20
; ScratchSize: 0
; MemoryBound: 0
; FloatMode: 240
; IeeeMode: 1
; LDSByteSize: 0 bytes/workgroup (compile time only)
; SGPRBlocks: 2
; VGPRBlocks: 2
; NumSGPRsForWavesPerEU: 24
; NumVGPRsForWavesPerEU: 20
; AccumOffset: 20
; Occupancy: 8
; WaveLimiterHint : 0
; COMPUTE_PGM_RSRC2:SCRATCH_EN: 0
; COMPUTE_PGM_RSRC2:USER_SGPR: 6
; COMPUTE_PGM_RSRC2:TRAP_HANDLER: 0
; COMPUTE_PGM_RSRC2:TGID_X_EN: 1
; COMPUTE_PGM_RSRC2:TGID_Y_EN: 0
; COMPUTE_PGM_RSRC2:TGID_Z_EN: 0
; COMPUTE_PGM_RSRC2:TIDIG_COMP_CNT: 0
; COMPUTE_PGM_RSRC3_GFX90A:ACCUM_OFFSET: 4
; COMPUTE_PGM_RSRC3_GFX90A:TG_SPLIT: 0
	.section	.text._ZN9rocsparseL35bsr2csr_block_per_row_33_256_kernelILj1024ELj64ELj32ElilEEv20rocsparse_direction_T4_S2_21rocsparse_index_base_PKT2_PKT3_PKS2_S2_S3_PS4_PS7_PS2_,"axG",@progbits,_ZN9rocsparseL35bsr2csr_block_per_row_33_256_kernelILj1024ELj64ELj32ElilEEv20rocsparse_direction_T4_S2_21rocsparse_index_base_PKT2_PKT3_PKS2_S2_S3_PS4_PS7_PS2_,comdat
	.globl	_ZN9rocsparseL35bsr2csr_block_per_row_33_256_kernelILj1024ELj64ELj32ElilEEv20rocsparse_direction_T4_S2_21rocsparse_index_base_PKT2_PKT3_PKS2_S2_S3_PS4_PS7_PS2_ ; -- Begin function _ZN9rocsparseL35bsr2csr_block_per_row_33_256_kernelILj1024ELj64ELj32ElilEEv20rocsparse_direction_T4_S2_21rocsparse_index_base_PKT2_PKT3_PKS2_S2_S3_PS4_PS7_PS2_
	.p2align	8
	.type	_ZN9rocsparseL35bsr2csr_block_per_row_33_256_kernelILj1024ELj64ELj32ElilEEv20rocsparse_direction_T4_S2_21rocsparse_index_base_PKT2_PKT3_PKS2_S2_S3_PS4_PS7_PS2_,@function
_ZN9rocsparseL35bsr2csr_block_per_row_33_256_kernelILj1024ELj64ELj32ElilEEv20rocsparse_direction_T4_S2_21rocsparse_index_base_PKT2_PKT3_PKS2_S2_S3_PS4_PS7_PS2_: ; @_ZN9rocsparseL35bsr2csr_block_per_row_33_256_kernelILj1024ELj64ELj32ElilEEv20rocsparse_direction_T4_S2_21rocsparse_index_base_PKT2_PKT3_PKS2_S2_S3_PS4_PS7_PS2_
; %bb.0:
	s_load_dwordx2 s[0:1], s[4:5], 0x28
	s_load_dword s26, s[4:5], 0x40
	s_load_dwordx2 s[2:3], s[4:5], 0x50
	s_mov_b32 s7, 0
	s_lshl_b64 s[8:9], s[6:7], 2
	s_waitcnt lgkmcnt(0)
	s_add_u32 s0, s0, s8
	s_addc_u32 s1, s1, s9
	s_load_dwordx2 s[0:1], s[0:1], 0x0
	v_or_b32_e32 v1, s6, v0
	v_cmp_eq_u32_e32 vcc, 0, v1
	s_and_saveexec_b64 s[8:9], vcc
	s_cbranch_execz .LBB88_2
; %bb.1:
	v_mov_b32_e32 v1, 0
	v_mov_b32_e32 v2, s26
	global_store_dword v1, v2, s[2:3]
.LBB88_2:
	s_or_b64 exec, exec, s[8:9]
	s_load_dword s27, s[4:5], 0x18
	s_load_dwordx2 s[8:9], s[4:5], 0x38
	v_mov_b32_e32 v7, 0
	v_lshrrev_b32_e32 v6, 5, v0
	v_lshlrev_b32_e32 v1, 2, v6
	s_waitcnt lgkmcnt(0)
	s_sub_i32 s10, s0, s27
	s_mul_i32 s7, s8, s9
	s_mul_hi_u32 s11, s8, s8
	s_sub_i32 s28, s1, s27
	s_add_i32 s11, s11, s7
	s_add_i32 s23, s11, s7
	s_sub_i32 s11, s28, s10
	s_mul_i32 s7, s6, s9
	s_mul_hi_u32 s12, s6, s8
	s_mul_i32 s16, s11, s8
	s_add_i32 s7, s12, s7
	s_mul_i32 s6, s6, s8
	s_add_i32 s15, s16, s26
	s_lshl_b64 s[6:7], s[6:7], 2
	s_mul_i32 s22, s8, s8
	s_add_u32 s6, s2, s6
	s_mul_i32 s14, s22, s10
	s_addc_u32 s7, s3, s7
	v_cmp_gt_i64_e32 vcc, s[8:9], v[6:7]
	s_and_saveexec_b64 s[2:3], vcc
	s_cbranch_execz .LBB88_4
; %bb.3:
	v_mul_lo_u32 v2, v6, s16
	s_add_i32 s12, s15, s14
	v_add_u32_e32 v2, s12, v2
	global_store_dword v1, v2, s[6:7] offset:4
.LBB88_4:
	s_or_b64 exec, exec, s[2:3]
	v_or_b32_e32 v4, 32, v6
	v_mov_b32_e32 v5, v7
	v_cmp_gt_i64_e64 s[2:3], s[8:9], v[4:5]
	s_and_saveexec_b64 s[12:13], s[2:3]
	s_cbranch_execz .LBB88_6
; %bb.5:
	s_add_u32 s6, s6, 4
	s_addc_u32 s7, s7, 0
	v_mul_lo_u32 v2, v4, s16
	s_add_i32 s15, s15, s14
	v_add_u32_e32 v2, s15, v2
	global_store_dword v1, v2, s[6:7] offset:128
.LBB88_6:
	s_or_b64 exec, exec, s[12:13]
	s_cmp_lt_i32 s0, s1
	s_cbranch_scc0 .LBB88_17
; %bb.7:
	s_load_dwordx2 s[24:25], s[4:5], 0x30
	s_load_dwordx2 s[12:13], s[4:5], 0x48
	s_load_dword s0, s[4:5], 0x0
	s_load_dwordx2 s[14:15], s[4:5], 0x20
	s_load_dwordx2 s[16:17], s[4:5], 0x58
	v_and_b32_e32 v0, 31, v0
	v_mov_b32_e32 v1, 0
	s_waitcnt lgkmcnt(0)
	s_cmp_eq_u32 s0, 0
	v_or_b32_e32 v2, 32, v0
	v_mov_b32_e32 v3, v1
	s_cselect_b64 s[0:1], -1, 0
	v_mul_lo_u32 v7, v6, s11
	v_cmp_gt_i64_e64 s[4:5], s[8:9], v[0:1]
	v_cmp_gt_i64_e64 s[6:7], s[8:9], v[2:3]
	v_mul_lo_u32 v3, v4, s11
	s_ashr_i32 s11, s10, 31
	s_and_b64 s[18:19], vcc, s[4:5]
	s_and_b64 s[20:21], vcc, s[6:7]
	s_and_b64 s[4:5], s[2:3], s[4:5]
	s_and_b64 s[2:3], s[2:3], s[6:7]
	s_lshl_b64 s[6:7], s[10:11], 3
	s_add_u32 s6, s24, s6
	s_mul_hi_u32 s24, s8, s10
	s_mul_i32 s11, s8, s11
	s_addc_u32 s7, s25, s7
	s_add_i32 s11, s24, s11
	s_mul_i32 s24, s9, s10
	s_mul_i32 s30, s8, s10
	s_add_i32 s31, s11, s24
	s_lshl_b64 s[24:25], s[30:31], 3
	v_lshlrev_b32_e32 v14, 3, v6
	v_mov_b32_e32 v6, s25
	v_add_co_u32_e32 v10, vcc, s24, v14
	v_addc_co_u32_e32 v11, vcc, 0, v6, vcc
	s_movk_i32 s11, 0x100
	v_add_co_u32_e32 v8, vcc, s11, v10
	v_addc_co_u32_e32 v9, vcc, 0, v11, vcc
	v_lshlrev_b32_e32 v12, 3, v0
	v_mov_b32_e32 v13, v1
	v_add_u32_e32 v3, s30, v3
	v_mov_b32_e32 v4, v1
	v_add_u32_e32 v7, s30, v7
	v_mov_b32_e32 v15, v1
	v_mul_lo_u32 v1, s8, v9
	v_mul_lo_u32 v16, s9, v8
	v_mad_u64_u32 v[8:9], s[30:31], s8, v8, v[12:13]
	v_add3_u32 v9, v16, v9, v1
	v_mul_lo_u32 v1, s8, v11
	v_mul_lo_u32 v16, s9, v10
	v_mad_u64_u32 v[10:11], s[30:31], s8, v10, v[12:13]
	v_add3_u32 v11, v16, v11, v1
	v_add_co_u32_e32 v1, vcc, s24, v12
	v_addc_co_u32_e32 v6, vcc, 0, v6, vcc
	v_add_co_u32_e32 v12, vcc, s11, v1
	v_addc_co_u32_e32 v13, vcc, 0, v6, vcc
	v_mul_lo_u32 v16, s8, v13
	v_mul_lo_u32 v17, s9, v12
	v_mad_u64_u32 v[12:13], s[24:25], s8, v12, v[14:15]
	v_add3_u32 v13, v17, v13, v16
	v_mul_lo_u32 v6, s8, v6
	v_mul_lo_u32 v16, s9, v1
	v_mad_u64_u32 v[14:15], s[24:25], s8, v1, v[14:15]
	v_add3_u32 v15, v16, v15, v6
	v_mul_lo_u32 v3, s8, v3
	v_mov_b32_e32 v5, v0
	s_mov_b32 s29, s8
	v_mul_lo_u32 v7, s8, v7
	s_lshl_b64 s[22:23], s[22:23], 3
	v_cndmask_b32_e64 v1, v15, v11, s[0:1]
	v_cndmask_b32_e64 v6, v14, v10, s[0:1]
	s_branch .LBB88_9
.LBB88_8:                               ;   in Loop: Header=BB88_9 Depth=1
	s_or_b64 exec, exec, s[24:25]
	s_add_i32 s10, s10, 1
	s_add_u32 s6, s6, 8
	s_addc_u32 s7, s7, 0
	s_add_u32 s14, s14, s22
	v_mov_b32_e32 v16, s29
	s_addc_u32 s15, s15, s23
	v_add_co_u32_e32 v4, vcc, 0, v4
	s_cmp_ge_i32 s10, s28
	v_addc_co_u32_e32 v5, vcc, v5, v16, vcc
	s_cbranch_scc1 .LBB88_17
.LBB88_9:                               ; =>This Inner Loop Header: Depth=1
	s_load_dwordx2 s[24:25], s[6:7], 0x0
	s_waitcnt lgkmcnt(0)
	s_sub_u32 s24, s24, s27
	s_subb_u32 s25, s25, 0
	s_mul_i32 s30, s24, s9
	s_mul_hi_u32 s31, s24, s8
	s_add_i32 s30, s31, s30
	s_mul_i32 s25, s25, s8
	s_add_i32 s25, s30, s25
	s_mul_i32 s24, s24, s8
	s_add_u32 s30, s24, s26
	s_addc_u32 s31, s25, 0
	s_and_saveexec_b64 s[24:25], s[18:19]
	s_cbranch_execnz .LBB88_13
; %bb.10:                               ;   in Loop: Header=BB88_9 Depth=1
	s_or_b64 exec, exec, s[24:25]
	s_and_saveexec_b64 s[24:25], s[20:21]
	s_cbranch_execnz .LBB88_14
.LBB88_11:                              ;   in Loop: Header=BB88_9 Depth=1
	s_or_b64 exec, exec, s[24:25]
	s_and_saveexec_b64 s[24:25], s[4:5]
	s_cbranch_execnz .LBB88_15
.LBB88_12:                              ;   in Loop: Header=BB88_9 Depth=1
	s_or_b64 exec, exec, s[24:25]
	s_and_saveexec_b64 s[24:25], s[2:3]
	s_cbranch_execz .LBB88_8
	s_branch .LBB88_16
.LBB88_13:                              ;   in Loop: Header=BB88_9 Depth=1
	v_mov_b32_e32 v17, s15
	v_add_co_u32_e32 v16, vcc, s14, v6
	v_addc_co_u32_e32 v17, vcc, v17, v1, vcc
	global_load_dwordx2 v[16:17], v[16:17], off
	v_mov_b32_e32 v19, s31
	v_add_co_u32_e32 v18, vcc, s30, v0
	v_addc_co_u32_e32 v19, vcc, 0, v19, vcc
	v_add_co_u32_e32 v20, vcc, 0, v4
	v_addc_co_u32_e32 v21, vcc, v7, v5, vcc
	v_ashrrev_i64 v[20:21], 29, v[20:21]
	v_mov_b32_e32 v23, s17
	v_add_co_u32_e32 v22, vcc, s16, v20
	v_addc_co_u32_e32 v23, vcc, v23, v21, vcc
	global_store_dwordx2 v[22:23], v[18:19], off
	v_mov_b32_e32 v19, s13
	v_add_co_u32_e32 v18, vcc, s12, v20
	v_addc_co_u32_e32 v19, vcc, v19, v21, vcc
	s_waitcnt vmcnt(1)
	global_store_dwordx2 v[18:19], v[16:17], off
	s_or_b64 exec, exec, s[24:25]
	s_and_saveexec_b64 s[24:25], s[20:21]
	s_cbranch_execz .LBB88_11
.LBB88_14:                              ;   in Loop: Header=BB88_9 Depth=1
	v_mov_b32_e32 v16, s15
	v_add_co_u32_e32 v17, vcc, s14, v10
	v_addc_co_u32_e32 v18, vcc, v16, v11, vcc
	v_add_co_u32_e32 v19, vcc, s11, v17
	v_addc_co_u32_e32 v17, vcc, 0, v18, vcc
	;; [unrolled: 2-line block ×3, first 2 shown]
	v_cndmask_b32_e64 v17, v16, v17, s[0:1]
	v_cndmask_b32_e64 v16, v18, v19, s[0:1]
	global_load_dwordx2 v[16:17], v[16:17], off
	v_mov_b32_e32 v19, s31
	v_add_co_u32_e32 v18, vcc, s30, v2
	v_addc_co_u32_e32 v19, vcc, 0, v19, vcc
	v_add_co_u32_e32 v20, vcc, 0, v4
	v_addc_co_u32_e32 v21, vcc, v7, v5, vcc
	;; [unrolled: 2-line block ×3, first 2 shown]
	v_ashrrev_i64 v[20:21], 29, v[20:21]
	v_mov_b32_e32 v23, s17
	v_add_co_u32_e32 v22, vcc, s16, v20
	v_addc_co_u32_e32 v23, vcc, v23, v21, vcc
	global_store_dwordx2 v[22:23], v[18:19], off
	v_mov_b32_e32 v19, s13
	v_add_co_u32_e32 v18, vcc, s12, v20
	v_addc_co_u32_e32 v19, vcc, v19, v21, vcc
	s_waitcnt vmcnt(1)
	global_store_dwordx2 v[18:19], v[16:17], off
	s_or_b64 exec, exec, s[24:25]
	s_and_saveexec_b64 s[24:25], s[4:5]
	s_cbranch_execz .LBB88_12
.LBB88_15:                              ;   in Loop: Header=BB88_9 Depth=1
	v_mov_b32_e32 v16, s15
	v_add_co_u32_e32 v18, vcc, s14, v8
	v_addc_co_u32_e32 v17, vcc, v16, v9, vcc
	v_add_co_u32_e32 v19, vcc, s14, v14
	v_addc_co_u32_e32 v16, vcc, v16, v15, vcc
	;; [unrolled: 2-line block ×3, first 2 shown]
	v_cndmask_b32_e64 v17, v16, v17, s[0:1]
	v_cndmask_b32_e64 v16, v19, v18, s[0:1]
	global_load_dwordx2 v[16:17], v[16:17], off
	v_mov_b32_e32 v19, s31
	v_add_co_u32_e32 v18, vcc, s30, v0
	v_addc_co_u32_e32 v19, vcc, 0, v19, vcc
	v_add_co_u32_e32 v20, vcc, 0, v4
	v_addc_co_u32_e32 v21, vcc, v3, v5, vcc
	v_ashrrev_i64 v[20:21], 29, v[20:21]
	v_mov_b32_e32 v23, s17
	v_add_co_u32_e32 v22, vcc, s16, v20
	v_addc_co_u32_e32 v23, vcc, v23, v21, vcc
	global_store_dwordx2 v[22:23], v[18:19], off
	v_mov_b32_e32 v19, s13
	v_add_co_u32_e32 v18, vcc, s12, v20
	v_addc_co_u32_e32 v19, vcc, v19, v21, vcc
	s_waitcnt vmcnt(1)
	global_store_dwordx2 v[18:19], v[16:17], off
	s_or_b64 exec, exec, s[24:25]
	s_and_saveexec_b64 s[24:25], s[2:3]
	s_cbranch_execz .LBB88_8
.LBB88_16:                              ;   in Loop: Header=BB88_9 Depth=1
	v_cndmask_b32_e64 v16, v12, v8, s[0:1]
	v_cndmask_b32_e64 v17, v13, v9, s[0:1]
	v_mov_b32_e32 v18, s15
	v_add_co_u32_e32 v16, vcc, s14, v16
	v_addc_co_u32_e32 v17, vcc, v18, v17, vcc
	global_load_dwordx2 v[16:17], v[16:17], off offset:256
	v_mov_b32_e32 v19, s31
	v_add_co_u32_e32 v18, vcc, s30, v2
	v_addc_co_u32_e32 v19, vcc, 0, v19, vcc
	v_add_co_u32_e32 v20, vcc, 0, v4
	v_addc_co_u32_e32 v21, vcc, v3, v5, vcc
	;; [unrolled: 2-line block ×3, first 2 shown]
	v_ashrrev_i64 v[20:21], 29, v[20:21]
	v_mov_b32_e32 v23, s17
	v_add_co_u32_e32 v22, vcc, s16, v20
	v_addc_co_u32_e32 v23, vcc, v23, v21, vcc
	global_store_dwordx2 v[22:23], v[18:19], off
	v_mov_b32_e32 v19, s13
	v_add_co_u32_e32 v18, vcc, s12, v20
	v_addc_co_u32_e32 v19, vcc, v19, v21, vcc
	s_waitcnt vmcnt(1)
	global_store_dwordx2 v[18:19], v[16:17], off
	s_branch .LBB88_8
.LBB88_17:
	s_endpgm
	.section	.rodata,"a",@progbits
	.p2align	6, 0x0
	.amdhsa_kernel _ZN9rocsparseL35bsr2csr_block_per_row_33_256_kernelILj1024ELj64ELj32ElilEEv20rocsparse_direction_T4_S2_21rocsparse_index_base_PKT2_PKT3_PKS2_S2_S3_PS4_PS7_PS2_
		.amdhsa_group_segment_fixed_size 0
		.amdhsa_private_segment_fixed_size 0
		.amdhsa_kernarg_size 96
		.amdhsa_user_sgpr_count 6
		.amdhsa_user_sgpr_private_segment_buffer 1
		.amdhsa_user_sgpr_dispatch_ptr 0
		.amdhsa_user_sgpr_queue_ptr 0
		.amdhsa_user_sgpr_kernarg_segment_ptr 1
		.amdhsa_user_sgpr_dispatch_id 0
		.amdhsa_user_sgpr_flat_scratch_init 0
		.amdhsa_user_sgpr_kernarg_preload_length 0
		.amdhsa_user_sgpr_kernarg_preload_offset 0
		.amdhsa_user_sgpr_private_segment_size 0
		.amdhsa_uses_dynamic_stack 0
		.amdhsa_system_sgpr_private_segment_wavefront_offset 0
		.amdhsa_system_sgpr_workgroup_id_x 1
		.amdhsa_system_sgpr_workgroup_id_y 0
		.amdhsa_system_sgpr_workgroup_id_z 0
		.amdhsa_system_sgpr_workgroup_info 0
		.amdhsa_system_vgpr_workitem_id 0
		.amdhsa_next_free_vgpr 24
		.amdhsa_next_free_sgpr 32
		.amdhsa_accum_offset 24
		.amdhsa_reserve_vcc 1
		.amdhsa_reserve_flat_scratch 0
		.amdhsa_float_round_mode_32 0
		.amdhsa_float_round_mode_16_64 0
		.amdhsa_float_denorm_mode_32 3
		.amdhsa_float_denorm_mode_16_64 3
		.amdhsa_dx10_clamp 1
		.amdhsa_ieee_mode 1
		.amdhsa_fp16_overflow 0
		.amdhsa_tg_split 0
		.amdhsa_exception_fp_ieee_invalid_op 0
		.amdhsa_exception_fp_denorm_src 0
		.amdhsa_exception_fp_ieee_div_zero 0
		.amdhsa_exception_fp_ieee_overflow 0
		.amdhsa_exception_fp_ieee_underflow 0
		.amdhsa_exception_fp_ieee_inexact 0
		.amdhsa_exception_int_div_zero 0
	.end_amdhsa_kernel
	.section	.text._ZN9rocsparseL35bsr2csr_block_per_row_33_256_kernelILj1024ELj64ELj32ElilEEv20rocsparse_direction_T4_S2_21rocsparse_index_base_PKT2_PKT3_PKS2_S2_S3_PS4_PS7_PS2_,"axG",@progbits,_ZN9rocsparseL35bsr2csr_block_per_row_33_256_kernelILj1024ELj64ELj32ElilEEv20rocsparse_direction_T4_S2_21rocsparse_index_base_PKT2_PKT3_PKS2_S2_S3_PS4_PS7_PS2_,comdat
.Lfunc_end88:
	.size	_ZN9rocsparseL35bsr2csr_block_per_row_33_256_kernelILj1024ELj64ELj32ElilEEv20rocsparse_direction_T4_S2_21rocsparse_index_base_PKT2_PKT3_PKS2_S2_S3_PS4_PS7_PS2_, .Lfunc_end88-_ZN9rocsparseL35bsr2csr_block_per_row_33_256_kernelILj1024ELj64ELj32ElilEEv20rocsparse_direction_T4_S2_21rocsparse_index_base_PKT2_PKT3_PKS2_S2_S3_PS4_PS7_PS2_
                                        ; -- End function
	.section	.AMDGPU.csdata,"",@progbits
; Kernel info:
; codeLenInByte = 1360
; NumSgprs: 36
; NumVgprs: 24
; NumAgprs: 0
; TotalNumVgprs: 24
; ScratchSize: 0
; MemoryBound: 0
; FloatMode: 240
; IeeeMode: 1
; LDSByteSize: 0 bytes/workgroup (compile time only)
; SGPRBlocks: 4
; VGPRBlocks: 2
; NumSGPRsForWavesPerEU: 36
; NumVGPRsForWavesPerEU: 24
; AccumOffset: 24
; Occupancy: 8
; WaveLimiterHint : 1
; COMPUTE_PGM_RSRC2:SCRATCH_EN: 0
; COMPUTE_PGM_RSRC2:USER_SGPR: 6
; COMPUTE_PGM_RSRC2:TRAP_HANDLER: 0
; COMPUTE_PGM_RSRC2:TGID_X_EN: 1
; COMPUTE_PGM_RSRC2:TGID_Y_EN: 0
; COMPUTE_PGM_RSRC2:TGID_Z_EN: 0
; COMPUTE_PGM_RSRC2:TIDIG_COMP_CNT: 0
; COMPUTE_PGM_RSRC3_GFX90A:ACCUM_OFFSET: 5
; COMPUTE_PGM_RSRC3_GFX90A:TG_SPLIT: 0
	.section	.text._ZN9rocsparseL35bsr2csr_block_per_row_33_256_kernelILj1024ELj128ELj32ElilEEv20rocsparse_direction_T4_S2_21rocsparse_index_base_PKT2_PKT3_PKS2_S2_S3_PS4_PS7_PS2_,"axG",@progbits,_ZN9rocsparseL35bsr2csr_block_per_row_33_256_kernelILj1024ELj128ELj32ElilEEv20rocsparse_direction_T4_S2_21rocsparse_index_base_PKT2_PKT3_PKS2_S2_S3_PS4_PS7_PS2_,comdat
	.globl	_ZN9rocsparseL35bsr2csr_block_per_row_33_256_kernelILj1024ELj128ELj32ElilEEv20rocsparse_direction_T4_S2_21rocsparse_index_base_PKT2_PKT3_PKS2_S2_S3_PS4_PS7_PS2_ ; -- Begin function _ZN9rocsparseL35bsr2csr_block_per_row_33_256_kernelILj1024ELj128ELj32ElilEEv20rocsparse_direction_T4_S2_21rocsparse_index_base_PKT2_PKT3_PKS2_S2_S3_PS4_PS7_PS2_
	.p2align	8
	.type	_ZN9rocsparseL35bsr2csr_block_per_row_33_256_kernelILj1024ELj128ELj32ElilEEv20rocsparse_direction_T4_S2_21rocsparse_index_base_PKT2_PKT3_PKS2_S2_S3_PS4_PS7_PS2_,@function
_ZN9rocsparseL35bsr2csr_block_per_row_33_256_kernelILj1024ELj128ELj32ElilEEv20rocsparse_direction_T4_S2_21rocsparse_index_base_PKT2_PKT3_PKS2_S2_S3_PS4_PS7_PS2_: ; @_ZN9rocsparseL35bsr2csr_block_per_row_33_256_kernelILj1024ELj128ELj32ElilEEv20rocsparse_direction_T4_S2_21rocsparse_index_base_PKT2_PKT3_PKS2_S2_S3_PS4_PS7_PS2_
; %bb.0:
	s_load_dwordx2 s[0:1], s[4:5], 0x28
	s_load_dword s33, s[4:5], 0x40
	s_load_dwordx2 s[2:3], s[4:5], 0x50
	s_mov_b32 s7, 0
	s_lshl_b64 s[8:9], s[6:7], 2
	s_waitcnt lgkmcnt(0)
	s_add_u32 s0, s0, s8
	s_addc_u32 s1, s1, s9
	s_load_dwordx2 s[0:1], s[0:1], 0x0
	v_or_b32_e32 v1, s6, v0
	v_cmp_eq_u32_e32 vcc, 0, v1
	s_and_saveexec_b64 s[8:9], vcc
	s_cbranch_execz .LBB89_2
; %bb.1:
	v_mov_b32_e32 v1, 0
	v_mov_b32_e32 v2, s33
	global_store_dword v1, v2, s[2:3]
.LBB89_2:
	s_or_b64 exec, exec, s[8:9]
	s_load_dword s52, s[4:5], 0x18
	s_load_dwordx2 s[16:17], s[4:5], 0x38
	v_mov_b32_e32 v17, 0
	v_lshrrev_b32_e32 v16, 5, v0
	v_lshlrev_b32_e32 v1, 2, v16
	s_waitcnt lgkmcnt(0)
	s_sub_i32 s18, s0, s52
	s_mul_i32 s7, s16, s17
	s_mul_hi_u32 s8, s16, s16
	s_sub_i32 s53, s1, s52
	s_add_i32 s8, s8, s7
	s_add_i32 s49, s8, s7
	s_sub_i32 s19, s53, s18
	s_mul_i32 s7, s6, s17
	s_mul_hi_u32 s8, s6, s16
	s_mul_i32 s20, s19, s16
	s_add_i32 s7, s8, s7
	s_mul_i32 s6, s6, s16
	s_add_i32 s15, s20, s33
	s_lshl_b64 s[6:7], s[6:7], 2
	s_mul_i32 s48, s16, s16
	s_add_u32 s2, s2, s6
	s_mul_i32 s14, s48, s18
	s_addc_u32 s3, s3, s7
	v_cmp_gt_i64_e32 vcc, s[16:17], v[16:17]
	s_and_saveexec_b64 s[6:7], vcc
	s_cbranch_execz .LBB89_4
; %bb.3:
	v_mul_lo_u32 v2, v16, s20
	s_add_i32 s8, s15, s14
	v_add_u32_e32 v2, s8, v2
	global_store_dword v1, v2, s[2:3] offset:4
.LBB89_4:
	s_or_b64 exec, exec, s[6:7]
	s_add_u32 s10, s2, 4
	v_or_b32_e32 v12, 32, v16
	v_mov_b32_e32 v13, v17
	s_addc_u32 s11, s3, 0
	v_cmp_gt_i64_e64 s[2:3], s[16:17], v[12:13]
	s_and_saveexec_b64 s[6:7], s[2:3]
	s_cbranch_execz .LBB89_6
; %bb.5:
	v_mul_lo_u32 v2, v12, s20
	s_add_i32 s8, s15, s14
	v_add_u32_e32 v2, s8, v2
	global_store_dword v1, v2, s[10:11] offset:128
.LBB89_6:
	s_or_b64 exec, exec, s[6:7]
	v_or_b32_e32 v10, 64, v16
	v_mov_b32_e32 v11, v17
	v_cmp_gt_i64_e64 s[6:7], s[16:17], v[10:11]
	s_and_saveexec_b64 s[8:9], s[6:7]
	s_cbranch_execz .LBB89_8
; %bb.7:
	v_mul_lo_u32 v2, v10, s20
	s_add_i32 s12, s15, s14
	v_add_u32_e32 v2, s12, v2
	global_store_dword v1, v2, s[10:11] offset:256
.LBB89_8:
	s_or_b64 exec, exec, s[8:9]
	v_or_b32_e32 v2, 0x60, v16
	v_mov_b32_e32 v3, v17
	v_cmp_gt_i64_e64 s[8:9], s[16:17], v[2:3]
	s_and_saveexec_b64 s[12:13], s[8:9]
	s_cbranch_execz .LBB89_10
; %bb.9:
	v_mul_lo_u32 v2, v2, s20
	s_add_i32 s15, s15, s14
	v_add_u32_e32 v2, s15, v2
	global_store_dword v1, v2, s[10:11] offset:384
.LBB89_10:
	s_or_b64 exec, exec, s[12:13]
	s_cmp_lt_i32 s0, s1
	s_cbranch_scc0 .LBB89_45
; %bb.11:
	s_load_dwordx2 s[50:51], s[4:5], 0x30
	s_load_dwordx2 s[20:21], s[4:5], 0x48
	s_load_dword s0, s[4:5], 0x0
	s_load_dwordx2 s[22:23], s[4:5], 0x20
	s_load_dwordx2 s[24:25], s[4:5], 0x58
	v_and_b32_e32 v0, 31, v0
	v_mov_b32_e32 v1, 0
	v_or_b32_e32 v4, 64, v0
	v_mov_b32_e32 v5, v1
	s_waitcnt lgkmcnt(0)
	s_cmp_eq_u32 s0, 0
	v_or_b32_e32 v2, 32, v0
	v_mov_b32_e32 v3, v1
	v_cmp_gt_i64_e64 s[12:13], s[16:17], v[4:5]
	v_or_b32_e32 v6, 0x60, v0
	v_mov_b32_e32 v7, v1
	v_or_b32_e32 v5, 0x60, v16
	s_cselect_b64 s[0:1], -1, 0
	v_mul_lo_u32 v11, v16, s19
	v_cmp_gt_i64_e64 s[4:5], s[16:17], v[0:1]
	v_cmp_gt_i64_e64 s[10:11], s[16:17], v[2:3]
	;; [unrolled: 1-line block ×3, first 2 shown]
	v_mul_lo_u32 v5, v5, s19
	v_mul_lo_u32 v7, v10, s19
	;; [unrolled: 1-line block ×3, first 2 shown]
	s_ashr_i32 s19, s18, 31
	s_and_b64 s[26:27], vcc, s[4:5]
	s_and_b64 s[28:29], vcc, s[10:11]
	;; [unrolled: 1-line block ×4, first 2 shown]
	s_and_b64 s[36:37], s[2:3], s[4:5]
	s_and_b64 s[38:39], s[2:3], s[10:11]
	;; [unrolled: 1-line block ×12, first 2 shown]
	s_lshl_b64 s[14:15], s[18:19], 3
	s_mul_i32 s56, s16, s18
	s_add_u32 s14, s50, s14
	s_mul_hi_u32 s50, s16, s18
	s_mul_i32 s19, s16, s19
	v_add_u32_e32 v5, s56, v5
	s_addc_u32 s15, s51, s15
	s_add_i32 s19, s50, s19
	s_mul_i32 s50, s17, s18
	v_mul_lo_u32 v5, s16, v5
	v_mov_b32_e32 v13, 0x60
	v_add_co_u32_e64 v8, vcc, 0, 0
	s_add_i32 s57, s19, s50
	v_addc_co_u32_e32 v5, vcc, v5, v13, vcc
	s_lshl_b64 s[50:51], s[56:57], 3
	v_lshlrev_b32_e32 v30, 3, v16
	v_mov_b32_e32 v15, s51
	v_add_co_u32_e32 v22, vcc, s50, v30
	v_addc_co_u32_e32 v23, vcc, 0, v15, vcc
	s_movk_i32 s19, 0x300
	v_add_co_u32_e32 v16, vcc, s19, v22
	v_addc_co_u32_e32 v17, vcc, 0, v23, vcc
	v_lshlrev_b32_e32 v24, 3, v0
	v_mov_b32_e32 v25, v1
	v_add_u32_e32 v7, s56, v7
	v_mov_b32_e32 v10, v1
	v_add_u32_e32 v9, s56, v9
	;; [unrolled: 2-line block ×3, first 2 shown]
	v_mov_b32_e32 v14, v1
	v_mov_b32_e32 v31, v1
	v_mul_lo_u32 v1, s16, v17
	v_mul_lo_u32 v18, s17, v16
	v_mad_u64_u32 v[16:17], s[56:57], s16, v16, v[24:25]
	s_movk_i32 s55, 0x200
	v_add3_u32 v17, v18, v17, v1
	v_add_co_u32_e32 v1, vcc, s55, v22
	v_addc_co_u32_e32 v18, vcc, 0, v23, vcc
	v_mul_lo_u32 v20, s16, v18
	v_mad_u64_u32 v[18:19], s[56:57], s16, v1, v[24:25]
	s_movk_i32 s56, 0x100
	v_mul_lo_u32 v21, s17, v1
	v_add_co_u32_e32 v1, vcc, s56, v22
	v_add3_u32 v19, v21, v19, v20
	v_addc_co_u32_e32 v20, vcc, 0, v23, vcc
	v_mul_lo_u32 v26, s16, v20
	v_mul_lo_u32 v27, s17, v1
	v_mad_u64_u32 v[20:21], s[58:59], s16, v1, v[24:25]
	v_add3_u32 v21, v27, v21, v26
	v_mul_lo_u32 v1, s16, v23
	v_mul_lo_u32 v26, s17, v22
	v_mad_u64_u32 v[22:23], s[58:59], s16, v22, v[24:25]
	v_add3_u32 v23, v26, v23, v1
	v_add_co_u32_e32 v1, vcc, s50, v24
	v_addc_co_u32_e32 v15, vcc, 0, v15, vcc
	v_add_co_u32_e32 v24, vcc, s19, v1
	v_addc_co_u32_e32 v25, vcc, 0, v15, vcc
	v_mul_lo_u32 v26, s16, v25
	v_mul_lo_u32 v27, s17, v24
	v_mad_u64_u32 v[24:25], s[50:51], s16, v24, v[30:31]
	v_add3_u32 v25, v27, v25, v26
	v_add_co_u32_e32 v26, vcc, s55, v1
	v_addc_co_u32_e32 v27, vcc, 0, v15, vcc
	v_mul_lo_u32 v28, s16, v27
	v_mul_lo_u32 v29, s17, v26
	v_mad_u64_u32 v[26:27], s[50:51], s16, v26, v[30:31]
	v_add3_u32 v27, v29, v27, v28
	;; [unrolled: 6-line block ×3, first 2 shown]
	v_mul_lo_u32 v15, s16, v15
	v_mul_lo_u32 v32, s17, v1
	v_mad_u64_u32 v[30:31], s[50:51], s16, v1, v[30:31]
	v_mov_b32_e32 v3, v0
	s_mov_b32 s54, s16
	v_mul_lo_u32 v7, s16, v7
	v_mul_lo_u32 v9, s16, v9
	;; [unrolled: 1-line block ×3, first 2 shown]
	s_lshl_b64 s[48:49], s[48:49], 3
	v_add3_u32 v31, v32, v31, v15
	v_mov_b32_e32 v1, 0xffffffa0
	v_not_b32_e32 v15, 63
	v_not_b32_e32 v32, 31
	s_branch .LBB89_13
.LBB89_12:                              ;   in Loop: Header=BB89_13 Depth=1
	s_or_b64 exec, exec, s[50:51]
	v_mov_b32_e32 v33, s54
	v_add_co_u32_e32 v8, vcc, 0, v8
	v_addc_co_u32_e32 v5, vcc, v5, v33, vcc
	s_add_i32 s18, s18, 1
	v_add_co_u32_e32 v10, vcc, 0, v10
	v_addc_co_u32_e32 v7, vcc, v7, v33, vcc
	s_add_u32 s14, s14, 8
	v_add_co_u32_e32 v12, vcc, 0, v12
	s_addc_u32 s15, s15, 0
	v_addc_co_u32_e32 v9, vcc, v9, v33, vcc
	s_add_u32 s22, s22, s48
	s_addc_u32 s23, s23, s49
	v_add_co_u32_e32 v14, vcc, 0, v14
	s_cmp_ge_i32 s18, s53
	v_addc_co_u32_e32 v11, vcc, v11, v33, vcc
	s_cbranch_scc1 .LBB89_45
.LBB89_13:                              ; =>This Inner Loop Header: Depth=1
	s_load_dwordx2 s[50:51], s[14:15], 0x0
	s_waitcnt lgkmcnt(0)
	s_sub_u32 s50, s50, s52
	s_subb_u32 s51, s51, 0
	s_mul_i32 s57, s50, s17
	s_mul_hi_u32 s58, s50, s16
	s_add_i32 s57, s58, s57
	s_mul_i32 s51, s51, s16
	s_add_i32 s51, s57, s51
	s_mul_i32 s50, s50, s16
	s_add_u32 s57, s50, s33
	s_addc_u32 s58, s51, 0
	s_and_saveexec_b64 s[50:51], s[26:27]
	s_cbranch_execnz .LBB89_29
; %bb.14:                               ;   in Loop: Header=BB89_13 Depth=1
	s_or_b64 exec, exec, s[50:51]
	s_and_saveexec_b64 s[50:51], s[28:29]
	s_cbranch_execnz .LBB89_30
.LBB89_15:                              ;   in Loop: Header=BB89_13 Depth=1
	s_or_b64 exec, exec, s[50:51]
	s_and_saveexec_b64 s[50:51], s[30:31]
	s_cbranch_execnz .LBB89_31
.LBB89_16:                              ;   in Loop: Header=BB89_13 Depth=1
	s_or_b64 exec, exec, s[50:51]
	s_and_saveexec_b64 s[50:51], s[34:35]
	s_cbranch_execnz .LBB89_32
.LBB89_17:                              ;   in Loop: Header=BB89_13 Depth=1
	s_or_b64 exec, exec, s[50:51]
	s_and_saveexec_b64 s[50:51], s[36:37]
	s_cbranch_execnz .LBB89_33
.LBB89_18:                              ;   in Loop: Header=BB89_13 Depth=1
	s_or_b64 exec, exec, s[50:51]
	s_and_saveexec_b64 s[50:51], s[38:39]
	s_cbranch_execnz .LBB89_34
.LBB89_19:                              ;   in Loop: Header=BB89_13 Depth=1
	s_or_b64 exec, exec, s[50:51]
	s_and_saveexec_b64 s[50:51], s[40:41]
	s_cbranch_execnz .LBB89_35
.LBB89_20:                              ;   in Loop: Header=BB89_13 Depth=1
	s_or_b64 exec, exec, s[50:51]
	s_and_saveexec_b64 s[50:51], s[2:3]
	s_cbranch_execnz .LBB89_36
.LBB89_21:                              ;   in Loop: Header=BB89_13 Depth=1
	s_or_b64 exec, exec, s[50:51]
	s_and_saveexec_b64 s[50:51], s[42:43]
	s_cbranch_execnz .LBB89_37
.LBB89_22:                              ;   in Loop: Header=BB89_13 Depth=1
	s_or_b64 exec, exec, s[50:51]
	s_and_saveexec_b64 s[50:51], s[44:45]
	s_cbranch_execnz .LBB89_38
.LBB89_23:                              ;   in Loop: Header=BB89_13 Depth=1
	s_or_b64 exec, exec, s[50:51]
	s_and_saveexec_b64 s[50:51], s[46:47]
	s_cbranch_execnz .LBB89_39
.LBB89_24:                              ;   in Loop: Header=BB89_13 Depth=1
	s_or_b64 exec, exec, s[50:51]
	s_and_saveexec_b64 s[50:51], s[6:7]
	s_cbranch_execnz .LBB89_40
.LBB89_25:                              ;   in Loop: Header=BB89_13 Depth=1
	s_or_b64 exec, exec, s[50:51]
	s_and_saveexec_b64 s[50:51], s[4:5]
	s_cbranch_execnz .LBB89_41
.LBB89_26:                              ;   in Loop: Header=BB89_13 Depth=1
	s_or_b64 exec, exec, s[50:51]
	s_and_saveexec_b64 s[50:51], s[10:11]
	s_cbranch_execnz .LBB89_42
.LBB89_27:                              ;   in Loop: Header=BB89_13 Depth=1
	s_or_b64 exec, exec, s[50:51]
	s_and_saveexec_b64 s[50:51], s[12:13]
	s_cbranch_execnz .LBB89_43
.LBB89_28:                              ;   in Loop: Header=BB89_13 Depth=1
	s_or_b64 exec, exec, s[50:51]
	s_and_saveexec_b64 s[50:51], s[8:9]
	s_cbranch_execz .LBB89_12
	s_branch .LBB89_44
.LBB89_29:                              ;   in Loop: Header=BB89_13 Depth=1
	v_cndmask_b32_e64 v34, v30, v22, s[0:1]
	v_cndmask_b32_e64 v33, v31, v23, s[0:1]
	v_mov_b32_e32 v35, s23
	v_add_co_u32_e32 v34, vcc, s22, v34
	v_addc_co_u32_e32 v35, vcc, v35, v33, vcc
	global_load_dwordx2 v[34:35], v[34:35], off
	v_mov_b32_e32 v33, s58
	v_add_co_u32_e32 v36, vcc, s57, v0
	v_addc_co_u32_e32 v37, vcc, 0, v33, vcc
	v_add_co_u32_e32 v38, vcc, 0, v14
	v_addc_co_u32_e32 v39, vcc, v3, v11, vcc
	v_ashrrev_i64 v[38:39], 29, v[38:39]
	v_mov_b32_e32 v33, s25
	v_add_co_u32_e32 v40, vcc, s24, v38
	v_addc_co_u32_e32 v41, vcc, v33, v39, vcc
	global_store_dwordx2 v[40:41], v[36:37], off
	v_mov_b32_e32 v33, s21
	v_add_co_u32_e32 v36, vcc, s20, v38
	v_addc_co_u32_e32 v37, vcc, v33, v39, vcc
	s_waitcnt vmcnt(1)
	global_store_dwordx2 v[36:37], v[34:35], off
	s_or_b64 exec, exec, s[50:51]
	s_and_saveexec_b64 s[50:51], s[28:29]
	s_cbranch_execz .LBB89_15
.LBB89_30:                              ;   in Loop: Header=BB89_13 Depth=1
	v_mov_b32_e32 v33, s23
	v_add_co_u32_e32 v34, vcc, s22, v22
	v_addc_co_u32_e32 v35, vcc, v33, v23, vcc
	v_add_co_u32_e32 v34, vcc, s56, v34
	v_addc_co_u32_e32 v35, vcc, 0, v35, vcc
	;; [unrolled: 2-line block ×3, first 2 shown]
	v_cndmask_b32_e64 v35, v33, v35, s[0:1]
	v_cndmask_b32_e64 v34, v36, v34, s[0:1]
	global_load_dwordx2 v[34:35], v[34:35], off
	v_mov_b32_e32 v33, s58
	v_add_co_u32_e32 v36, vcc, s57, v2
	v_addc_co_u32_e32 v37, vcc, 0, v33, vcc
	v_add_co_u32_e32 v33, vcc, 0, v14
	v_addc_co_u32_e32 v39, vcc, v3, v11, vcc
	;; [unrolled: 2-line block ×3, first 2 shown]
	v_ashrrev_i64 v[38:39], 29, v[38:39]
	v_mov_b32_e32 v33, s25
	v_add_co_u32_e32 v40, vcc, s24, v38
	v_addc_co_u32_e32 v41, vcc, v33, v39, vcc
	global_store_dwordx2 v[40:41], v[36:37], off
	v_mov_b32_e32 v33, s21
	v_add_co_u32_e32 v36, vcc, s20, v38
	v_addc_co_u32_e32 v37, vcc, v33, v39, vcc
	s_waitcnt vmcnt(1)
	global_store_dwordx2 v[36:37], v[34:35], off
	s_or_b64 exec, exec, s[50:51]
	s_and_saveexec_b64 s[50:51], s[30:31]
	s_cbranch_execz .LBB89_16
.LBB89_31:                              ;   in Loop: Header=BB89_13 Depth=1
	v_mov_b32_e32 v33, s23
	v_add_co_u32_e32 v34, vcc, s22, v22
	v_addc_co_u32_e32 v35, vcc, v33, v23, vcc
	v_add_co_u32_e32 v34, vcc, s55, v34
	v_addc_co_u32_e32 v35, vcc, 0, v35, vcc
	;; [unrolled: 2-line block ×3, first 2 shown]
	v_cndmask_b32_e64 v35, v33, v35, s[0:1]
	v_cndmask_b32_e64 v34, v36, v34, s[0:1]
	global_load_dwordx2 v[34:35], v[34:35], off
	v_mov_b32_e32 v33, s58
	v_add_co_u32_e32 v36, vcc, s57, v4
	v_addc_co_u32_e32 v37, vcc, 0, v33, vcc
	v_add_co_u32_e32 v33, vcc, 0, v14
	v_addc_co_u32_e32 v39, vcc, v3, v11, vcc
	;; [unrolled: 2-line block ×3, first 2 shown]
	v_ashrrev_i64 v[38:39], 29, v[38:39]
	v_mov_b32_e32 v33, s25
	v_add_co_u32_e32 v40, vcc, s24, v38
	v_addc_co_u32_e32 v41, vcc, v33, v39, vcc
	global_store_dwordx2 v[40:41], v[36:37], off
	v_mov_b32_e32 v33, s21
	v_add_co_u32_e32 v36, vcc, s20, v38
	v_addc_co_u32_e32 v37, vcc, v33, v39, vcc
	s_waitcnt vmcnt(1)
	global_store_dwordx2 v[36:37], v[34:35], off
	s_or_b64 exec, exec, s[50:51]
	s_and_saveexec_b64 s[50:51], s[34:35]
	s_cbranch_execz .LBB89_17
.LBB89_32:                              ;   in Loop: Header=BB89_13 Depth=1
	v_mov_b32_e32 v33, s23
	v_add_co_u32_e32 v34, vcc, s22, v22
	v_addc_co_u32_e32 v35, vcc, v33, v23, vcc
	v_add_co_u32_e32 v34, vcc, s19, v34
	v_addc_co_u32_e32 v35, vcc, 0, v35, vcc
	;; [unrolled: 2-line block ×3, first 2 shown]
	v_cndmask_b32_e64 v35, v33, v35, s[0:1]
	v_cndmask_b32_e64 v34, v36, v34, s[0:1]
	global_load_dwordx2 v[34:35], v[34:35], off
	v_mov_b32_e32 v33, s58
	v_add_co_u32_e32 v36, vcc, s57, v6
	v_addc_co_u32_e32 v37, vcc, 0, v33, vcc
	v_add_co_u32_e32 v33, vcc, 0, v14
	v_addc_co_u32_e32 v39, vcc, v3, v11, vcc
	;; [unrolled: 2-line block ×3, first 2 shown]
	v_ashrrev_i64 v[38:39], 29, v[38:39]
	v_mov_b32_e32 v33, s25
	v_add_co_u32_e32 v40, vcc, s24, v38
	v_addc_co_u32_e32 v41, vcc, v33, v39, vcc
	global_store_dwordx2 v[40:41], v[36:37], off
	v_mov_b32_e32 v33, s21
	v_add_co_u32_e32 v36, vcc, s20, v38
	v_addc_co_u32_e32 v37, vcc, v33, v39, vcc
	s_waitcnt vmcnt(1)
	global_store_dwordx2 v[36:37], v[34:35], off
	s_or_b64 exec, exec, s[50:51]
	s_and_saveexec_b64 s[50:51], s[36:37]
	s_cbranch_execz .LBB89_18
.LBB89_33:                              ;   in Loop: Header=BB89_13 Depth=1
	v_mov_b32_e32 v33, s23
	v_add_co_u32_e32 v34, vcc, s22, v20
	v_addc_co_u32_e32 v35, vcc, v33, v21, vcc
	v_add_co_u32_e32 v36, vcc, s22, v30
	v_addc_co_u32_e32 v33, vcc, v33, v31, vcc
	v_add_co_u32_e32 v36, vcc, 0x100, v36
	v_addc_co_u32_e32 v33, vcc, 0, v33, vcc
	v_cndmask_b32_e64 v35, v33, v35, s[0:1]
	v_cndmask_b32_e64 v34, v36, v34, s[0:1]
	global_load_dwordx2 v[34:35], v[34:35], off
	v_mov_b32_e32 v33, s58
	v_add_co_u32_e32 v36, vcc, s57, v0
	v_addc_co_u32_e32 v37, vcc, 0, v33, vcc
	v_add_co_u32_e32 v38, vcc, 0, v12
	v_addc_co_u32_e32 v39, vcc, v3, v9, vcc
	v_ashrrev_i64 v[38:39], 29, v[38:39]
	v_mov_b32_e32 v33, s25
	v_add_co_u32_e32 v40, vcc, s24, v38
	v_addc_co_u32_e32 v41, vcc, v33, v39, vcc
	global_store_dwordx2 v[40:41], v[36:37], off
	v_mov_b32_e32 v33, s21
	v_add_co_u32_e32 v36, vcc, s20, v38
	v_addc_co_u32_e32 v37, vcc, v33, v39, vcc
	s_waitcnt vmcnt(1)
	global_store_dwordx2 v[36:37], v[34:35], off
	s_or_b64 exec, exec, s[50:51]
	s_and_saveexec_b64 s[50:51], s[38:39]
	s_cbranch_execz .LBB89_19
.LBB89_34:                              ;   in Loop: Header=BB89_13 Depth=1
	v_cndmask_b32_e64 v34, v28, v20, s[0:1]
	v_cndmask_b32_e64 v33, v29, v21, s[0:1]
	v_mov_b32_e32 v35, s23
	v_add_co_u32_e32 v34, vcc, s22, v34
	v_addc_co_u32_e32 v35, vcc, v35, v33, vcc
	global_load_dwordx2 v[34:35], v[34:35], off offset:256
	v_mov_b32_e32 v33, s58
	v_add_co_u32_e32 v36, vcc, s57, v2
	v_addc_co_u32_e32 v37, vcc, 0, v33, vcc
	v_add_co_u32_e32 v33, vcc, 0, v12
	v_addc_co_u32_e32 v39, vcc, v3, v9, vcc
	;; [unrolled: 2-line block ×3, first 2 shown]
	v_ashrrev_i64 v[38:39], 29, v[38:39]
	v_mov_b32_e32 v33, s25
	v_add_co_u32_e32 v40, vcc, s24, v38
	v_addc_co_u32_e32 v41, vcc, v33, v39, vcc
	global_store_dwordx2 v[40:41], v[36:37], off
	v_mov_b32_e32 v33, s21
	v_add_co_u32_e32 v36, vcc, s20, v38
	v_addc_co_u32_e32 v37, vcc, v33, v39, vcc
	s_waitcnt vmcnt(1)
	global_store_dwordx2 v[36:37], v[34:35], off
	s_or_b64 exec, exec, s[50:51]
	s_and_saveexec_b64 s[50:51], s[40:41]
	s_cbranch_execz .LBB89_20
.LBB89_35:                              ;   in Loop: Header=BB89_13 Depth=1
	v_mov_b32_e32 v33, s23
	v_add_co_u32_e32 v34, vcc, s22, v20
	v_addc_co_u32_e32 v35, vcc, v33, v21, vcc
	v_add_co_u32_e32 v34, vcc, s55, v34
	v_addc_co_u32_e32 v35, vcc, 0, v35, vcc
	;; [unrolled: 2-line block ×4, first 2 shown]
	v_cndmask_b32_e64 v35, v33, v35, s[0:1]
	v_cndmask_b32_e64 v34, v36, v34, s[0:1]
	global_load_dwordx2 v[34:35], v[34:35], off
	v_mov_b32_e32 v33, s58
	v_add_co_u32_e32 v36, vcc, s57, v4
	v_addc_co_u32_e32 v37, vcc, 0, v33, vcc
	v_add_co_u32_e32 v33, vcc, 0, v12
	v_addc_co_u32_e32 v39, vcc, v3, v9, vcc
	;; [unrolled: 2-line block ×3, first 2 shown]
	v_ashrrev_i64 v[38:39], 29, v[38:39]
	v_mov_b32_e32 v33, s25
	v_add_co_u32_e32 v40, vcc, s24, v38
	v_addc_co_u32_e32 v41, vcc, v33, v39, vcc
	global_store_dwordx2 v[40:41], v[36:37], off
	v_mov_b32_e32 v33, s21
	v_add_co_u32_e32 v36, vcc, s20, v38
	v_addc_co_u32_e32 v37, vcc, v33, v39, vcc
	s_waitcnt vmcnt(1)
	global_store_dwordx2 v[36:37], v[34:35], off
	s_or_b64 exec, exec, s[50:51]
	s_and_saveexec_b64 s[50:51], s[2:3]
	s_cbranch_execz .LBB89_21
.LBB89_36:                              ;   in Loop: Header=BB89_13 Depth=1
	v_mov_b32_e32 v33, s23
	v_add_co_u32_e32 v34, vcc, s22, v20
	v_addc_co_u32_e32 v35, vcc, v33, v21, vcc
	v_add_co_u32_e32 v34, vcc, s19, v34
	v_addc_co_u32_e32 v35, vcc, 0, v35, vcc
	v_add_co_u32_e32 v36, vcc, s22, v24
	v_addc_co_u32_e32 v33, vcc, v33, v25, vcc
	v_add_co_u32_e32 v36, vcc, 0x100, v36
	v_addc_co_u32_e32 v33, vcc, 0, v33, vcc
	v_cndmask_b32_e64 v35, v33, v35, s[0:1]
	v_cndmask_b32_e64 v34, v36, v34, s[0:1]
	global_load_dwordx2 v[34:35], v[34:35], off
	v_mov_b32_e32 v33, s58
	v_add_co_u32_e32 v36, vcc, s57, v6
	v_addc_co_u32_e32 v37, vcc, 0, v33, vcc
	v_add_co_u32_e32 v33, vcc, 0, v12
	v_addc_co_u32_e32 v39, vcc, v3, v9, vcc
	v_add_co_u32_e32 v38, vcc, 0, v33
	v_addc_co_u32_e32 v39, vcc, v39, v13, vcc
	v_ashrrev_i64 v[38:39], 29, v[38:39]
	v_mov_b32_e32 v33, s25
	v_add_co_u32_e32 v40, vcc, s24, v38
	v_addc_co_u32_e32 v41, vcc, v33, v39, vcc
	global_store_dwordx2 v[40:41], v[36:37], off
	v_mov_b32_e32 v33, s21
	v_add_co_u32_e32 v36, vcc, s20, v38
	v_addc_co_u32_e32 v37, vcc, v33, v39, vcc
	s_waitcnt vmcnt(1)
	global_store_dwordx2 v[36:37], v[34:35], off
	s_or_b64 exec, exec, s[50:51]
	s_and_saveexec_b64 s[50:51], s[42:43]
	s_cbranch_execz .LBB89_22
.LBB89_37:                              ;   in Loop: Header=BB89_13 Depth=1
	v_mov_b32_e32 v33, s23
	v_add_co_u32_e32 v34, vcc, s22, v18
	v_addc_co_u32_e32 v35, vcc, v33, v19, vcc
	v_add_co_u32_e32 v36, vcc, s22, v30
	v_addc_co_u32_e32 v33, vcc, v33, v31, vcc
	v_add_co_u32_e32 v36, vcc, 0x200, v36
	v_addc_co_u32_e32 v33, vcc, 0, v33, vcc
	v_cndmask_b32_e64 v35, v33, v35, s[0:1]
	v_cndmask_b32_e64 v34, v36, v34, s[0:1]
	global_load_dwordx2 v[34:35], v[34:35], off
	v_mov_b32_e32 v33, s58
	v_add_co_u32_e32 v36, vcc, s57, v0
	v_addc_co_u32_e32 v37, vcc, 0, v33, vcc
	v_add_co_u32_e32 v38, vcc, 0, v10
	v_addc_co_u32_e32 v39, vcc, v3, v7, vcc
	v_ashrrev_i64 v[38:39], 29, v[38:39]
	v_mov_b32_e32 v33, s25
	v_add_co_u32_e32 v40, vcc, s24, v38
	v_addc_co_u32_e32 v41, vcc, v33, v39, vcc
	global_store_dwordx2 v[40:41], v[36:37], off
	v_mov_b32_e32 v33, s21
	v_add_co_u32_e32 v36, vcc, s20, v38
	v_addc_co_u32_e32 v37, vcc, v33, v39, vcc
	s_waitcnt vmcnt(1)
	global_store_dwordx2 v[36:37], v[34:35], off
	s_or_b64 exec, exec, s[50:51]
	s_and_saveexec_b64 s[50:51], s[44:45]
	s_cbranch_execz .LBB89_23
.LBB89_38:                              ;   in Loop: Header=BB89_13 Depth=1
	v_mov_b32_e32 v33, s23
	v_add_co_u32_e32 v34, vcc, s22, v18
	v_addc_co_u32_e32 v35, vcc, v33, v19, vcc
	v_add_co_u32_e32 v34, vcc, s56, v34
	v_addc_co_u32_e32 v35, vcc, 0, v35, vcc
	;; [unrolled: 2-line block ×4, first 2 shown]
	v_cndmask_b32_e64 v35, v33, v35, s[0:1]
	v_cndmask_b32_e64 v34, v36, v34, s[0:1]
	global_load_dwordx2 v[34:35], v[34:35], off
	v_mov_b32_e32 v33, s58
	v_add_co_u32_e32 v36, vcc, s57, v2
	v_addc_co_u32_e32 v37, vcc, 0, v33, vcc
	v_add_co_u32_e32 v33, vcc, 0, v10
	v_addc_co_u32_e32 v39, vcc, v3, v7, vcc
	;; [unrolled: 2-line block ×3, first 2 shown]
	v_ashrrev_i64 v[38:39], 29, v[38:39]
	v_mov_b32_e32 v33, s25
	v_add_co_u32_e32 v40, vcc, s24, v38
	v_addc_co_u32_e32 v41, vcc, v33, v39, vcc
	global_store_dwordx2 v[40:41], v[36:37], off
	v_mov_b32_e32 v33, s21
	v_add_co_u32_e32 v36, vcc, s20, v38
	v_addc_co_u32_e32 v37, vcc, v33, v39, vcc
	s_waitcnt vmcnt(1)
	global_store_dwordx2 v[36:37], v[34:35], off
	s_or_b64 exec, exec, s[50:51]
	s_and_saveexec_b64 s[50:51], s[46:47]
	s_cbranch_execz .LBB89_24
.LBB89_39:                              ;   in Loop: Header=BB89_13 Depth=1
	v_cndmask_b32_e64 v34, v26, v18, s[0:1]
	v_cndmask_b32_e64 v33, v27, v19, s[0:1]
	v_mov_b32_e32 v35, s23
	v_add_co_u32_e32 v34, vcc, s22, v34
	v_addc_co_u32_e32 v35, vcc, v35, v33, vcc
	global_load_dwordx2 v[34:35], v[34:35], off offset:512
	v_mov_b32_e32 v33, s58
	v_add_co_u32_e32 v36, vcc, s57, v4
	v_addc_co_u32_e32 v37, vcc, 0, v33, vcc
	v_add_co_u32_e32 v33, vcc, 0, v10
	v_addc_co_u32_e32 v39, vcc, v3, v7, vcc
	;; [unrolled: 2-line block ×3, first 2 shown]
	v_ashrrev_i64 v[38:39], 29, v[38:39]
	v_mov_b32_e32 v33, s25
	v_add_co_u32_e32 v40, vcc, s24, v38
	v_addc_co_u32_e32 v41, vcc, v33, v39, vcc
	global_store_dwordx2 v[40:41], v[36:37], off
	v_mov_b32_e32 v33, s21
	v_add_co_u32_e32 v36, vcc, s20, v38
	v_addc_co_u32_e32 v37, vcc, v33, v39, vcc
	s_waitcnt vmcnt(1)
	global_store_dwordx2 v[36:37], v[34:35], off
	s_or_b64 exec, exec, s[50:51]
	s_and_saveexec_b64 s[50:51], s[6:7]
	s_cbranch_execz .LBB89_25
.LBB89_40:                              ;   in Loop: Header=BB89_13 Depth=1
	v_mov_b32_e32 v33, s23
	v_add_co_u32_e32 v34, vcc, s22, v18
	v_addc_co_u32_e32 v35, vcc, v33, v19, vcc
	v_add_co_u32_e32 v34, vcc, s19, v34
	v_addc_co_u32_e32 v35, vcc, 0, v35, vcc
	;; [unrolled: 2-line block ×4, first 2 shown]
	v_cndmask_b32_e64 v35, v33, v35, s[0:1]
	v_cndmask_b32_e64 v34, v36, v34, s[0:1]
	global_load_dwordx2 v[34:35], v[34:35], off
	v_mov_b32_e32 v33, s58
	v_add_co_u32_e32 v36, vcc, s57, v6
	v_addc_co_u32_e32 v37, vcc, 0, v33, vcc
	v_add_co_u32_e32 v33, vcc, 0, v10
	v_addc_co_u32_e32 v39, vcc, v3, v7, vcc
	;; [unrolled: 2-line block ×3, first 2 shown]
	v_ashrrev_i64 v[38:39], 29, v[38:39]
	v_mov_b32_e32 v33, s25
	v_add_co_u32_e32 v40, vcc, s24, v38
	v_addc_co_u32_e32 v41, vcc, v33, v39, vcc
	global_store_dwordx2 v[40:41], v[36:37], off
	v_mov_b32_e32 v33, s21
	v_add_co_u32_e32 v36, vcc, s20, v38
	v_addc_co_u32_e32 v37, vcc, v33, v39, vcc
	s_waitcnt vmcnt(1)
	global_store_dwordx2 v[36:37], v[34:35], off
	s_or_b64 exec, exec, s[50:51]
	s_and_saveexec_b64 s[50:51], s[4:5]
	s_cbranch_execz .LBB89_26
.LBB89_41:                              ;   in Loop: Header=BB89_13 Depth=1
	v_mov_b32_e32 v33, s23
	v_add_co_u32_e32 v34, vcc, s22, v16
	v_addc_co_u32_e32 v35, vcc, v33, v17, vcc
	v_add_co_u32_e32 v36, vcc, s22, v30
	v_addc_co_u32_e32 v33, vcc, v33, v31, vcc
	;; [unrolled: 2-line block ×3, first 2 shown]
	v_cndmask_b32_e64 v35, v33, v35, s[0:1]
	v_cndmask_b32_e64 v34, v36, v34, s[0:1]
	global_load_dwordx2 v[34:35], v[34:35], off
	v_mov_b32_e32 v33, s58
	v_add_co_u32_e32 v36, vcc, s57, v0
	v_addc_co_u32_e32 v37, vcc, 0, v33, vcc
	v_add_co_u32_e32 v33, vcc, 0, v8
	v_addc_co_u32_e32 v39, vcc, v3, v5, vcc
	v_add_co_u32_e32 v38, vcc, 0, v33
	v_addc_co_u32_e32 v39, vcc, v39, v1, vcc
	v_ashrrev_i64 v[38:39], 29, v[38:39]
	v_mov_b32_e32 v33, s25
	v_add_co_u32_e32 v40, vcc, s24, v38
	v_addc_co_u32_e32 v41, vcc, v33, v39, vcc
	global_store_dwordx2 v[40:41], v[36:37], off
	v_mov_b32_e32 v33, s21
	v_add_co_u32_e32 v36, vcc, s20, v38
	v_addc_co_u32_e32 v37, vcc, v33, v39, vcc
	s_waitcnt vmcnt(1)
	global_store_dwordx2 v[36:37], v[34:35], off
	s_or_b64 exec, exec, s[50:51]
	s_and_saveexec_b64 s[50:51], s[10:11]
	s_cbranch_execz .LBB89_27
.LBB89_42:                              ;   in Loop: Header=BB89_13 Depth=1
	v_mov_b32_e32 v33, s23
	v_add_co_u32_e32 v34, vcc, s22, v16
	v_addc_co_u32_e32 v35, vcc, v33, v17, vcc
	v_add_co_u32_e32 v34, vcc, s56, v34
	v_addc_co_u32_e32 v35, vcc, 0, v35, vcc
	;; [unrolled: 2-line block ×4, first 2 shown]
	v_cndmask_b32_e64 v35, v33, v35, s[0:1]
	v_cndmask_b32_e64 v34, v36, v34, s[0:1]
	global_load_dwordx2 v[34:35], v[34:35], off
	v_mov_b32_e32 v33, s58
	v_add_co_u32_e32 v36, vcc, s57, v2
	v_addc_co_u32_e32 v37, vcc, 0, v33, vcc
	v_add_co_u32_e32 v33, vcc, 0, v8
	v_addc_co_u32_e32 v39, vcc, v3, v5, vcc
	;; [unrolled: 2-line block ×3, first 2 shown]
	v_ashrrev_i64 v[38:39], 29, v[38:39]
	v_mov_b32_e32 v33, s25
	v_add_co_u32_e32 v40, vcc, s24, v38
	v_addc_co_u32_e32 v41, vcc, v33, v39, vcc
	global_store_dwordx2 v[40:41], v[36:37], off
	v_mov_b32_e32 v33, s21
	v_add_co_u32_e32 v36, vcc, s20, v38
	v_addc_co_u32_e32 v37, vcc, v33, v39, vcc
	s_waitcnt vmcnt(1)
	global_store_dwordx2 v[36:37], v[34:35], off
	s_or_b64 exec, exec, s[50:51]
	s_and_saveexec_b64 s[50:51], s[12:13]
	s_cbranch_execz .LBB89_28
.LBB89_43:                              ;   in Loop: Header=BB89_13 Depth=1
	v_mov_b32_e32 v33, s23
	v_add_co_u32_e32 v34, vcc, s22, v16
	v_addc_co_u32_e32 v35, vcc, v33, v17, vcc
	v_add_co_u32_e32 v34, vcc, s55, v34
	v_addc_co_u32_e32 v35, vcc, 0, v35, vcc
	;; [unrolled: 2-line block ×4, first 2 shown]
	v_cndmask_b32_e64 v35, v33, v35, s[0:1]
	v_cndmask_b32_e64 v34, v36, v34, s[0:1]
	global_load_dwordx2 v[34:35], v[34:35], off
	v_mov_b32_e32 v33, s58
	v_add_co_u32_e32 v36, vcc, s57, v4
	v_addc_co_u32_e32 v37, vcc, 0, v33, vcc
	v_add_co_u32_e32 v33, vcc, 0, v8
	v_addc_co_u32_e32 v39, vcc, v3, v5, vcc
	;; [unrolled: 2-line block ×3, first 2 shown]
	v_ashrrev_i64 v[38:39], 29, v[38:39]
	v_mov_b32_e32 v33, s25
	v_add_co_u32_e32 v40, vcc, s24, v38
	v_addc_co_u32_e32 v41, vcc, v33, v39, vcc
	global_store_dwordx2 v[40:41], v[36:37], off
	v_mov_b32_e32 v33, s21
	v_add_co_u32_e32 v36, vcc, s20, v38
	v_addc_co_u32_e32 v37, vcc, v33, v39, vcc
	s_waitcnt vmcnt(1)
	global_store_dwordx2 v[36:37], v[34:35], off
	s_or_b64 exec, exec, s[50:51]
	s_and_saveexec_b64 s[50:51], s[8:9]
	s_cbranch_execz .LBB89_12
.LBB89_44:                              ;   in Loop: Header=BB89_13 Depth=1
	v_cndmask_b32_e64 v34, v24, v16, s[0:1]
	v_cndmask_b32_e64 v33, v25, v17, s[0:1]
	v_mov_b32_e32 v35, s23
	v_add_co_u32_e32 v34, vcc, s22, v34
	v_addc_co_u32_e32 v35, vcc, v35, v33, vcc
	global_load_dwordx2 v[34:35], v[34:35], off offset:768
	v_mov_b32_e32 v33, s58
	v_add_co_u32_e32 v36, vcc, s57, v6
	v_addc_co_u32_e32 v37, vcc, 0, v33, vcc
	v_add_co_u32_e32 v38, vcc, 0, v8
	v_addc_co_u32_e32 v39, vcc, v3, v5, vcc
	v_ashrrev_i64 v[38:39], 29, v[38:39]
	v_mov_b32_e32 v33, s25
	v_add_co_u32_e32 v40, vcc, s24, v38
	v_addc_co_u32_e32 v41, vcc, v33, v39, vcc
	global_store_dwordx2 v[40:41], v[36:37], off
	v_mov_b32_e32 v33, s21
	v_add_co_u32_e32 v36, vcc, s20, v38
	v_addc_co_u32_e32 v37, vcc, v33, v39, vcc
	s_waitcnt vmcnt(1)
	global_store_dwordx2 v[36:37], v[34:35], off
	s_branch .LBB89_12
.LBB89_45:
	s_endpgm
	.section	.rodata,"a",@progbits
	.p2align	6, 0x0
	.amdhsa_kernel _ZN9rocsparseL35bsr2csr_block_per_row_33_256_kernelILj1024ELj128ELj32ElilEEv20rocsparse_direction_T4_S2_21rocsparse_index_base_PKT2_PKT3_PKS2_S2_S3_PS4_PS7_PS2_
		.amdhsa_group_segment_fixed_size 0
		.amdhsa_private_segment_fixed_size 0
		.amdhsa_kernarg_size 96
		.amdhsa_user_sgpr_count 6
		.amdhsa_user_sgpr_private_segment_buffer 1
		.amdhsa_user_sgpr_dispatch_ptr 0
		.amdhsa_user_sgpr_queue_ptr 0
		.amdhsa_user_sgpr_kernarg_segment_ptr 1
		.amdhsa_user_sgpr_dispatch_id 0
		.amdhsa_user_sgpr_flat_scratch_init 0
		.amdhsa_user_sgpr_kernarg_preload_length 0
		.amdhsa_user_sgpr_kernarg_preload_offset 0
		.amdhsa_user_sgpr_private_segment_size 0
		.amdhsa_uses_dynamic_stack 0
		.amdhsa_system_sgpr_private_segment_wavefront_offset 0
		.amdhsa_system_sgpr_workgroup_id_x 1
		.amdhsa_system_sgpr_workgroup_id_y 0
		.amdhsa_system_sgpr_workgroup_id_z 0
		.amdhsa_system_sgpr_workgroup_info 0
		.amdhsa_system_vgpr_workitem_id 0
		.amdhsa_next_free_vgpr 42
		.amdhsa_next_free_sgpr 60
		.amdhsa_accum_offset 44
		.amdhsa_reserve_vcc 1
		.amdhsa_reserve_flat_scratch 0
		.amdhsa_float_round_mode_32 0
		.amdhsa_float_round_mode_16_64 0
		.amdhsa_float_denorm_mode_32 3
		.amdhsa_float_denorm_mode_16_64 3
		.amdhsa_dx10_clamp 1
		.amdhsa_ieee_mode 1
		.amdhsa_fp16_overflow 0
		.amdhsa_tg_split 0
		.amdhsa_exception_fp_ieee_invalid_op 0
		.amdhsa_exception_fp_denorm_src 0
		.amdhsa_exception_fp_ieee_div_zero 0
		.amdhsa_exception_fp_ieee_overflow 0
		.amdhsa_exception_fp_ieee_underflow 0
		.amdhsa_exception_fp_ieee_inexact 0
		.amdhsa_exception_int_div_zero 0
	.end_amdhsa_kernel
	.section	.text._ZN9rocsparseL35bsr2csr_block_per_row_33_256_kernelILj1024ELj128ELj32ElilEEv20rocsparse_direction_T4_S2_21rocsparse_index_base_PKT2_PKT3_PKS2_S2_S3_PS4_PS7_PS2_,"axG",@progbits,_ZN9rocsparseL35bsr2csr_block_per_row_33_256_kernelILj1024ELj128ELj32ElilEEv20rocsparse_direction_T4_S2_21rocsparse_index_base_PKT2_PKT3_PKS2_S2_S3_PS4_PS7_PS2_,comdat
.Lfunc_end89:
	.size	_ZN9rocsparseL35bsr2csr_block_per_row_33_256_kernelILj1024ELj128ELj32ElilEEv20rocsparse_direction_T4_S2_21rocsparse_index_base_PKT2_PKT3_PKS2_S2_S3_PS4_PS7_PS2_, .Lfunc_end89-_ZN9rocsparseL35bsr2csr_block_per_row_33_256_kernelILj1024ELj128ELj32ElilEEv20rocsparse_direction_T4_S2_21rocsparse_index_base_PKT2_PKT3_PKS2_S2_S3_PS4_PS7_PS2_
                                        ; -- End function
	.section	.AMDGPU.csdata,"",@progbits
; Kernel info:
; codeLenInByte = 3740
; NumSgprs: 64
; NumVgprs: 42
; NumAgprs: 0
; TotalNumVgprs: 42
; ScratchSize: 0
; MemoryBound: 0
; FloatMode: 240
; IeeeMode: 1
; LDSByteSize: 0 bytes/workgroup (compile time only)
; SGPRBlocks: 7
; VGPRBlocks: 5
; NumSGPRsForWavesPerEU: 64
; NumVGPRsForWavesPerEU: 42
; AccumOffset: 44
; Occupancy: 8
; WaveLimiterHint : 1
; COMPUTE_PGM_RSRC2:SCRATCH_EN: 0
; COMPUTE_PGM_RSRC2:USER_SGPR: 6
; COMPUTE_PGM_RSRC2:TRAP_HANDLER: 0
; COMPUTE_PGM_RSRC2:TGID_X_EN: 1
; COMPUTE_PGM_RSRC2:TGID_Y_EN: 0
; COMPUTE_PGM_RSRC2:TGID_Z_EN: 0
; COMPUTE_PGM_RSRC2:TIDIG_COMP_CNT: 0
; COMPUTE_PGM_RSRC3_GFX90A:ACCUM_OFFSET: 10
; COMPUTE_PGM_RSRC3_GFX90A:TG_SPLIT: 0
	.section	.text._ZN9rocsparseL35bsr2csr_block_per_row_33_256_kernelILj1024ELj256ELj32ElilEEv20rocsparse_direction_T4_S2_21rocsparse_index_base_PKT2_PKT3_PKS2_S2_S3_PS4_PS7_PS2_,"axG",@progbits,_ZN9rocsparseL35bsr2csr_block_per_row_33_256_kernelILj1024ELj256ELj32ElilEEv20rocsparse_direction_T4_S2_21rocsparse_index_base_PKT2_PKT3_PKS2_S2_S3_PS4_PS7_PS2_,comdat
	.globl	_ZN9rocsparseL35bsr2csr_block_per_row_33_256_kernelILj1024ELj256ELj32ElilEEv20rocsparse_direction_T4_S2_21rocsparse_index_base_PKT2_PKT3_PKS2_S2_S3_PS4_PS7_PS2_ ; -- Begin function _ZN9rocsparseL35bsr2csr_block_per_row_33_256_kernelILj1024ELj256ELj32ElilEEv20rocsparse_direction_T4_S2_21rocsparse_index_base_PKT2_PKT3_PKS2_S2_S3_PS4_PS7_PS2_
	.p2align	8
	.type	_ZN9rocsparseL35bsr2csr_block_per_row_33_256_kernelILj1024ELj256ELj32ElilEEv20rocsparse_direction_T4_S2_21rocsparse_index_base_PKT2_PKT3_PKS2_S2_S3_PS4_PS7_PS2_,@function
_ZN9rocsparseL35bsr2csr_block_per_row_33_256_kernelILj1024ELj256ELj32ElilEEv20rocsparse_direction_T4_S2_21rocsparse_index_base_PKT2_PKT3_PKS2_S2_S3_PS4_PS7_PS2_: ; @_ZN9rocsparseL35bsr2csr_block_per_row_33_256_kernelILj1024ELj256ELj32ElilEEv20rocsparse_direction_T4_S2_21rocsparse_index_base_PKT2_PKT3_PKS2_S2_S3_PS4_PS7_PS2_
; %bb.0:
	s_load_dwordx2 s[0:1], s[4:5], 0x28
	s_load_dword s12, s[4:5], 0x40
	s_load_dwordx2 s[2:3], s[4:5], 0x50
	s_mov_b32 s7, 0
	s_lshl_b64 s[8:9], s[6:7], 2
	s_waitcnt lgkmcnt(0)
	s_add_u32 s0, s0, s8
	s_addc_u32 s1, s1, s9
	s_load_dwordx2 s[0:1], s[0:1], 0x0
	v_or_b32_e32 v1, s6, v0
	v_cmp_eq_u32_e32 vcc, 0, v1
	s_and_saveexec_b64 s[8:9], vcc
	s_cbranch_execz .LBB90_2
; %bb.1:
	v_mov_b32_e32 v1, 0
	v_mov_b32_e32 v2, s12
	global_store_dword v1, v2, s[2:3]
.LBB90_2:
	s_or_b64 exec, exec, s[8:9]
	s_load_dword s7, s[4:5], 0x18
	s_load_dwordx2 s[36:37], s[4:5], 0x38
                                        ; implicit-def: $vgpr86 : SGPR spill to VGPR lane
	v_mov_b32_e32 v17, 0
	v_lshrrev_b32_e32 v16, 5, v0
	v_lshlrev_b32_e32 v1, 2, v16
	s_waitcnt lgkmcnt(0)
	s_sub_i32 s38, s0, s7
	v_writelane_b32 v86, s7, 0
	s_sub_i32 s9, s1, s7
	s_mul_i32 s7, s36, s37
	s_mul_hi_u32 s8, s36, s36
	s_add_i32 s8, s8, s7
	s_add_i32 s89, s8, s7
	s_sub_i32 s33, s9, s38
	s_mul_i32 s7, s6, s37
	s_mul_hi_u32 s8, s6, s36
	s_mul_i32 s24, s33, s36
	s_add_i32 s7, s8, s7
	s_mul_i32 s6, s6, s36
	s_add_i32 s23, s24, s12
	s_lshl_b64 s[6:7], s[6:7], 2
	s_mul_i32 s88, s36, s36
	s_add_u32 s2, s2, s6
	s_mul_i32 s22, s88, s38
	v_writelane_b32 v86, s9, 1
	s_addc_u32 s3, s3, s7
	v_cmp_gt_i64_e32 vcc, s[36:37], v[16:17]
	v_writelane_b32 v86, s12, 2
	s_and_saveexec_b64 s[6:7], vcc
	s_cbranch_execz .LBB90_4
; %bb.3:
	v_mul_lo_u32 v2, v16, s24
	s_add_i32 s8, s23, s22
	v_add_u32_e32 v2, s8, v2
	global_store_dword v1, v2, s[2:3] offset:4
.LBB90_4:
	s_or_b64 exec, exec, s[6:7]
	s_add_u32 s18, s2, 4
	v_or_b32_e32 v18, 32, v16
	v_mov_b32_e32 v19, v17
	s_addc_u32 s19, s3, 0
	v_cmp_gt_i64_e64 s[2:3], s[36:37], v[18:19]
	s_and_saveexec_b64 s[6:7], s[2:3]
	s_cbranch_execz .LBB90_6
; %bb.5:
	v_mul_lo_u32 v2, v18, s24
	s_add_i32 s8, s23, s22
	v_add_u32_e32 v2, s8, v2
	global_store_dword v1, v2, s[18:19] offset:128
.LBB90_6:
	s_or_b64 exec, exec, s[6:7]
	v_or_b32_e32 v20, 64, v16
	v_mov_b32_e32 v21, v17
	v_cmp_gt_i64_e64 s[6:7], s[36:37], v[20:21]
	s_and_saveexec_b64 s[8:9], s[6:7]
	s_cbranch_execz .LBB90_8
; %bb.7:
	v_mul_lo_u32 v2, v20, s24
	s_add_i32 s10, s23, s22
	v_add_u32_e32 v2, s10, v2
	global_store_dword v1, v2, s[18:19] offset:256
.LBB90_8:
	s_or_b64 exec, exec, s[8:9]
	v_or_b32_e32 v2, 0x60, v16
	v_mov_b32_e32 v3, v17
	;; [unrolled: 12-line block ×6, first 2 shown]
	v_cmp_gt_i64_e64 s[16:17], s[36:37], v[2:3]
	s_and_saveexec_b64 s[20:21], s[16:17]
	s_cbranch_execz .LBB90_18
; %bb.17:
	v_mul_lo_u32 v2, v2, s24
	s_add_i32 s23, s23, s22
	v_add_u32_e32 v2, s23, v2
	global_store_dword v1, v2, s[18:19] offset:896
.LBB90_18:
	s_or_b64 exec, exec, s[20:21]
	s_cmp_lt_i32 s0, s1
	s_cbranch_scc0 .LBB90_149
; %bb.19:
	s_load_dword s0, s[4:5], 0x0
	v_and_b32_e32 v0, 31, v0
	v_mov_b32_e32 v1, 0
	v_cmp_gt_i64_e64 s[18:19], s[36:37], v[0:1]
	v_or_b32_e32 v2, 32, v0
	s_waitcnt lgkmcnt(0)
	s_cmp_eq_u32 s0, 0
	s_cselect_b64 s[0:1], -1, 0
	v_mov_b32_e32 v3, v1
	s_and_b64 s[44:45], vcc, s[18:19]
	v_cmp_gt_i64_e64 s[20:21], s[36:37], v[2:3]
	v_writelane_b32 v86, s44, 3
	v_or_b32_e32 v4, 64, v0
	v_mov_b32_e32 v5, v1
	v_writelane_b32 v86, s45, 4
	s_and_b64 s[44:45], vcc, s[20:21]
	v_cmp_gt_i64_e64 s[22:23], s[36:37], v[4:5]
	v_writelane_b32 v86, s44, 5
	v_or_b32_e32 v6, 0x60, v0
	v_mov_b32_e32 v7, v1
	v_writelane_b32 v86, s45, 6
	;; [unrolled: 6-line block ×6, first 2 shown]
	s_and_b64 s[44:45], vcc, s[30:31]
	v_cmp_gt_i64_e64 s[34:35], s[36:37], v[14:15]
	v_writelane_b32 v86, s44, 15
	v_writelane_b32 v86, s45, 16
	s_and_b64 s[44:45], vcc, s[34:35]
	v_writelane_b32 v86, s44, 17
	v_writelane_b32 v86, s45, 18
	s_and_b64 s[44:45], s[2:3], s[18:19]
	v_writelane_b32 v86, s44, 19
	v_writelane_b32 v86, s45, 20
	s_and_b64 s[44:45], s[2:3], s[20:21]
	;; [unrolled: 3-line block ×23, first 2 shown]
	s_and_b64 s[8:9], s[8:9], s[34:35]
	s_and_b64 s[50:51], s[10:11], s[18:19]
	;; [unrolled: 1-line block ×33, first 2 shown]
	s_load_dwordx2 s[34:35], s[4:5], 0x30
	s_ashr_i32 s39, s38, 31
	s_lshl_b64 s[44:45], s[38:39], 3
	v_or_b32_e32 v5, 0xe0, v16
	v_or_b32_e32 v7, 0xc0, v16
	;; [unrolled: 1-line block ×5, first 2 shown]
	s_waitcnt lgkmcnt(0)
	s_add_u32 s34, s34, s44
	v_mul_lo_u32 v3, v16, s33
	v_mul_lo_u32 v5, v5, s33
	;; [unrolled: 1-line block ×8, first 2 shown]
	s_mul_hi_u32 s33, s36, s38
	s_mul_i32 s39, s36, s39
	s_addc_u32 s35, s35, s45
	s_add_i32 s33, s33, s39
	s_mul_i32 s39, s37, s38
	s_add_i32 s45, s33, s39
	s_mul_i32 s44, s36, s38
	s_lshl_b64 s[46:47], s[44:45], 3
	v_lshlrev_b32_e32 v62, 3, v16
	v_add_u32_e32 v19, s44, v3
	v_mov_b32_e32 v3, s47
	v_add_co_u32_e32 v21, vcc, s46, v62
	v_addc_co_u32_e32 v23, vcc, 0, v3, vcc
	s_movk_i32 s39, 0x700
	v_add_co_u32_e32 v25, vcc, s39, v21
	v_addc_co_u32_e32 v27, vcc, 0, v23, vcc
	s_movk_i32 s33, 0x600
	v_add_co_u32_e32 v29, vcc, s33, v21
	v_addc_co_u32_e32 v31, vcc, 0, v23, vcc
	s_movk_i32 s92, 0x500
	v_add_co_u32_e32 v36, vcc, s92, v21
	v_addc_co_u32_e32 v37, vcc, 0, v23, vcc
	s_movk_i32 s93, 0x400
	v_add_co_u32_e32 v38, vcc, s93, v21
	v_addc_co_u32_e32 v39, vcc, 0, v23, vcc
	s_movk_i32 s94, 0x300
	v_add_co_u32_e32 v40, vcc, s94, v21
	v_addc_co_u32_e32 v41, vcc, 0, v23, vcc
	s_movk_i32 s95, 0x200
	v_add_co_u32_e32 v42, vcc, s95, v21
	v_add_u32_e32 v5, s44, v5
	v_add_u32_e32 v7, s44, v7
	;; [unrolled: 1-line block ×7, first 2 shown]
	v_addc_co_u32_e32 v43, vcc, 0, v23, vcc
	s_movk_i32 s44, 0x100
	v_add_co_u32_e32 v44, vcc, s44, v21
	v_addc_co_u32_e32 v45, vcc, 0, v23, vcc
	v_lshlrev_b32_e32 v46, 3, v0
	v_add_co_u32_e32 v48, vcc, s46, v46
	v_addc_co_u32_e32 v49, vcc, 0, v3, vcc
	v_add_co_u32_e32 v50, vcc, s44, v48
	v_addc_co_u32_e32 v51, vcc, 0, v49, vcc
	;; [unrolled: 2-line block ×3, first 2 shown]
	v_add_co_u32_e32 v54, vcc, s94, v48
	v_mov_b32_e32 v47, v1
	v_addc_co_u32_e32 v55, vcc, 0, v49, vcc
	v_mov_b32_e32 v16, v1
	v_mov_b32_e32 v18, v1
	;; [unrolled: 1-line block ×9, first 2 shown]
	v_mul_lo_u32 v1, s36, v27
	v_mul_lo_u32 v27, s37, v25
	v_mad_u64_u32 v[32:33], s[46:47], s36, v25, v[46:47]
	v_add_co_u32_e32 v56, vcc, s93, v48
	v_add3_u32 v33, v27, v33, v1
	v_mul_lo_u32 v1, s36, v31
	v_mul_lo_u32 v25, s37, v29
	v_mad_u64_u32 v[34:35], s[46:47], s36, v29, v[46:47]
	v_addc_co_u32_e32 v57, vcc, 0, v49, vcc
	v_add3_u32 v35, v25, v35, v1
	v_mul_lo_u32 v1, s36, v37
	v_mul_lo_u32 v25, s37, v36
	v_mad_u64_u32 v[36:37], s[46:47], s36, v36, v[46:47]
	v_add_co_u32_e32 v58, vcc, s92, v48
	v_add3_u32 v37, v25, v37, v1
	v_mul_lo_u32 v1, s36, v39
	v_mul_lo_u32 v25, s37, v38
	v_mad_u64_u32 v[38:39], s[46:47], s36, v38, v[46:47]
	v_addc_co_u32_e32 v59, vcc, 0, v49, vcc
	v_add3_u32 v39, v25, v39, v1
	;; [unrolled: 10-line block ×4, first 2 shown]
	v_mul_lo_u32 v1, s36, v49
	v_mul_lo_u32 v21, s37, v48
	v_mad_u64_u32 v[48:49], s[46:47], s36, v48, v[62:63]
	v_add3_u32 v49, v21, v49, v1
	v_mul_lo_u32 v1, s36, v51
	v_mul_lo_u32 v21, s37, v50
	v_mad_u64_u32 v[50:51], s[46:47], s36, v50, v[62:63]
	v_add3_u32 v51, v21, v51, v1
	v_mul_lo_u32 v1, s36, v53
	v_mul_lo_u32 v21, s37, v52
	v_mad_u64_u32 v[52:53], s[46:47], s36, v52, v[62:63]
	v_add3_u32 v53, v21, v53, v1
	v_mul_lo_u32 v1, s36, v55
	v_mul_lo_u32 v21, s37, v54
	v_mad_u64_u32 v[54:55], s[46:47], s36, v54, v[62:63]
	s_load_dwordx2 s[40:41], s[4:5], 0x48
	s_load_dwordx2 s[42:43], s[4:5], 0x20
	v_add3_u32 v55, v21, v55, v1
	s_load_dwordx2 s[4:5], s[4:5], 0x58
	v_mul_lo_u32 v1, s36, v57
	v_mul_lo_u32 v21, s37, v56
	v_mad_u64_u32 v[56:57], s[46:47], s36, v56, v[62:63]
	v_add3_u32 v57, v21, v57, v1
	v_mul_lo_u32 v1, s36, v59
	v_mul_lo_u32 v21, s37, v58
	v_mad_u64_u32 v[58:59], s[46:47], s36, v58, v[62:63]
	v_add3_u32 v59, v21, v59, v1
	;; [unrolled: 4-line block ×3, first 2 shown]
	v_mul_lo_u32 v1, s36, v65
	v_mul_lo_u32 v21, s37, v64
	v_mad_u64_u32 v[62:63], s[46:47], s36, v64, v[62:63]
	v_mov_b32_e32 v3, v0
	v_mul_lo_u32 v5, s36, v5
	v_mul_lo_u32 v7, s36, v7
	;; [unrolled: 1-line block ×8, first 2 shown]
	s_lshl_b64 s[88:89], s[88:89], 3
	v_add3_u32 v63, v21, v63, v1
	v_mov_b32_e32 v1, 0x60
	v_mov_b32_e32 v21, 0x80
	;; [unrolled: 1-line block ×5, first 2 shown]
	s_mov_b32 s45, s36
	s_branch .LBB90_21
.LBB90_20:                              ;   in Loop: Header=BB90_21 Depth=1
	s_or_b64 exec, exec, s[90:91]
	v_mov_b32_e32 v29, s45
	v_add_co_u32_e32 v16, vcc, 0, v16
	v_addc_co_u32_e32 v5, vcc, v5, v29, vcc
	v_add_co_u32_e32 v18, vcc, 0, v18
	v_addc_co_u32_e32 v7, vcc, v7, v29, vcc
	;; [unrolled: 2-line block ×5, first 2 shown]
	s_add_i32 s38, s38, 1
	v_add_co_u32_e32 v26, vcc, 0, v26
	v_addc_co_u32_e32 v15, vcc, v15, v29, vcc
	s_add_u32 s34, s34, 8
	v_add_co_u32_e32 v28, vcc, 0, v28
	s_addc_u32 s35, s35, 0
	v_addc_co_u32_e32 v17, vcc, v17, v29, vcc
	s_add_u32 s42, s42, s88
	s_addc_u32 s43, s43, s89
	v_readlane_b32 s46, v86, 1
	v_add_co_u32_e32 v30, vcc, 0, v30
	s_cmp_ge_i32 s38, s46
	v_addc_co_u32_e32 v19, vcc, v19, v29, vcc
	s_cbranch_scc1 .LBB90_149
.LBB90_21:                              ; =>This Inner Loop Header: Depth=1
	s_load_dwordx2 s[46:47], s[34:35], 0x0
	v_readlane_b32 s90, v86, 0
	s_waitcnt lgkmcnt(0)
	s_sub_u32 s46, s46, s90
	s_subb_u32 s47, s47, 0
	s_mul_i32 s90, s46, s37
	s_mul_hi_u32 s91, s46, s36
	s_add_i32 s90, s91, s90
	s_mul_i32 s47, s47, s36
	s_mul_i32 s46, s46, s36
	s_add_i32 s90, s90, s47
	v_readlane_b32 s47, v86, 2
	s_add_u32 s46, s46, s47
	s_addc_u32 s47, s90, 0
	v_mov_b32_e32 v29, s47
	v_add_co_u32_e32 v68, vcc, s46, v0
	v_addc_co_u32_e32 v69, vcc, 0, v29, vcc
	s_mov_b64 s[90:91], exec
	v_readlane_b32 vcc_lo, v86, 3
	v_readlane_b32 vcc_hi, v86, 4
	s_and_b64 vcc, s[90:91], vcc
	s_mov_b64 exec, vcc
	s_cbranch_execz .LBB90_23
; %bb.22:                               ;   in Loop: Header=BB90_21 Depth=1
	v_cndmask_b32_e64 v31, v48, v46, s[0:1]
	v_cndmask_b32_e64 v29, v49, v47, s[0:1]
	v_mov_b32_e32 v65, s43
	v_add_co_u32_e32 v64, vcc, s42, v31
	v_addc_co_u32_e32 v65, vcc, v65, v29, vcc
	global_load_dwordx2 v[64:65], v[64:65], off
	v_add_co_u32_e32 v66, vcc, 0, v30
	v_addc_co_u32_e32 v67, vcc, v3, v19, vcc
	v_ashrrev_i64 v[66:67], 29, v[66:67]
	v_mov_b32_e32 v29, s5
	v_add_co_u32_e32 v70, vcc, s4, v66
	v_addc_co_u32_e32 v71, vcc, v29, v67, vcc
	v_mov_b32_e32 v29, s41
	v_add_co_u32_e32 v66, vcc, s40, v66
	v_addc_co_u32_e32 v67, vcc, v29, v67, vcc
	global_store_dwordx2 v[70:71], v[68:69], off
	s_waitcnt vmcnt(1)
	global_store_dwordx2 v[66:67], v[64:65], off
.LBB90_23:                              ;   in Loop: Header=BB90_21 Depth=1
	s_or_b64 exec, exec, s[90:91]
	v_mov_b32_e32 v29, s47
	v_add_co_u32_e32 v64, vcc, s46, v2
	v_addc_co_u32_e32 v65, vcc, 0, v29, vcc
	s_mov_b64 s[90:91], exec
	v_readlane_b32 vcc_lo, v86, 5
	v_readlane_b32 vcc_hi, v86, 6
	s_and_b64 vcc, s[90:91], vcc
	s_mov_b64 exec, vcc
	s_cbranch_execz .LBB90_25
; %bb.24:                               ;   in Loop: Header=BB90_21 Depth=1
	v_mov_b32_e32 v29, s43
	v_add_co_u32_e32 v31, vcc, s42, v46
	v_addc_co_u32_e32 v66, vcc, v29, v47, vcc
	v_add_co_u32_e32 v31, vcc, s44, v31
	v_addc_co_u32_e32 v66, vcc, 0, v66, vcc
	v_add_co_u32_e32 v70, vcc, s42, v50
	v_addc_co_u32_e32 v29, vcc, v29, v51, vcc
	v_cndmask_b32_e64 v67, v29, v66, s[0:1]
	v_cndmask_b32_e64 v66, v70, v31, s[0:1]
	global_load_dwordx2 v[66:67], v[66:67], off
	v_add_co_u32_e32 v29, vcc, 0, v30
	v_addc_co_u32_e32 v31, vcc, v3, v19, vcc
	v_add_co_u32_e32 v70, vcc, 0, v29
	v_addc_co_u32_e32 v71, vcc, 32, v31, vcc
	v_ashrrev_i64 v[70:71], 29, v[70:71]
	v_mov_b32_e32 v29, s5
	v_add_co_u32_e32 v72, vcc, s4, v70
	v_addc_co_u32_e32 v73, vcc, v29, v71, vcc
	v_mov_b32_e32 v29, s41
	v_add_co_u32_e32 v70, vcc, s40, v70
	v_addc_co_u32_e32 v71, vcc, v29, v71, vcc
	global_store_dwordx2 v[72:73], v[64:65], off
	s_waitcnt vmcnt(1)
	global_store_dwordx2 v[70:71], v[66:67], off
.LBB90_25:                              ;   in Loop: Header=BB90_21 Depth=1
	s_or_b64 exec, exec, s[90:91]
	v_mov_b32_e32 v29, s47
	v_add_co_u32_e32 v66, vcc, s46, v4
	v_addc_co_u32_e32 v67, vcc, 0, v29, vcc
	s_mov_b64 s[90:91], exec
	v_readlane_b32 vcc_lo, v86, 7
	v_readlane_b32 vcc_hi, v86, 8
	s_and_b64 vcc, s[90:91], vcc
	s_mov_b64 exec, vcc
	s_cbranch_execz .LBB90_27
; %bb.26:                               ;   in Loop: Header=BB90_21 Depth=1
	v_mov_b32_e32 v29, s43
	v_add_co_u32_e32 v31, vcc, s42, v46
	v_addc_co_u32_e32 v70, vcc, v29, v47, vcc
	v_add_co_u32_e32 v31, vcc, s95, v31
	v_addc_co_u32_e32 v70, vcc, 0, v70, vcc
	v_add_co_u32_e32 v72, vcc, s42, v52
	v_addc_co_u32_e32 v29, vcc, v29, v53, vcc
	v_cndmask_b32_e64 v71, v29, v70, s[0:1]
	v_cndmask_b32_e64 v70, v72, v31, s[0:1]
	global_load_dwordx2 v[70:71], v[70:71], off
	v_add_co_u32_e32 v29, vcc, 0, v30
	v_addc_co_u32_e32 v31, vcc, v3, v19, vcc
	v_add_co_u32_e32 v72, vcc, 0, v29
	v_addc_co_u32_e32 v73, vcc, 64, v31, vcc
	v_ashrrev_i64 v[72:73], 29, v[72:73]
	v_mov_b32_e32 v29, s5
	v_add_co_u32_e32 v74, vcc, s4, v72
	v_addc_co_u32_e32 v75, vcc, v29, v73, vcc
	v_mov_b32_e32 v29, s41
	v_add_co_u32_e32 v72, vcc, s40, v72
	v_addc_co_u32_e32 v73, vcc, v29, v73, vcc
	global_store_dwordx2 v[74:75], v[66:67], off
	s_waitcnt vmcnt(1)
	global_store_dwordx2 v[72:73], v[70:71], off
.LBB90_27:                              ;   in Loop: Header=BB90_21 Depth=1
	;; [unrolled: 36-line block ×6, first 2 shown]
	s_or_b64 exec, exec, s[90:91]
	v_mov_b32_e32 v29, s47
	v_add_co_u32_e32 v78, vcc, s46, v14
	v_addc_co_u32_e32 v79, vcc, 0, v29, vcc
	s_mov_b64 s[90:91], exec
	v_readlane_b32 s46, v86, 17
	v_readlane_b32 s47, v86, 18
	s_and_b64 s[46:47], s[90:91], s[46:47]
	s_mov_b64 exec, s[46:47]
	s_cbranch_execz .LBB90_37
; %bb.36:                               ;   in Loop: Header=BB90_21 Depth=1
	v_mov_b32_e32 v29, s43
	v_add_co_u32_e32 v31, vcc, s42, v46
	v_addc_co_u32_e32 v80, vcc, v29, v47, vcc
	v_add_co_u32_e32 v31, vcc, s39, v31
	v_addc_co_u32_e32 v80, vcc, 0, v80, vcc
	;; [unrolled: 2-line block ×3, first 2 shown]
	v_cndmask_b32_e64 v81, v29, v80, s[0:1]
	v_cndmask_b32_e64 v80, v82, v31, s[0:1]
	global_load_dwordx2 v[80:81], v[80:81], off
	v_add_co_u32_e32 v29, vcc, 0, v30
	v_addc_co_u32_e32 v31, vcc, v3, v19, vcc
	v_add_co_u32_e32 v82, vcc, 0, v29
	v_addc_co_u32_e32 v83, vcc, v31, v27, vcc
	v_ashrrev_i64 v[82:83], 29, v[82:83]
	v_mov_b32_e32 v29, s5
	v_add_co_u32_e32 v84, vcc, s4, v82
	v_addc_co_u32_e32 v85, vcc, v29, v83, vcc
	v_mov_b32_e32 v29, s41
	v_add_co_u32_e32 v82, vcc, s40, v82
	v_addc_co_u32_e32 v83, vcc, v29, v83, vcc
	global_store_dwordx2 v[84:85], v[78:79], off
	s_waitcnt vmcnt(1)
	global_store_dwordx2 v[82:83], v[80:81], off
.LBB90_37:                              ;   in Loop: Header=BB90_21 Depth=1
	s_or_b64 exec, exec, s[90:91]
	s_mov_b64 s[90:91], exec
	v_readlane_b32 s46, v86, 19
	v_readlane_b32 s47, v86, 20
	s_and_b64 s[46:47], s[90:91], s[46:47]
	s_mov_b64 exec, s[46:47]
	s_cbranch_execz .LBB90_39
; %bb.38:                               ;   in Loop: Header=BB90_21 Depth=1
	v_mov_b32_e32 v29, s43
	v_add_co_u32_e32 v31, vcc, s42, v44
	v_addc_co_u32_e32 v80, vcc, v29, v45, vcc
	v_add_co_u32_e32 v81, vcc, s42, v48
	v_addc_co_u32_e32 v29, vcc, v29, v49, vcc
	;; [unrolled: 2-line block ×3, first 2 shown]
	v_cndmask_b32_e64 v81, v29, v80, s[0:1]
	v_cndmask_b32_e64 v80, v82, v31, s[0:1]
	global_load_dwordx2 v[80:81], v[80:81], off
	v_add_co_u32_e32 v82, vcc, 0, v28
	v_addc_co_u32_e32 v83, vcc, v3, v17, vcc
	v_ashrrev_i64 v[82:83], 29, v[82:83]
	v_mov_b32_e32 v29, s5
	v_add_co_u32_e32 v84, vcc, s4, v82
	v_addc_co_u32_e32 v85, vcc, v29, v83, vcc
	v_mov_b32_e32 v29, s41
	v_add_co_u32_e32 v82, vcc, s40, v82
	v_addc_co_u32_e32 v83, vcc, v29, v83, vcc
	global_store_dwordx2 v[84:85], v[68:69], off
	s_waitcnt vmcnt(1)
	global_store_dwordx2 v[82:83], v[80:81], off
.LBB90_39:                              ;   in Loop: Header=BB90_21 Depth=1
	s_or_b64 exec, exec, s[90:91]
	s_mov_b64 s[90:91], exec
	v_readlane_b32 s46, v86, 21
	v_readlane_b32 s47, v86, 22
	s_and_b64 s[46:47], s[90:91], s[46:47]
	s_mov_b64 exec, s[46:47]
	s_cbranch_execz .LBB90_41
; %bb.40:                               ;   in Loop: Header=BB90_21 Depth=1
	v_cndmask_b32_e64 v31, v50, v44, s[0:1]
	v_cndmask_b32_e64 v29, v51, v45, s[0:1]
	v_mov_b32_e32 v81, s43
	v_add_co_u32_e32 v80, vcc, s42, v31
	v_addc_co_u32_e32 v81, vcc, v81, v29, vcc
	global_load_dwordx2 v[80:81], v[80:81], off offset:256
	v_add_co_u32_e32 v29, vcc, 0, v28
	v_addc_co_u32_e32 v31, vcc, v3, v17, vcc
	v_add_co_u32_e32 v82, vcc, 0, v29
	v_addc_co_u32_e32 v83, vcc, 32, v31, vcc
	v_ashrrev_i64 v[82:83], 29, v[82:83]
	v_mov_b32_e32 v29, s5
	v_add_co_u32_e32 v84, vcc, s4, v82
	v_addc_co_u32_e32 v85, vcc, v29, v83, vcc
	v_mov_b32_e32 v29, s41
	v_add_co_u32_e32 v82, vcc, s40, v82
	v_addc_co_u32_e32 v83, vcc, v29, v83, vcc
	global_store_dwordx2 v[84:85], v[64:65], off
	s_waitcnt vmcnt(1)
	global_store_dwordx2 v[82:83], v[80:81], off
.LBB90_41:                              ;   in Loop: Header=BB90_21 Depth=1
	s_or_b64 exec, exec, s[90:91]
	s_mov_b64 s[90:91], exec
	v_readlane_b32 s46, v86, 23
	v_readlane_b32 s47, v86, 24
	s_and_b64 s[46:47], s[90:91], s[46:47]
	s_mov_b64 exec, s[46:47]
	s_cbranch_execz .LBB90_43
; %bb.42:                               ;   in Loop: Header=BB90_21 Depth=1
	v_mov_b32_e32 v29, s43
	v_add_co_u32_e32 v31, vcc, s42, v44
	v_addc_co_u32_e32 v80, vcc, v29, v45, vcc
	v_add_co_u32_e32 v31, vcc, s95, v31
	v_addc_co_u32_e32 v80, vcc, 0, v80, vcc
	v_add_co_u32_e32 v81, vcc, s42, v52
	v_addc_co_u32_e32 v29, vcc, v29, v53, vcc
	v_add_co_u32_e32 v82, vcc, 0x100, v81
	v_addc_co_u32_e32 v29, vcc, 0, v29, vcc
	v_cndmask_b32_e64 v81, v29, v80, s[0:1]
	v_cndmask_b32_e64 v80, v82, v31, s[0:1]
	global_load_dwordx2 v[80:81], v[80:81], off
	v_add_co_u32_e32 v29, vcc, 0, v28
	v_addc_co_u32_e32 v31, vcc, v3, v17, vcc
	v_add_co_u32_e32 v82, vcc, 0, v29
	v_addc_co_u32_e32 v83, vcc, 64, v31, vcc
	v_ashrrev_i64 v[82:83], 29, v[82:83]
	v_mov_b32_e32 v29, s5
	v_add_co_u32_e32 v84, vcc, s4, v82
	v_addc_co_u32_e32 v85, vcc, v29, v83, vcc
	v_mov_b32_e32 v29, s41
	v_add_co_u32_e32 v82, vcc, s40, v82
	v_addc_co_u32_e32 v83, vcc, v29, v83, vcc
	global_store_dwordx2 v[84:85], v[66:67], off
	s_waitcnt vmcnt(1)
	global_store_dwordx2 v[82:83], v[80:81], off
.LBB90_43:                              ;   in Loop: Header=BB90_21 Depth=1
	s_or_b64 exec, exec, s[90:91]
	s_mov_b64 s[90:91], exec
	v_readlane_b32 s46, v86, 25
	v_readlane_b32 s47, v86, 26
	s_and_b64 s[46:47], s[90:91], s[46:47]
	s_mov_b64 exec, s[46:47]
	s_cbranch_execz .LBB90_45
; %bb.44:                               ;   in Loop: Header=BB90_21 Depth=1
	v_mov_b32_e32 v29, s43
	v_add_co_u32_e32 v31, vcc, s42, v44
	v_addc_co_u32_e32 v80, vcc, v29, v45, vcc
	v_add_co_u32_e32 v31, vcc, s94, v31
	v_addc_co_u32_e32 v80, vcc, 0, v80, vcc
	v_add_co_u32_e32 v81, vcc, s42, v54
	v_addc_co_u32_e32 v29, vcc, v29, v55, vcc
	v_add_co_u32_e32 v82, vcc, 0x100, v81
	v_addc_co_u32_e32 v29, vcc, 0, v29, vcc
	v_cndmask_b32_e64 v81, v29, v80, s[0:1]
	v_cndmask_b32_e64 v80, v82, v31, s[0:1]
	global_load_dwordx2 v[80:81], v[80:81], off
	v_add_co_u32_e32 v29, vcc, 0, v28
	v_addc_co_u32_e32 v31, vcc, v3, v17, vcc
	v_add_co_u32_e32 v82, vcc, 0, v29
	v_addc_co_u32_e32 v83, vcc, v31, v1, vcc
	v_ashrrev_i64 v[82:83], 29, v[82:83]
	v_mov_b32_e32 v29, s5
	v_add_co_u32_e32 v84, vcc, s4, v82
	v_addc_co_u32_e32 v85, vcc, v29, v83, vcc
	v_mov_b32_e32 v29, s41
	v_add_co_u32_e32 v82, vcc, s40, v82
	v_addc_co_u32_e32 v83, vcc, v29, v83, vcc
	global_store_dwordx2 v[84:85], v[70:71], off
	s_waitcnt vmcnt(1)
	global_store_dwordx2 v[82:83], v[80:81], off
.LBB90_45:                              ;   in Loop: Header=BB90_21 Depth=1
	;; [unrolled: 35-line block ×6, first 2 shown]
	s_or_b64 exec, exec, s[90:91]
	s_mov_b64 s[90:91], exec
	v_readlane_b32 s46, v86, 35
	v_readlane_b32 s47, v86, 36
	s_and_b64 s[46:47], s[90:91], s[46:47]
	s_mov_b64 exec, s[46:47]
	s_cbranch_execz .LBB90_55
; %bb.54:                               ;   in Loop: Header=BB90_21 Depth=1
	v_mov_b32_e32 v29, s43
	v_add_co_u32_e32 v31, vcc, s42, v42
	v_addc_co_u32_e32 v80, vcc, v29, v43, vcc
	v_add_co_u32_e32 v81, vcc, s42, v48
	v_addc_co_u32_e32 v29, vcc, v29, v49, vcc
	;; [unrolled: 2-line block ×3, first 2 shown]
	v_cndmask_b32_e64 v81, v29, v80, s[0:1]
	v_cndmask_b32_e64 v80, v82, v31, s[0:1]
	global_load_dwordx2 v[80:81], v[80:81], off
	v_add_co_u32_e32 v82, vcc, 0, v26
	v_addc_co_u32_e32 v83, vcc, v3, v15, vcc
	v_ashrrev_i64 v[82:83], 29, v[82:83]
	v_mov_b32_e32 v29, s5
	v_add_co_u32_e32 v84, vcc, s4, v82
	v_addc_co_u32_e32 v85, vcc, v29, v83, vcc
	v_mov_b32_e32 v29, s41
	v_add_co_u32_e32 v82, vcc, s40, v82
	v_addc_co_u32_e32 v83, vcc, v29, v83, vcc
	global_store_dwordx2 v[84:85], v[68:69], off
	s_waitcnt vmcnt(1)
	global_store_dwordx2 v[82:83], v[80:81], off
.LBB90_55:                              ;   in Loop: Header=BB90_21 Depth=1
	s_or_b64 exec, exec, s[90:91]
	s_mov_b64 s[90:91], exec
	v_readlane_b32 s46, v86, 37
	v_readlane_b32 s47, v86, 38
	s_and_b64 s[46:47], s[90:91], s[46:47]
	s_mov_b64 exec, s[46:47]
	s_cbranch_execz .LBB90_57
; %bb.56:                               ;   in Loop: Header=BB90_21 Depth=1
	v_mov_b32_e32 v29, s43
	v_add_co_u32_e32 v31, vcc, s42, v42
	v_addc_co_u32_e32 v80, vcc, v29, v43, vcc
	v_add_co_u32_e32 v31, vcc, s44, v31
	v_addc_co_u32_e32 v80, vcc, 0, v80, vcc
	;; [unrolled: 2-line block ×4, first 2 shown]
	v_cndmask_b32_e64 v81, v29, v80, s[0:1]
	v_cndmask_b32_e64 v80, v82, v31, s[0:1]
	global_load_dwordx2 v[80:81], v[80:81], off
	v_add_co_u32_e32 v29, vcc, 0, v26
	v_addc_co_u32_e32 v31, vcc, v3, v15, vcc
	v_add_co_u32_e32 v82, vcc, 0, v29
	v_addc_co_u32_e32 v83, vcc, 32, v31, vcc
	v_ashrrev_i64 v[82:83], 29, v[82:83]
	v_mov_b32_e32 v29, s5
	v_add_co_u32_e32 v84, vcc, s4, v82
	v_addc_co_u32_e32 v85, vcc, v29, v83, vcc
	v_mov_b32_e32 v29, s41
	v_add_co_u32_e32 v82, vcc, s40, v82
	v_addc_co_u32_e32 v83, vcc, v29, v83, vcc
	global_store_dwordx2 v[84:85], v[64:65], off
	s_waitcnt vmcnt(1)
	global_store_dwordx2 v[82:83], v[80:81], off
.LBB90_57:                              ;   in Loop: Header=BB90_21 Depth=1
	s_or_b64 exec, exec, s[90:91]
	s_mov_b64 s[90:91], exec
	v_readlane_b32 s46, v86, 39
	v_readlane_b32 s47, v86, 40
	s_and_b64 s[46:47], s[90:91], s[46:47]
	s_mov_b64 exec, s[46:47]
	s_cbranch_execz .LBB90_59
; %bb.58:                               ;   in Loop: Header=BB90_21 Depth=1
	v_cndmask_b32_e64 v31, v52, v42, s[0:1]
	v_cndmask_b32_e64 v29, v53, v43, s[0:1]
	v_mov_b32_e32 v81, s43
	v_add_co_u32_e32 v80, vcc, s42, v31
	v_addc_co_u32_e32 v81, vcc, v81, v29, vcc
	global_load_dwordx2 v[80:81], v[80:81], off offset:512
	v_add_co_u32_e32 v29, vcc, 0, v26
	v_addc_co_u32_e32 v31, vcc, v3, v15, vcc
	v_add_co_u32_e32 v82, vcc, 0, v29
	v_addc_co_u32_e32 v83, vcc, 64, v31, vcc
	v_ashrrev_i64 v[82:83], 29, v[82:83]
	v_mov_b32_e32 v29, s5
	v_add_co_u32_e32 v84, vcc, s4, v82
	v_addc_co_u32_e32 v85, vcc, v29, v83, vcc
	v_mov_b32_e32 v29, s41
	v_add_co_u32_e32 v82, vcc, s40, v82
	v_addc_co_u32_e32 v83, vcc, v29, v83, vcc
	global_store_dwordx2 v[84:85], v[66:67], off
	s_waitcnt vmcnt(1)
	global_store_dwordx2 v[82:83], v[80:81], off
.LBB90_59:                              ;   in Loop: Header=BB90_21 Depth=1
	s_or_b64 exec, exec, s[90:91]
	s_mov_b64 s[90:91], exec
	v_readlane_b32 s46, v86, 41
	v_readlane_b32 s47, v86, 42
	s_and_b64 s[46:47], s[90:91], s[46:47]
	s_mov_b64 exec, s[46:47]
	s_cbranch_execz .LBB90_61
; %bb.60:                               ;   in Loop: Header=BB90_21 Depth=1
	v_mov_b32_e32 v29, s43
	v_add_co_u32_e32 v31, vcc, s42, v42
	v_addc_co_u32_e32 v80, vcc, v29, v43, vcc
	v_add_co_u32_e32 v31, vcc, s94, v31
	v_addc_co_u32_e32 v80, vcc, 0, v80, vcc
	v_add_co_u32_e32 v81, vcc, s42, v54
	v_addc_co_u32_e32 v29, vcc, v29, v55, vcc
	v_add_co_u32_e32 v82, vcc, 0x200, v81
	v_addc_co_u32_e32 v29, vcc, 0, v29, vcc
	v_cndmask_b32_e64 v81, v29, v80, s[0:1]
	v_cndmask_b32_e64 v80, v82, v31, s[0:1]
	global_load_dwordx2 v[80:81], v[80:81], off
	v_add_co_u32_e32 v29, vcc, 0, v26
	v_addc_co_u32_e32 v31, vcc, v3, v15, vcc
	v_add_co_u32_e32 v82, vcc, 0, v29
	v_addc_co_u32_e32 v83, vcc, v31, v1, vcc
	v_ashrrev_i64 v[82:83], 29, v[82:83]
	v_mov_b32_e32 v29, s5
	v_add_co_u32_e32 v84, vcc, s4, v82
	v_addc_co_u32_e32 v85, vcc, v29, v83, vcc
	v_mov_b32_e32 v29, s41
	v_add_co_u32_e32 v82, vcc, s40, v82
	v_addc_co_u32_e32 v83, vcc, v29, v83, vcc
	global_store_dwordx2 v[84:85], v[70:71], off
	s_waitcnt vmcnt(1)
	global_store_dwordx2 v[82:83], v[80:81], off
.LBB90_61:                              ;   in Loop: Header=BB90_21 Depth=1
	s_or_b64 exec, exec, s[90:91]
	s_mov_b64 s[90:91], exec
	v_readlane_b32 s46, v86, 43
	v_readlane_b32 s47, v86, 44
	s_and_b64 s[46:47], s[90:91], s[46:47]
	s_mov_b64 exec, s[46:47]
	s_cbranch_execz .LBB90_63
; %bb.62:                               ;   in Loop: Header=BB90_21 Depth=1
	v_mov_b32_e32 v29, s43
	v_add_co_u32_e32 v31, vcc, s42, v42
	v_addc_co_u32_e32 v80, vcc, v29, v43, vcc
	v_add_co_u32_e32 v31, vcc, s93, v31
	v_addc_co_u32_e32 v80, vcc, 0, v80, vcc
	v_add_co_u32_e32 v81, vcc, s42, v56
	v_addc_co_u32_e32 v29, vcc, v29, v57, vcc
	v_add_co_u32_e32 v82, vcc, 0x200, v81
	v_addc_co_u32_e32 v29, vcc, 0, v29, vcc
	v_cndmask_b32_e64 v81, v29, v80, s[0:1]
	v_cndmask_b32_e64 v80, v82, v31, s[0:1]
	global_load_dwordx2 v[80:81], v[80:81], off
	v_add_co_u32_e32 v29, vcc, 0, v26
	v_addc_co_u32_e32 v31, vcc, v3, v15, vcc
	v_add_co_u32_e32 v82, vcc, 0, v29
	v_addc_co_u32_e32 v83, vcc, v31, v21, vcc
	v_ashrrev_i64 v[82:83], 29, v[82:83]
	v_mov_b32_e32 v29, s5
	v_add_co_u32_e32 v84, vcc, s4, v82
	v_addc_co_u32_e32 v85, vcc, v29, v83, vcc
	v_mov_b32_e32 v29, s41
	v_add_co_u32_e32 v82, vcc, s40, v82
	v_addc_co_u32_e32 v83, vcc, v29, v83, vcc
	global_store_dwordx2 v[84:85], v[72:73], off
	s_waitcnt vmcnt(1)
	global_store_dwordx2 v[82:83], v[80:81], off
.LBB90_63:                              ;   in Loop: Header=BB90_21 Depth=1
	;; [unrolled: 35-line block ×5, first 2 shown]
	s_or_b64 exec, exec, s[90:91]
	s_mov_b64 s[90:91], exec
	v_readlane_b32 s46, v86, 51
	v_readlane_b32 s47, v86, 52
	s_and_b64 s[46:47], s[90:91], s[46:47]
	s_mov_b64 exec, s[46:47]
	s_cbranch_execz .LBB90_71
; %bb.70:                               ;   in Loop: Header=BB90_21 Depth=1
	v_mov_b32_e32 v29, s43
	v_add_co_u32_e32 v31, vcc, s42, v40
	v_addc_co_u32_e32 v80, vcc, v29, v41, vcc
	v_add_co_u32_e32 v81, vcc, s42, v48
	v_addc_co_u32_e32 v29, vcc, v29, v49, vcc
	;; [unrolled: 2-line block ×3, first 2 shown]
	v_cndmask_b32_e64 v81, v29, v80, s[0:1]
	v_cndmask_b32_e64 v80, v82, v31, s[0:1]
	global_load_dwordx2 v[80:81], v[80:81], off
	v_add_co_u32_e32 v82, vcc, 0, v24
	v_addc_co_u32_e32 v83, vcc, v3, v13, vcc
	v_ashrrev_i64 v[82:83], 29, v[82:83]
	v_mov_b32_e32 v29, s5
	v_add_co_u32_e32 v84, vcc, s4, v82
	v_addc_co_u32_e32 v85, vcc, v29, v83, vcc
	v_mov_b32_e32 v29, s41
	v_add_co_u32_e32 v82, vcc, s40, v82
	v_addc_co_u32_e32 v83, vcc, v29, v83, vcc
	global_store_dwordx2 v[84:85], v[68:69], off
	s_waitcnt vmcnt(1)
	global_store_dwordx2 v[82:83], v[80:81], off
.LBB90_71:                              ;   in Loop: Header=BB90_21 Depth=1
	s_or_b64 exec, exec, s[90:91]
	s_mov_b64 s[90:91], exec
	v_readlane_b32 s46, v86, 53
	v_readlane_b32 s47, v86, 54
	s_and_b64 s[46:47], s[90:91], s[46:47]
	s_mov_b64 exec, s[46:47]
	s_cbranch_execz .LBB90_73
; %bb.72:                               ;   in Loop: Header=BB90_21 Depth=1
	v_mov_b32_e32 v29, s43
	v_add_co_u32_e32 v31, vcc, s42, v40
	v_addc_co_u32_e32 v80, vcc, v29, v41, vcc
	v_add_co_u32_e32 v31, vcc, s44, v31
	v_addc_co_u32_e32 v80, vcc, 0, v80, vcc
	v_add_co_u32_e32 v81, vcc, s42, v50
	v_addc_co_u32_e32 v29, vcc, v29, v51, vcc
	v_add_co_u32_e32 v82, vcc, 0x300, v81
	v_addc_co_u32_e32 v29, vcc, 0, v29, vcc
	v_cndmask_b32_e64 v81, v29, v80, s[0:1]
	v_cndmask_b32_e64 v80, v82, v31, s[0:1]
	global_load_dwordx2 v[80:81], v[80:81], off
	v_add_co_u32_e32 v29, vcc, 0, v24
	v_addc_co_u32_e32 v31, vcc, v3, v13, vcc
	v_add_co_u32_e32 v82, vcc, 0, v29
	v_addc_co_u32_e32 v83, vcc, 32, v31, vcc
	v_ashrrev_i64 v[82:83], 29, v[82:83]
	v_mov_b32_e32 v29, s5
	v_add_co_u32_e32 v84, vcc, s4, v82
	v_addc_co_u32_e32 v85, vcc, v29, v83, vcc
	v_mov_b32_e32 v29, s41
	v_add_co_u32_e32 v82, vcc, s40, v82
	v_addc_co_u32_e32 v83, vcc, v29, v83, vcc
	global_store_dwordx2 v[84:85], v[64:65], off
	s_waitcnt vmcnt(1)
	global_store_dwordx2 v[82:83], v[80:81], off
.LBB90_73:                              ;   in Loop: Header=BB90_21 Depth=1
	s_or_b64 exec, exec, s[90:91]
	s_mov_b64 s[90:91], exec
	v_readlane_b32 s46, v86, 55
	v_readlane_b32 s47, v86, 56
	s_and_b64 s[46:47], s[90:91], s[46:47]
	s_mov_b64 exec, s[46:47]
	s_cbranch_execz .LBB90_75
; %bb.74:                               ;   in Loop: Header=BB90_21 Depth=1
	v_mov_b32_e32 v29, s43
	v_add_co_u32_e32 v31, vcc, s42, v40
	v_addc_co_u32_e32 v80, vcc, v29, v41, vcc
	v_add_co_u32_e32 v31, vcc, s95, v31
	v_addc_co_u32_e32 v80, vcc, 0, v80, vcc
	;; [unrolled: 2-line block ×4, first 2 shown]
	v_cndmask_b32_e64 v81, v29, v80, s[0:1]
	v_cndmask_b32_e64 v80, v82, v31, s[0:1]
	global_load_dwordx2 v[80:81], v[80:81], off
	v_add_co_u32_e32 v29, vcc, 0, v24
	v_addc_co_u32_e32 v31, vcc, v3, v13, vcc
	v_add_co_u32_e32 v82, vcc, 0, v29
	v_addc_co_u32_e32 v83, vcc, 64, v31, vcc
	v_ashrrev_i64 v[82:83], 29, v[82:83]
	v_mov_b32_e32 v29, s5
	v_add_co_u32_e32 v84, vcc, s4, v82
	v_addc_co_u32_e32 v85, vcc, v29, v83, vcc
	v_mov_b32_e32 v29, s41
	v_add_co_u32_e32 v82, vcc, s40, v82
	v_addc_co_u32_e32 v83, vcc, v29, v83, vcc
	global_store_dwordx2 v[84:85], v[66:67], off
	s_waitcnt vmcnt(1)
	global_store_dwordx2 v[82:83], v[80:81], off
.LBB90_75:                              ;   in Loop: Header=BB90_21 Depth=1
	s_or_b64 exec, exec, s[90:91]
	s_mov_b64 s[90:91], exec
	v_readlane_b32 s46, v86, 57
	v_readlane_b32 s47, v86, 58
	s_and_b64 s[46:47], s[90:91], s[46:47]
	s_mov_b64 exec, s[46:47]
	s_cbranch_execz .LBB90_77
; %bb.76:                               ;   in Loop: Header=BB90_21 Depth=1
	v_cndmask_b32_e64 v31, v54, v40, s[0:1]
	v_cndmask_b32_e64 v29, v55, v41, s[0:1]
	v_mov_b32_e32 v81, s43
	v_add_co_u32_e32 v80, vcc, s42, v31
	v_addc_co_u32_e32 v81, vcc, v81, v29, vcc
	global_load_dwordx2 v[80:81], v[80:81], off offset:768
	v_add_co_u32_e32 v29, vcc, 0, v24
	v_addc_co_u32_e32 v31, vcc, v3, v13, vcc
	v_add_co_u32_e32 v82, vcc, 0, v29
	v_addc_co_u32_e32 v83, vcc, v31, v1, vcc
	v_ashrrev_i64 v[82:83], 29, v[82:83]
	v_mov_b32_e32 v29, s5
	v_add_co_u32_e32 v84, vcc, s4, v82
	v_addc_co_u32_e32 v85, vcc, v29, v83, vcc
	v_mov_b32_e32 v29, s41
	v_add_co_u32_e32 v82, vcc, s40, v82
	v_addc_co_u32_e32 v83, vcc, v29, v83, vcc
	global_store_dwordx2 v[84:85], v[70:71], off
	s_waitcnt vmcnt(1)
	global_store_dwordx2 v[82:83], v[80:81], off
.LBB90_77:                              ;   in Loop: Header=BB90_21 Depth=1
	s_or_b64 exec, exec, s[90:91]
	s_mov_b64 s[90:91], exec
	v_readlane_b32 s46, v86, 59
	v_readlane_b32 s47, v86, 60
	s_and_b64 s[46:47], s[90:91], s[46:47]
	s_mov_b64 exec, s[46:47]
	s_cbranch_execz .LBB90_79
; %bb.78:                               ;   in Loop: Header=BB90_21 Depth=1
	v_mov_b32_e32 v29, s43
	v_add_co_u32_e32 v31, vcc, s42, v40
	v_addc_co_u32_e32 v80, vcc, v29, v41, vcc
	v_add_co_u32_e32 v31, vcc, s93, v31
	v_addc_co_u32_e32 v80, vcc, 0, v80, vcc
	;; [unrolled: 2-line block ×4, first 2 shown]
	v_cndmask_b32_e64 v81, v29, v80, s[0:1]
	v_cndmask_b32_e64 v80, v82, v31, s[0:1]
	global_load_dwordx2 v[80:81], v[80:81], off
	v_add_co_u32_e32 v29, vcc, 0, v24
	v_addc_co_u32_e32 v31, vcc, v3, v13, vcc
	v_add_co_u32_e32 v82, vcc, 0, v29
	v_addc_co_u32_e32 v83, vcc, v31, v21, vcc
	v_ashrrev_i64 v[82:83], 29, v[82:83]
	v_mov_b32_e32 v29, s5
	v_add_co_u32_e32 v84, vcc, s4, v82
	v_addc_co_u32_e32 v85, vcc, v29, v83, vcc
	v_mov_b32_e32 v29, s41
	v_add_co_u32_e32 v82, vcc, s40, v82
	v_addc_co_u32_e32 v83, vcc, v29, v83, vcc
	global_store_dwordx2 v[84:85], v[72:73], off
	s_waitcnt vmcnt(1)
	global_store_dwordx2 v[82:83], v[80:81], off
.LBB90_79:                              ;   in Loop: Header=BB90_21 Depth=1
	s_or_b64 exec, exec, s[90:91]
	s_mov_b64 s[90:91], exec
	v_readlane_b32 s46, v86, 61
	v_readlane_b32 s47, v86, 62
	s_and_b64 s[46:47], s[90:91], s[46:47]
	s_mov_b64 exec, s[46:47]
	s_cbranch_execnz .LBB90_114
; %bb.80:                               ;   in Loop: Header=BB90_21 Depth=1
	s_or_b64 exec, exec, s[90:91]
	s_and_saveexec_b64 s[90:91], s[48:49]
	s_cbranch_execnz .LBB90_115
.LBB90_81:                              ;   in Loop: Header=BB90_21 Depth=1
	s_or_b64 exec, exec, s[90:91]
	s_and_saveexec_b64 s[90:91], s[8:9]
	s_cbranch_execnz .LBB90_116
.LBB90_82:                              ;   in Loop: Header=BB90_21 Depth=1
	s_or_b64 exec, exec, s[90:91]
	s_and_saveexec_b64 s[90:91], s[50:51]
	s_cbranch_execnz .LBB90_117
.LBB90_83:                              ;   in Loop: Header=BB90_21 Depth=1
	s_or_b64 exec, exec, s[90:91]
	s_and_saveexec_b64 s[90:91], s[52:53]
	s_cbranch_execnz .LBB90_118
.LBB90_84:                              ;   in Loop: Header=BB90_21 Depth=1
	s_or_b64 exec, exec, s[90:91]
	s_and_saveexec_b64 s[90:91], s[54:55]
	s_cbranch_execnz .LBB90_119
.LBB90_85:                              ;   in Loop: Header=BB90_21 Depth=1
	s_or_b64 exec, exec, s[90:91]
	s_and_saveexec_b64 s[90:91], s[56:57]
	s_cbranch_execnz .LBB90_120
.LBB90_86:                              ;   in Loop: Header=BB90_21 Depth=1
	s_or_b64 exec, exec, s[90:91]
	s_and_saveexec_b64 s[90:91], s[58:59]
	s_cbranch_execnz .LBB90_121
.LBB90_87:                              ;   in Loop: Header=BB90_21 Depth=1
	s_or_b64 exec, exec, s[90:91]
	s_and_saveexec_b64 s[90:91], s[60:61]
	s_cbranch_execnz .LBB90_122
.LBB90_88:                              ;   in Loop: Header=BB90_21 Depth=1
	s_or_b64 exec, exec, s[90:91]
	s_and_saveexec_b64 s[90:91], s[62:63]
	s_cbranch_execnz .LBB90_123
.LBB90_89:                              ;   in Loop: Header=BB90_21 Depth=1
	s_or_b64 exec, exec, s[90:91]
	s_and_saveexec_b64 s[90:91], s[10:11]
	s_cbranch_execnz .LBB90_124
.LBB90_90:                              ;   in Loop: Header=BB90_21 Depth=1
	s_or_b64 exec, exec, s[90:91]
	s_and_saveexec_b64 s[90:91], s[64:65]
	s_cbranch_execnz .LBB90_125
.LBB90_91:                              ;   in Loop: Header=BB90_21 Depth=1
	s_or_b64 exec, exec, s[90:91]
	s_and_saveexec_b64 s[90:91], s[66:67]
	s_cbranch_execnz .LBB90_126
.LBB90_92:                              ;   in Loop: Header=BB90_21 Depth=1
	s_or_b64 exec, exec, s[90:91]
	s_and_saveexec_b64 s[90:91], s[68:69]
	s_cbranch_execnz .LBB90_127
.LBB90_93:                              ;   in Loop: Header=BB90_21 Depth=1
	s_or_b64 exec, exec, s[90:91]
	s_and_saveexec_b64 s[90:91], s[70:71]
	s_cbranch_execnz .LBB90_128
.LBB90_94:                              ;   in Loop: Header=BB90_21 Depth=1
	s_or_b64 exec, exec, s[90:91]
	s_and_saveexec_b64 s[90:91], s[72:73]
	s_cbranch_execnz .LBB90_129
.LBB90_95:                              ;   in Loop: Header=BB90_21 Depth=1
	s_or_b64 exec, exec, s[90:91]
	s_and_saveexec_b64 s[90:91], s[2:3]
	s_cbranch_execnz .LBB90_130
.LBB90_96:                              ;   in Loop: Header=BB90_21 Depth=1
	s_or_b64 exec, exec, s[90:91]
	s_and_saveexec_b64 s[90:91], s[74:75]
	s_cbranch_execnz .LBB90_131
.LBB90_97:                              ;   in Loop: Header=BB90_21 Depth=1
	s_or_b64 exec, exec, s[90:91]
	s_and_saveexec_b64 s[90:91], s[12:13]
	s_cbranch_execnz .LBB90_132
.LBB90_98:                              ;   in Loop: Header=BB90_21 Depth=1
	s_or_b64 exec, exec, s[90:91]
	s_and_saveexec_b64 s[90:91], s[76:77]
	s_cbranch_execnz .LBB90_133
.LBB90_99:                              ;   in Loop: Header=BB90_21 Depth=1
	s_or_b64 exec, exec, s[90:91]
	s_and_saveexec_b64 s[90:91], s[78:79]
	s_cbranch_execnz .LBB90_134
.LBB90_100:                             ;   in Loop: Header=BB90_21 Depth=1
	s_or_b64 exec, exec, s[90:91]
	s_and_saveexec_b64 s[90:91], s[80:81]
	s_cbranch_execnz .LBB90_135
.LBB90_101:                             ;   in Loop: Header=BB90_21 Depth=1
	s_or_b64 exec, exec, s[90:91]
	s_and_saveexec_b64 s[90:91], s[82:83]
	s_cbranch_execnz .LBB90_136
.LBB90_102:                             ;   in Loop: Header=BB90_21 Depth=1
	s_or_b64 exec, exec, s[90:91]
	s_and_saveexec_b64 s[90:91], s[84:85]
	s_cbranch_execnz .LBB90_137
.LBB90_103:                             ;   in Loop: Header=BB90_21 Depth=1
	s_or_b64 exec, exec, s[90:91]
	s_and_saveexec_b64 s[90:91], s[86:87]
	s_cbranch_execnz .LBB90_138
.LBB90_104:                             ;   in Loop: Header=BB90_21 Depth=1
	s_or_b64 exec, exec, s[90:91]
	s_and_saveexec_b64 s[90:91], s[6:7]
	s_cbranch_execnz .LBB90_139
.LBB90_105:                             ;   in Loop: Header=BB90_21 Depth=1
	s_or_b64 exec, exec, s[90:91]
	s_and_saveexec_b64 s[90:91], s[14:15]
	s_cbranch_execnz .LBB90_140
.LBB90_106:                             ;   in Loop: Header=BB90_21 Depth=1
	s_or_b64 exec, exec, s[90:91]
	s_and_saveexec_b64 s[90:91], s[18:19]
	s_cbranch_execnz .LBB90_141
.LBB90_107:                             ;   in Loop: Header=BB90_21 Depth=1
	s_or_b64 exec, exec, s[90:91]
	s_and_saveexec_b64 s[90:91], s[20:21]
	s_cbranch_execnz .LBB90_142
.LBB90_108:                             ;   in Loop: Header=BB90_21 Depth=1
	s_or_b64 exec, exec, s[90:91]
	s_and_saveexec_b64 s[90:91], s[22:23]
	s_cbranch_execnz .LBB90_143
.LBB90_109:                             ;   in Loop: Header=BB90_21 Depth=1
	s_or_b64 exec, exec, s[90:91]
	s_and_saveexec_b64 s[90:91], s[24:25]
	s_cbranch_execnz .LBB90_144
.LBB90_110:                             ;   in Loop: Header=BB90_21 Depth=1
	s_or_b64 exec, exec, s[90:91]
	s_and_saveexec_b64 s[90:91], s[26:27]
	s_cbranch_execnz .LBB90_145
.LBB90_111:                             ;   in Loop: Header=BB90_21 Depth=1
	s_or_b64 exec, exec, s[90:91]
	s_and_saveexec_b64 s[90:91], s[28:29]
	s_cbranch_execnz .LBB90_146
.LBB90_112:                             ;   in Loop: Header=BB90_21 Depth=1
	s_or_b64 exec, exec, s[90:91]
	s_and_saveexec_b64 s[90:91], s[30:31]
	s_cbranch_execnz .LBB90_147
.LBB90_113:                             ;   in Loop: Header=BB90_21 Depth=1
	s_or_b64 exec, exec, s[90:91]
	s_and_saveexec_b64 s[90:91], s[16:17]
	s_cbranch_execz .LBB90_20
	s_branch .LBB90_148
.LBB90_114:                             ;   in Loop: Header=BB90_21 Depth=1
	v_mov_b32_e32 v29, s43
	v_add_co_u32_e32 v31, vcc, s42, v40
	v_addc_co_u32_e32 v80, vcc, v29, v41, vcc
	v_add_co_u32_e32 v31, vcc, s92, v31
	v_addc_co_u32_e32 v80, vcc, 0, v80, vcc
	;; [unrolled: 2-line block ×4, first 2 shown]
	v_cndmask_b32_e64 v81, v29, v80, s[0:1]
	v_cndmask_b32_e64 v80, v82, v31, s[0:1]
	global_load_dwordx2 v[80:81], v[80:81], off
	v_add_co_u32_e32 v29, vcc, 0, v24
	v_addc_co_u32_e32 v31, vcc, v3, v13, vcc
	v_add_co_u32_e32 v82, vcc, 0, v29
	v_addc_co_u32_e32 v83, vcc, v31, v23, vcc
	v_ashrrev_i64 v[82:83], 29, v[82:83]
	v_mov_b32_e32 v29, s5
	v_add_co_u32_e32 v84, vcc, s4, v82
	v_addc_co_u32_e32 v85, vcc, v29, v83, vcc
	v_mov_b32_e32 v29, s41
	v_add_co_u32_e32 v82, vcc, s40, v82
	v_addc_co_u32_e32 v83, vcc, v29, v83, vcc
	global_store_dwordx2 v[84:85], v[74:75], off
	s_waitcnt vmcnt(1)
	global_store_dwordx2 v[82:83], v[80:81], off
	s_or_b64 exec, exec, s[90:91]
	s_and_saveexec_b64 s[90:91], s[48:49]
	s_cbranch_execz .LBB90_81
.LBB90_115:                             ;   in Loop: Header=BB90_21 Depth=1
	v_mov_b32_e32 v29, s43
	v_add_co_u32_e32 v31, vcc, s42, v40
	v_addc_co_u32_e32 v80, vcc, v29, v41, vcc
	v_add_co_u32_e32 v31, vcc, s33, v31
	v_addc_co_u32_e32 v80, vcc, 0, v80, vcc
	v_add_co_u32_e32 v81, vcc, s42, v60
	v_addc_co_u32_e32 v29, vcc, v29, v61, vcc
	v_add_co_u32_e32 v82, vcc, 0x300, v81
	v_addc_co_u32_e32 v29, vcc, 0, v29, vcc
	v_cndmask_b32_e64 v81, v29, v80, s[0:1]
	v_cndmask_b32_e64 v80, v82, v31, s[0:1]
	global_load_dwordx2 v[80:81], v[80:81], off
	v_add_co_u32_e32 v29, vcc, 0, v24
	v_addc_co_u32_e32 v31, vcc, v3, v13, vcc
	v_add_co_u32_e32 v82, vcc, 0, v29
	v_addc_co_u32_e32 v83, vcc, v31, v25, vcc
	v_ashrrev_i64 v[82:83], 29, v[82:83]
	v_mov_b32_e32 v29, s5
	v_add_co_u32_e32 v84, vcc, s4, v82
	v_addc_co_u32_e32 v85, vcc, v29, v83, vcc
	v_mov_b32_e32 v29, s41
	v_add_co_u32_e32 v82, vcc, s40, v82
	v_addc_co_u32_e32 v83, vcc, v29, v83, vcc
	global_store_dwordx2 v[84:85], v[76:77], off
	s_waitcnt vmcnt(1)
	global_store_dwordx2 v[82:83], v[80:81], off
	s_or_b64 exec, exec, s[90:91]
	s_and_saveexec_b64 s[90:91], s[8:9]
	s_cbranch_execz .LBB90_82
.LBB90_116:                             ;   in Loop: Header=BB90_21 Depth=1
	v_mov_b32_e32 v29, s43
	v_add_co_u32_e32 v31, vcc, s42, v40
	v_addc_co_u32_e32 v80, vcc, v29, v41, vcc
	v_add_co_u32_e32 v31, vcc, s39, v31
	v_addc_co_u32_e32 v80, vcc, 0, v80, vcc
	;; [unrolled: 2-line block ×4, first 2 shown]
	v_cndmask_b32_e64 v81, v29, v80, s[0:1]
	v_cndmask_b32_e64 v80, v82, v31, s[0:1]
	global_load_dwordx2 v[80:81], v[80:81], off
	v_add_co_u32_e32 v29, vcc, 0, v24
	v_addc_co_u32_e32 v31, vcc, v3, v13, vcc
	v_add_co_u32_e32 v82, vcc, 0, v29
	v_addc_co_u32_e32 v83, vcc, v31, v27, vcc
	v_ashrrev_i64 v[82:83], 29, v[82:83]
	v_mov_b32_e32 v29, s5
	v_add_co_u32_e32 v84, vcc, s4, v82
	v_addc_co_u32_e32 v85, vcc, v29, v83, vcc
	v_mov_b32_e32 v29, s41
	v_add_co_u32_e32 v82, vcc, s40, v82
	v_addc_co_u32_e32 v83, vcc, v29, v83, vcc
	global_store_dwordx2 v[84:85], v[78:79], off
	s_waitcnt vmcnt(1)
	global_store_dwordx2 v[82:83], v[80:81], off
	s_or_b64 exec, exec, s[90:91]
	s_and_saveexec_b64 s[90:91], s[50:51]
	s_cbranch_execz .LBB90_83
.LBB90_117:                             ;   in Loop: Header=BB90_21 Depth=1
	v_mov_b32_e32 v29, s43
	v_add_co_u32_e32 v31, vcc, s42, v38
	v_addc_co_u32_e32 v80, vcc, v29, v39, vcc
	v_add_co_u32_e32 v81, vcc, s42, v48
	v_addc_co_u32_e32 v29, vcc, v29, v49, vcc
	;; [unrolled: 2-line block ×3, first 2 shown]
	v_cndmask_b32_e64 v81, v29, v80, s[0:1]
	v_cndmask_b32_e64 v80, v82, v31, s[0:1]
	global_load_dwordx2 v[80:81], v[80:81], off
	v_add_co_u32_e32 v82, vcc, 0, v22
	v_addc_co_u32_e32 v83, vcc, v3, v11, vcc
	v_ashrrev_i64 v[82:83], 29, v[82:83]
	v_mov_b32_e32 v29, s5
	v_add_co_u32_e32 v84, vcc, s4, v82
	v_addc_co_u32_e32 v85, vcc, v29, v83, vcc
	v_mov_b32_e32 v29, s41
	v_add_co_u32_e32 v82, vcc, s40, v82
	v_addc_co_u32_e32 v83, vcc, v29, v83, vcc
	global_store_dwordx2 v[84:85], v[68:69], off
	s_waitcnt vmcnt(1)
	global_store_dwordx2 v[82:83], v[80:81], off
	s_or_b64 exec, exec, s[90:91]
	s_and_saveexec_b64 s[90:91], s[52:53]
	s_cbranch_execz .LBB90_84
.LBB90_118:                             ;   in Loop: Header=BB90_21 Depth=1
	v_mov_b32_e32 v29, s43
	v_add_co_u32_e32 v31, vcc, s42, v38
	v_addc_co_u32_e32 v80, vcc, v29, v39, vcc
	v_add_co_u32_e32 v31, vcc, s44, v31
	v_addc_co_u32_e32 v80, vcc, 0, v80, vcc
	;; [unrolled: 2-line block ×4, first 2 shown]
	v_cndmask_b32_e64 v81, v29, v80, s[0:1]
	v_cndmask_b32_e64 v80, v82, v31, s[0:1]
	global_load_dwordx2 v[80:81], v[80:81], off
	v_add_co_u32_e32 v29, vcc, 0, v22
	v_addc_co_u32_e32 v31, vcc, v3, v11, vcc
	v_add_co_u32_e32 v82, vcc, 0, v29
	v_addc_co_u32_e32 v83, vcc, 32, v31, vcc
	v_ashrrev_i64 v[82:83], 29, v[82:83]
	v_mov_b32_e32 v29, s5
	v_add_co_u32_e32 v84, vcc, s4, v82
	v_addc_co_u32_e32 v85, vcc, v29, v83, vcc
	v_mov_b32_e32 v29, s41
	v_add_co_u32_e32 v82, vcc, s40, v82
	v_addc_co_u32_e32 v83, vcc, v29, v83, vcc
	global_store_dwordx2 v[84:85], v[64:65], off
	s_waitcnt vmcnt(1)
	global_store_dwordx2 v[82:83], v[80:81], off
	s_or_b64 exec, exec, s[90:91]
	s_and_saveexec_b64 s[90:91], s[54:55]
	s_cbranch_execz .LBB90_85
.LBB90_119:                             ;   in Loop: Header=BB90_21 Depth=1
	v_mov_b32_e32 v29, s43
	v_add_co_u32_e32 v31, vcc, s42, v38
	v_addc_co_u32_e32 v80, vcc, v29, v39, vcc
	v_add_co_u32_e32 v31, vcc, s95, v31
	v_addc_co_u32_e32 v80, vcc, 0, v80, vcc
	;; [unrolled: 2-line block ×4, first 2 shown]
	v_cndmask_b32_e64 v81, v29, v80, s[0:1]
	v_cndmask_b32_e64 v80, v82, v31, s[0:1]
	global_load_dwordx2 v[80:81], v[80:81], off
	v_add_co_u32_e32 v29, vcc, 0, v22
	v_addc_co_u32_e32 v31, vcc, v3, v11, vcc
	v_add_co_u32_e32 v82, vcc, 0, v29
	v_addc_co_u32_e32 v83, vcc, 64, v31, vcc
	v_ashrrev_i64 v[82:83], 29, v[82:83]
	v_mov_b32_e32 v29, s5
	v_add_co_u32_e32 v84, vcc, s4, v82
	v_addc_co_u32_e32 v85, vcc, v29, v83, vcc
	v_mov_b32_e32 v29, s41
	v_add_co_u32_e32 v82, vcc, s40, v82
	v_addc_co_u32_e32 v83, vcc, v29, v83, vcc
	global_store_dwordx2 v[84:85], v[66:67], off
	s_waitcnt vmcnt(1)
	global_store_dwordx2 v[82:83], v[80:81], off
	s_or_b64 exec, exec, s[90:91]
	s_and_saveexec_b64 s[90:91], s[56:57]
	s_cbranch_execz .LBB90_86
.LBB90_120:                             ;   in Loop: Header=BB90_21 Depth=1
	v_mov_b32_e32 v29, s43
	v_add_co_u32_e32 v31, vcc, s42, v38
	v_addc_co_u32_e32 v80, vcc, v29, v39, vcc
	v_add_co_u32_e32 v31, vcc, s94, v31
	v_addc_co_u32_e32 v80, vcc, 0, v80, vcc
	;; [unrolled: 2-line block ×4, first 2 shown]
	v_cndmask_b32_e64 v81, v29, v80, s[0:1]
	v_cndmask_b32_e64 v80, v82, v31, s[0:1]
	global_load_dwordx2 v[80:81], v[80:81], off
	v_add_co_u32_e32 v29, vcc, 0, v22
	v_addc_co_u32_e32 v31, vcc, v3, v11, vcc
	v_add_co_u32_e32 v82, vcc, 0, v29
	v_addc_co_u32_e32 v83, vcc, v31, v1, vcc
	v_ashrrev_i64 v[82:83], 29, v[82:83]
	v_mov_b32_e32 v29, s5
	v_add_co_u32_e32 v84, vcc, s4, v82
	v_addc_co_u32_e32 v85, vcc, v29, v83, vcc
	v_mov_b32_e32 v29, s41
	v_add_co_u32_e32 v82, vcc, s40, v82
	v_addc_co_u32_e32 v83, vcc, v29, v83, vcc
	global_store_dwordx2 v[84:85], v[70:71], off
	s_waitcnt vmcnt(1)
	global_store_dwordx2 v[82:83], v[80:81], off
	s_or_b64 exec, exec, s[90:91]
	s_and_saveexec_b64 s[90:91], s[58:59]
	s_cbranch_execz .LBB90_87
.LBB90_121:                             ;   in Loop: Header=BB90_21 Depth=1
	v_cndmask_b32_e64 v31, v56, v38, s[0:1]
	v_cndmask_b32_e64 v29, v57, v39, s[0:1]
	v_mov_b32_e32 v81, s43
	v_add_co_u32_e32 v80, vcc, s42, v31
	v_addc_co_u32_e32 v81, vcc, v81, v29, vcc
	global_load_dwordx2 v[80:81], v[80:81], off offset:1024
	v_add_co_u32_e32 v29, vcc, 0, v22
	v_addc_co_u32_e32 v31, vcc, v3, v11, vcc
	v_add_co_u32_e32 v82, vcc, 0, v29
	v_addc_co_u32_e32 v83, vcc, v31, v21, vcc
	v_ashrrev_i64 v[82:83], 29, v[82:83]
	v_mov_b32_e32 v29, s5
	v_add_co_u32_e32 v84, vcc, s4, v82
	v_addc_co_u32_e32 v85, vcc, v29, v83, vcc
	v_mov_b32_e32 v29, s41
	v_add_co_u32_e32 v82, vcc, s40, v82
	v_addc_co_u32_e32 v83, vcc, v29, v83, vcc
	global_store_dwordx2 v[84:85], v[72:73], off
	s_waitcnt vmcnt(1)
	global_store_dwordx2 v[82:83], v[80:81], off
	s_or_b64 exec, exec, s[90:91]
	s_and_saveexec_b64 s[90:91], s[60:61]
	s_cbranch_execz .LBB90_88
.LBB90_122:                             ;   in Loop: Header=BB90_21 Depth=1
	v_mov_b32_e32 v29, s43
	v_add_co_u32_e32 v31, vcc, s42, v38
	v_addc_co_u32_e32 v80, vcc, v29, v39, vcc
	v_add_co_u32_e32 v31, vcc, s92, v31
	v_addc_co_u32_e32 v80, vcc, 0, v80, vcc
	;; [unrolled: 2-line block ×4, first 2 shown]
	v_cndmask_b32_e64 v81, v29, v80, s[0:1]
	v_cndmask_b32_e64 v80, v82, v31, s[0:1]
	global_load_dwordx2 v[80:81], v[80:81], off
	v_add_co_u32_e32 v29, vcc, 0, v22
	v_addc_co_u32_e32 v31, vcc, v3, v11, vcc
	v_add_co_u32_e32 v82, vcc, 0, v29
	v_addc_co_u32_e32 v83, vcc, v31, v23, vcc
	v_ashrrev_i64 v[82:83], 29, v[82:83]
	v_mov_b32_e32 v29, s5
	v_add_co_u32_e32 v84, vcc, s4, v82
	v_addc_co_u32_e32 v85, vcc, v29, v83, vcc
	v_mov_b32_e32 v29, s41
	v_add_co_u32_e32 v82, vcc, s40, v82
	v_addc_co_u32_e32 v83, vcc, v29, v83, vcc
	global_store_dwordx2 v[84:85], v[74:75], off
	s_waitcnt vmcnt(1)
	global_store_dwordx2 v[82:83], v[80:81], off
	s_or_b64 exec, exec, s[90:91]
	s_and_saveexec_b64 s[90:91], s[62:63]
	s_cbranch_execz .LBB90_89
.LBB90_123:                             ;   in Loop: Header=BB90_21 Depth=1
	v_mov_b32_e32 v29, s43
	v_add_co_u32_e32 v31, vcc, s42, v38
	v_addc_co_u32_e32 v80, vcc, v29, v39, vcc
	v_add_co_u32_e32 v31, vcc, s33, v31
	v_addc_co_u32_e32 v80, vcc, 0, v80, vcc
	;; [unrolled: 2-line block ×4, first 2 shown]
	v_cndmask_b32_e64 v81, v29, v80, s[0:1]
	v_cndmask_b32_e64 v80, v82, v31, s[0:1]
	global_load_dwordx2 v[80:81], v[80:81], off
	v_add_co_u32_e32 v29, vcc, 0, v22
	v_addc_co_u32_e32 v31, vcc, v3, v11, vcc
	v_add_co_u32_e32 v82, vcc, 0, v29
	v_addc_co_u32_e32 v83, vcc, v31, v25, vcc
	v_ashrrev_i64 v[82:83], 29, v[82:83]
	v_mov_b32_e32 v29, s5
	v_add_co_u32_e32 v84, vcc, s4, v82
	v_addc_co_u32_e32 v85, vcc, v29, v83, vcc
	v_mov_b32_e32 v29, s41
	v_add_co_u32_e32 v82, vcc, s40, v82
	v_addc_co_u32_e32 v83, vcc, v29, v83, vcc
	global_store_dwordx2 v[84:85], v[76:77], off
	s_waitcnt vmcnt(1)
	global_store_dwordx2 v[82:83], v[80:81], off
	s_or_b64 exec, exec, s[90:91]
	s_and_saveexec_b64 s[90:91], s[10:11]
	s_cbranch_execz .LBB90_90
.LBB90_124:                             ;   in Loop: Header=BB90_21 Depth=1
	v_mov_b32_e32 v29, s43
	v_add_co_u32_e32 v31, vcc, s42, v38
	v_addc_co_u32_e32 v80, vcc, v29, v39, vcc
	v_add_co_u32_e32 v31, vcc, s39, v31
	v_addc_co_u32_e32 v80, vcc, 0, v80, vcc
	v_add_co_u32_e32 v81, vcc, s42, v62
	v_addc_co_u32_e32 v29, vcc, v29, v63, vcc
	v_add_co_u32_e32 v82, vcc, 0x400, v81
	v_addc_co_u32_e32 v29, vcc, 0, v29, vcc
	v_cndmask_b32_e64 v81, v29, v80, s[0:1]
	v_cndmask_b32_e64 v80, v82, v31, s[0:1]
	global_load_dwordx2 v[80:81], v[80:81], off
	v_add_co_u32_e32 v29, vcc, 0, v22
	v_addc_co_u32_e32 v31, vcc, v3, v11, vcc
	v_add_co_u32_e32 v82, vcc, 0, v29
	v_addc_co_u32_e32 v83, vcc, v31, v27, vcc
	v_ashrrev_i64 v[82:83], 29, v[82:83]
	v_mov_b32_e32 v29, s5
	v_add_co_u32_e32 v84, vcc, s4, v82
	v_addc_co_u32_e32 v85, vcc, v29, v83, vcc
	v_mov_b32_e32 v29, s41
	v_add_co_u32_e32 v82, vcc, s40, v82
	v_addc_co_u32_e32 v83, vcc, v29, v83, vcc
	global_store_dwordx2 v[84:85], v[78:79], off
	s_waitcnt vmcnt(1)
	global_store_dwordx2 v[82:83], v[80:81], off
	s_or_b64 exec, exec, s[90:91]
	s_and_saveexec_b64 s[90:91], s[64:65]
	s_cbranch_execz .LBB90_91
.LBB90_125:                             ;   in Loop: Header=BB90_21 Depth=1
	v_mov_b32_e32 v29, s43
	v_add_co_u32_e32 v31, vcc, s42, v36
	v_addc_co_u32_e32 v80, vcc, v29, v37, vcc
	v_add_co_u32_e32 v81, vcc, s42, v48
	v_addc_co_u32_e32 v29, vcc, v29, v49, vcc
	;; [unrolled: 2-line block ×3, first 2 shown]
	v_cndmask_b32_e64 v81, v29, v80, s[0:1]
	v_cndmask_b32_e64 v80, v82, v31, s[0:1]
	global_load_dwordx2 v[80:81], v[80:81], off
	v_add_co_u32_e32 v82, vcc, 0, v20
	v_addc_co_u32_e32 v83, vcc, v3, v9, vcc
	v_ashrrev_i64 v[82:83], 29, v[82:83]
	v_mov_b32_e32 v29, s5
	v_add_co_u32_e32 v84, vcc, s4, v82
	v_addc_co_u32_e32 v85, vcc, v29, v83, vcc
	v_mov_b32_e32 v29, s41
	v_add_co_u32_e32 v82, vcc, s40, v82
	v_addc_co_u32_e32 v83, vcc, v29, v83, vcc
	global_store_dwordx2 v[84:85], v[68:69], off
	s_waitcnt vmcnt(1)
	global_store_dwordx2 v[82:83], v[80:81], off
	s_or_b64 exec, exec, s[90:91]
	s_and_saveexec_b64 s[90:91], s[66:67]
	s_cbranch_execz .LBB90_92
.LBB90_126:                             ;   in Loop: Header=BB90_21 Depth=1
	v_mov_b32_e32 v29, s43
	v_add_co_u32_e32 v31, vcc, s42, v36
	v_addc_co_u32_e32 v80, vcc, v29, v37, vcc
	v_add_co_u32_e32 v31, vcc, s44, v31
	v_addc_co_u32_e32 v80, vcc, 0, v80, vcc
	;; [unrolled: 2-line block ×4, first 2 shown]
	v_cndmask_b32_e64 v81, v29, v80, s[0:1]
	v_cndmask_b32_e64 v80, v82, v31, s[0:1]
	global_load_dwordx2 v[80:81], v[80:81], off
	v_add_co_u32_e32 v29, vcc, 0, v20
	v_addc_co_u32_e32 v31, vcc, v3, v9, vcc
	v_add_co_u32_e32 v82, vcc, 0, v29
	v_addc_co_u32_e32 v83, vcc, 32, v31, vcc
	v_ashrrev_i64 v[82:83], 29, v[82:83]
	v_mov_b32_e32 v29, s5
	v_add_co_u32_e32 v84, vcc, s4, v82
	v_addc_co_u32_e32 v85, vcc, v29, v83, vcc
	v_mov_b32_e32 v29, s41
	v_add_co_u32_e32 v82, vcc, s40, v82
	v_addc_co_u32_e32 v83, vcc, v29, v83, vcc
	global_store_dwordx2 v[84:85], v[64:65], off
	s_waitcnt vmcnt(1)
	global_store_dwordx2 v[82:83], v[80:81], off
	s_or_b64 exec, exec, s[90:91]
	s_and_saveexec_b64 s[90:91], s[68:69]
	s_cbranch_execz .LBB90_93
.LBB90_127:                             ;   in Loop: Header=BB90_21 Depth=1
	v_mov_b32_e32 v29, s43
	v_add_co_u32_e32 v31, vcc, s42, v36
	v_addc_co_u32_e32 v80, vcc, v29, v37, vcc
	v_add_co_u32_e32 v31, vcc, s95, v31
	v_addc_co_u32_e32 v80, vcc, 0, v80, vcc
	;; [unrolled: 2-line block ×4, first 2 shown]
	v_cndmask_b32_e64 v81, v29, v80, s[0:1]
	v_cndmask_b32_e64 v80, v82, v31, s[0:1]
	global_load_dwordx2 v[80:81], v[80:81], off
	v_add_co_u32_e32 v29, vcc, 0, v20
	v_addc_co_u32_e32 v31, vcc, v3, v9, vcc
	v_add_co_u32_e32 v82, vcc, 0, v29
	v_addc_co_u32_e32 v83, vcc, 64, v31, vcc
	v_ashrrev_i64 v[82:83], 29, v[82:83]
	v_mov_b32_e32 v29, s5
	v_add_co_u32_e32 v84, vcc, s4, v82
	v_addc_co_u32_e32 v85, vcc, v29, v83, vcc
	v_mov_b32_e32 v29, s41
	v_add_co_u32_e32 v82, vcc, s40, v82
	v_addc_co_u32_e32 v83, vcc, v29, v83, vcc
	global_store_dwordx2 v[84:85], v[66:67], off
	s_waitcnt vmcnt(1)
	global_store_dwordx2 v[82:83], v[80:81], off
	s_or_b64 exec, exec, s[90:91]
	s_and_saveexec_b64 s[90:91], s[70:71]
	s_cbranch_execz .LBB90_94
.LBB90_128:                             ;   in Loop: Header=BB90_21 Depth=1
	v_mov_b32_e32 v29, s43
	v_add_co_u32_e32 v31, vcc, s42, v36
	v_addc_co_u32_e32 v80, vcc, v29, v37, vcc
	v_add_co_u32_e32 v31, vcc, s94, v31
	v_addc_co_u32_e32 v80, vcc, 0, v80, vcc
	;; [unrolled: 2-line block ×4, first 2 shown]
	v_cndmask_b32_e64 v81, v29, v80, s[0:1]
	v_cndmask_b32_e64 v80, v82, v31, s[0:1]
	global_load_dwordx2 v[80:81], v[80:81], off
	v_add_co_u32_e32 v29, vcc, 0, v20
	v_addc_co_u32_e32 v31, vcc, v3, v9, vcc
	v_add_co_u32_e32 v82, vcc, 0, v29
	v_addc_co_u32_e32 v83, vcc, v31, v1, vcc
	v_ashrrev_i64 v[82:83], 29, v[82:83]
	v_mov_b32_e32 v29, s5
	v_add_co_u32_e32 v84, vcc, s4, v82
	v_addc_co_u32_e32 v85, vcc, v29, v83, vcc
	v_mov_b32_e32 v29, s41
	v_add_co_u32_e32 v82, vcc, s40, v82
	v_addc_co_u32_e32 v83, vcc, v29, v83, vcc
	global_store_dwordx2 v[84:85], v[70:71], off
	s_waitcnt vmcnt(1)
	global_store_dwordx2 v[82:83], v[80:81], off
	s_or_b64 exec, exec, s[90:91]
	s_and_saveexec_b64 s[90:91], s[72:73]
	s_cbranch_execz .LBB90_95
.LBB90_129:                             ;   in Loop: Header=BB90_21 Depth=1
	v_mov_b32_e32 v29, s43
	v_add_co_u32_e32 v31, vcc, s42, v36
	v_addc_co_u32_e32 v80, vcc, v29, v37, vcc
	v_add_co_u32_e32 v31, vcc, s93, v31
	v_addc_co_u32_e32 v80, vcc, 0, v80, vcc
	;; [unrolled: 2-line block ×4, first 2 shown]
	v_cndmask_b32_e64 v81, v29, v80, s[0:1]
	v_cndmask_b32_e64 v80, v82, v31, s[0:1]
	global_load_dwordx2 v[80:81], v[80:81], off
	v_add_co_u32_e32 v29, vcc, 0, v20
	v_addc_co_u32_e32 v31, vcc, v3, v9, vcc
	v_add_co_u32_e32 v82, vcc, 0, v29
	v_addc_co_u32_e32 v83, vcc, v31, v21, vcc
	v_ashrrev_i64 v[82:83], 29, v[82:83]
	v_mov_b32_e32 v29, s5
	v_add_co_u32_e32 v84, vcc, s4, v82
	v_addc_co_u32_e32 v85, vcc, v29, v83, vcc
	v_mov_b32_e32 v29, s41
	v_add_co_u32_e32 v82, vcc, s40, v82
	v_addc_co_u32_e32 v83, vcc, v29, v83, vcc
	global_store_dwordx2 v[84:85], v[72:73], off
	s_waitcnt vmcnt(1)
	global_store_dwordx2 v[82:83], v[80:81], off
	s_or_b64 exec, exec, s[90:91]
	s_and_saveexec_b64 s[90:91], s[2:3]
	s_cbranch_execz .LBB90_96
.LBB90_130:                             ;   in Loop: Header=BB90_21 Depth=1
	v_cndmask_b32_e64 v31, v58, v36, s[0:1]
	v_cndmask_b32_e64 v29, v59, v37, s[0:1]
	v_mov_b32_e32 v81, s43
	v_add_co_u32_e32 v80, vcc, s42, v31
	v_addc_co_u32_e32 v81, vcc, v81, v29, vcc
	global_load_dwordx2 v[80:81], v[80:81], off offset:1280
	v_add_co_u32_e32 v29, vcc, 0, v20
	v_addc_co_u32_e32 v31, vcc, v3, v9, vcc
	v_add_co_u32_e32 v82, vcc, 0, v29
	v_addc_co_u32_e32 v83, vcc, v31, v23, vcc
	v_ashrrev_i64 v[82:83], 29, v[82:83]
	v_mov_b32_e32 v29, s5
	v_add_co_u32_e32 v84, vcc, s4, v82
	v_addc_co_u32_e32 v85, vcc, v29, v83, vcc
	v_mov_b32_e32 v29, s41
	v_add_co_u32_e32 v82, vcc, s40, v82
	v_addc_co_u32_e32 v83, vcc, v29, v83, vcc
	global_store_dwordx2 v[84:85], v[74:75], off
	s_waitcnt vmcnt(1)
	global_store_dwordx2 v[82:83], v[80:81], off
	s_or_b64 exec, exec, s[90:91]
	s_and_saveexec_b64 s[90:91], s[74:75]
	s_cbranch_execz .LBB90_97
.LBB90_131:                             ;   in Loop: Header=BB90_21 Depth=1
	v_mov_b32_e32 v29, s43
	v_add_co_u32_e32 v31, vcc, s42, v36
	v_addc_co_u32_e32 v80, vcc, v29, v37, vcc
	v_add_co_u32_e32 v31, vcc, s33, v31
	v_addc_co_u32_e32 v80, vcc, 0, v80, vcc
	v_add_co_u32_e32 v81, vcc, s42, v60
	v_addc_co_u32_e32 v29, vcc, v29, v61, vcc
	v_add_co_u32_e32 v82, vcc, 0x500, v81
	v_addc_co_u32_e32 v29, vcc, 0, v29, vcc
	v_cndmask_b32_e64 v81, v29, v80, s[0:1]
	v_cndmask_b32_e64 v80, v82, v31, s[0:1]
	global_load_dwordx2 v[80:81], v[80:81], off
	v_add_co_u32_e32 v29, vcc, 0, v20
	v_addc_co_u32_e32 v31, vcc, v3, v9, vcc
	v_add_co_u32_e32 v82, vcc, 0, v29
	v_addc_co_u32_e32 v83, vcc, v31, v25, vcc
	v_ashrrev_i64 v[82:83], 29, v[82:83]
	v_mov_b32_e32 v29, s5
	v_add_co_u32_e32 v84, vcc, s4, v82
	v_addc_co_u32_e32 v85, vcc, v29, v83, vcc
	v_mov_b32_e32 v29, s41
	v_add_co_u32_e32 v82, vcc, s40, v82
	v_addc_co_u32_e32 v83, vcc, v29, v83, vcc
	global_store_dwordx2 v[84:85], v[76:77], off
	s_waitcnt vmcnt(1)
	global_store_dwordx2 v[82:83], v[80:81], off
	s_or_b64 exec, exec, s[90:91]
	s_and_saveexec_b64 s[90:91], s[12:13]
	s_cbranch_execz .LBB90_98
.LBB90_132:                             ;   in Loop: Header=BB90_21 Depth=1
	v_mov_b32_e32 v29, s43
	v_add_co_u32_e32 v31, vcc, s42, v36
	v_addc_co_u32_e32 v80, vcc, v29, v37, vcc
	v_add_co_u32_e32 v31, vcc, s39, v31
	v_addc_co_u32_e32 v80, vcc, 0, v80, vcc
	v_add_co_u32_e32 v81, vcc, s42, v62
	v_addc_co_u32_e32 v29, vcc, v29, v63, vcc
	v_add_co_u32_e32 v82, vcc, 0x500, v81
	v_addc_co_u32_e32 v29, vcc, 0, v29, vcc
	v_cndmask_b32_e64 v81, v29, v80, s[0:1]
	v_cndmask_b32_e64 v80, v82, v31, s[0:1]
	global_load_dwordx2 v[80:81], v[80:81], off
	v_add_co_u32_e32 v29, vcc, 0, v20
	v_addc_co_u32_e32 v31, vcc, v3, v9, vcc
	v_add_co_u32_e32 v82, vcc, 0, v29
	v_addc_co_u32_e32 v83, vcc, v31, v27, vcc
	v_ashrrev_i64 v[82:83], 29, v[82:83]
	v_mov_b32_e32 v29, s5
	v_add_co_u32_e32 v84, vcc, s4, v82
	v_addc_co_u32_e32 v85, vcc, v29, v83, vcc
	v_mov_b32_e32 v29, s41
	v_add_co_u32_e32 v82, vcc, s40, v82
	v_addc_co_u32_e32 v83, vcc, v29, v83, vcc
	global_store_dwordx2 v[84:85], v[78:79], off
	s_waitcnt vmcnt(1)
	global_store_dwordx2 v[82:83], v[80:81], off
	s_or_b64 exec, exec, s[90:91]
	s_and_saveexec_b64 s[90:91], s[76:77]
	s_cbranch_execz .LBB90_99
.LBB90_133:                             ;   in Loop: Header=BB90_21 Depth=1
	v_mov_b32_e32 v29, s43
	v_add_co_u32_e32 v31, vcc, s42, v34
	v_addc_co_u32_e32 v80, vcc, v29, v35, vcc
	v_add_co_u32_e32 v81, vcc, s42, v48
	v_addc_co_u32_e32 v29, vcc, v29, v49, vcc
	;; [unrolled: 2-line block ×3, first 2 shown]
	v_cndmask_b32_e64 v81, v29, v80, s[0:1]
	v_cndmask_b32_e64 v80, v82, v31, s[0:1]
	global_load_dwordx2 v[80:81], v[80:81], off
	v_add_co_u32_e32 v82, vcc, 0, v18
	v_addc_co_u32_e32 v83, vcc, v3, v7, vcc
	v_ashrrev_i64 v[82:83], 29, v[82:83]
	v_mov_b32_e32 v29, s5
	v_add_co_u32_e32 v84, vcc, s4, v82
	v_addc_co_u32_e32 v85, vcc, v29, v83, vcc
	v_mov_b32_e32 v29, s41
	v_add_co_u32_e32 v82, vcc, s40, v82
	v_addc_co_u32_e32 v83, vcc, v29, v83, vcc
	global_store_dwordx2 v[84:85], v[68:69], off
	s_waitcnt vmcnt(1)
	global_store_dwordx2 v[82:83], v[80:81], off
	s_or_b64 exec, exec, s[90:91]
	s_and_saveexec_b64 s[90:91], s[78:79]
	s_cbranch_execz .LBB90_100
.LBB90_134:                             ;   in Loop: Header=BB90_21 Depth=1
	v_mov_b32_e32 v29, s43
	v_add_co_u32_e32 v31, vcc, s42, v34
	v_addc_co_u32_e32 v80, vcc, v29, v35, vcc
	v_add_co_u32_e32 v31, vcc, s44, v31
	v_addc_co_u32_e32 v80, vcc, 0, v80, vcc
	;; [unrolled: 2-line block ×4, first 2 shown]
	v_cndmask_b32_e64 v81, v29, v80, s[0:1]
	v_cndmask_b32_e64 v80, v82, v31, s[0:1]
	global_load_dwordx2 v[80:81], v[80:81], off
	v_add_co_u32_e32 v29, vcc, 0, v18
	v_addc_co_u32_e32 v31, vcc, v3, v7, vcc
	v_add_co_u32_e32 v82, vcc, 0, v29
	v_addc_co_u32_e32 v83, vcc, 32, v31, vcc
	v_ashrrev_i64 v[82:83], 29, v[82:83]
	v_mov_b32_e32 v29, s5
	v_add_co_u32_e32 v84, vcc, s4, v82
	v_addc_co_u32_e32 v85, vcc, v29, v83, vcc
	v_mov_b32_e32 v29, s41
	v_add_co_u32_e32 v82, vcc, s40, v82
	v_addc_co_u32_e32 v83, vcc, v29, v83, vcc
	global_store_dwordx2 v[84:85], v[64:65], off
	s_waitcnt vmcnt(1)
	global_store_dwordx2 v[82:83], v[80:81], off
	s_or_b64 exec, exec, s[90:91]
	s_and_saveexec_b64 s[90:91], s[80:81]
	s_cbranch_execz .LBB90_101
.LBB90_135:                             ;   in Loop: Header=BB90_21 Depth=1
	v_mov_b32_e32 v29, s43
	v_add_co_u32_e32 v31, vcc, s42, v34
	v_addc_co_u32_e32 v80, vcc, v29, v35, vcc
	v_add_co_u32_e32 v31, vcc, s95, v31
	v_addc_co_u32_e32 v80, vcc, 0, v80, vcc
	;; [unrolled: 2-line block ×4, first 2 shown]
	v_cndmask_b32_e64 v81, v29, v80, s[0:1]
	v_cndmask_b32_e64 v80, v82, v31, s[0:1]
	global_load_dwordx2 v[80:81], v[80:81], off
	v_add_co_u32_e32 v29, vcc, 0, v18
	v_addc_co_u32_e32 v31, vcc, v3, v7, vcc
	v_add_co_u32_e32 v82, vcc, 0, v29
	v_addc_co_u32_e32 v83, vcc, 64, v31, vcc
	v_ashrrev_i64 v[82:83], 29, v[82:83]
	v_mov_b32_e32 v29, s5
	v_add_co_u32_e32 v84, vcc, s4, v82
	v_addc_co_u32_e32 v85, vcc, v29, v83, vcc
	v_mov_b32_e32 v29, s41
	v_add_co_u32_e32 v82, vcc, s40, v82
	v_addc_co_u32_e32 v83, vcc, v29, v83, vcc
	global_store_dwordx2 v[84:85], v[66:67], off
	s_waitcnt vmcnt(1)
	global_store_dwordx2 v[82:83], v[80:81], off
	s_or_b64 exec, exec, s[90:91]
	s_and_saveexec_b64 s[90:91], s[82:83]
	s_cbranch_execz .LBB90_102
.LBB90_136:                             ;   in Loop: Header=BB90_21 Depth=1
	v_mov_b32_e32 v29, s43
	v_add_co_u32_e32 v31, vcc, s42, v34
	v_addc_co_u32_e32 v80, vcc, v29, v35, vcc
	v_add_co_u32_e32 v31, vcc, s94, v31
	v_addc_co_u32_e32 v80, vcc, 0, v80, vcc
	;; [unrolled: 2-line block ×4, first 2 shown]
	v_cndmask_b32_e64 v81, v29, v80, s[0:1]
	v_cndmask_b32_e64 v80, v82, v31, s[0:1]
	global_load_dwordx2 v[80:81], v[80:81], off
	v_add_co_u32_e32 v29, vcc, 0, v18
	v_addc_co_u32_e32 v31, vcc, v3, v7, vcc
	v_add_co_u32_e32 v82, vcc, 0, v29
	v_addc_co_u32_e32 v83, vcc, v31, v1, vcc
	v_ashrrev_i64 v[82:83], 29, v[82:83]
	v_mov_b32_e32 v29, s5
	v_add_co_u32_e32 v84, vcc, s4, v82
	v_addc_co_u32_e32 v85, vcc, v29, v83, vcc
	v_mov_b32_e32 v29, s41
	v_add_co_u32_e32 v82, vcc, s40, v82
	v_addc_co_u32_e32 v83, vcc, v29, v83, vcc
	global_store_dwordx2 v[84:85], v[70:71], off
	s_waitcnt vmcnt(1)
	global_store_dwordx2 v[82:83], v[80:81], off
	s_or_b64 exec, exec, s[90:91]
	s_and_saveexec_b64 s[90:91], s[84:85]
	s_cbranch_execz .LBB90_103
.LBB90_137:                             ;   in Loop: Header=BB90_21 Depth=1
	v_mov_b32_e32 v29, s43
	v_add_co_u32_e32 v31, vcc, s42, v34
	v_addc_co_u32_e32 v80, vcc, v29, v35, vcc
	v_add_co_u32_e32 v31, vcc, s93, v31
	v_addc_co_u32_e32 v80, vcc, 0, v80, vcc
	v_add_co_u32_e32 v81, vcc, s42, v56
	v_addc_co_u32_e32 v29, vcc, v29, v57, vcc
	v_add_co_u32_e32 v82, vcc, 0x600, v81
	v_addc_co_u32_e32 v29, vcc, 0, v29, vcc
	v_cndmask_b32_e64 v81, v29, v80, s[0:1]
	v_cndmask_b32_e64 v80, v82, v31, s[0:1]
	global_load_dwordx2 v[80:81], v[80:81], off
	v_add_co_u32_e32 v29, vcc, 0, v18
	v_addc_co_u32_e32 v31, vcc, v3, v7, vcc
	v_add_co_u32_e32 v82, vcc, 0, v29
	v_addc_co_u32_e32 v83, vcc, v31, v21, vcc
	v_ashrrev_i64 v[82:83], 29, v[82:83]
	v_mov_b32_e32 v29, s5
	v_add_co_u32_e32 v84, vcc, s4, v82
	v_addc_co_u32_e32 v85, vcc, v29, v83, vcc
	v_mov_b32_e32 v29, s41
	v_add_co_u32_e32 v82, vcc, s40, v82
	v_addc_co_u32_e32 v83, vcc, v29, v83, vcc
	global_store_dwordx2 v[84:85], v[72:73], off
	s_waitcnt vmcnt(1)
	global_store_dwordx2 v[82:83], v[80:81], off
	s_or_b64 exec, exec, s[90:91]
	s_and_saveexec_b64 s[90:91], s[86:87]
	s_cbranch_execz .LBB90_104
.LBB90_138:                             ;   in Loop: Header=BB90_21 Depth=1
	v_mov_b32_e32 v29, s43
	v_add_co_u32_e32 v31, vcc, s42, v34
	v_addc_co_u32_e32 v80, vcc, v29, v35, vcc
	v_add_co_u32_e32 v31, vcc, s92, v31
	v_addc_co_u32_e32 v80, vcc, 0, v80, vcc
	;; [unrolled: 2-line block ×4, first 2 shown]
	v_cndmask_b32_e64 v81, v29, v80, s[0:1]
	v_cndmask_b32_e64 v80, v82, v31, s[0:1]
	global_load_dwordx2 v[80:81], v[80:81], off
	v_add_co_u32_e32 v29, vcc, 0, v18
	v_addc_co_u32_e32 v31, vcc, v3, v7, vcc
	v_add_co_u32_e32 v82, vcc, 0, v29
	v_addc_co_u32_e32 v83, vcc, v31, v23, vcc
	v_ashrrev_i64 v[82:83], 29, v[82:83]
	v_mov_b32_e32 v29, s5
	v_add_co_u32_e32 v84, vcc, s4, v82
	v_addc_co_u32_e32 v85, vcc, v29, v83, vcc
	v_mov_b32_e32 v29, s41
	v_add_co_u32_e32 v82, vcc, s40, v82
	v_addc_co_u32_e32 v83, vcc, v29, v83, vcc
	global_store_dwordx2 v[84:85], v[74:75], off
	s_waitcnt vmcnt(1)
	global_store_dwordx2 v[82:83], v[80:81], off
	s_or_b64 exec, exec, s[90:91]
	s_and_saveexec_b64 s[90:91], s[6:7]
	s_cbranch_execz .LBB90_105
.LBB90_139:                             ;   in Loop: Header=BB90_21 Depth=1
	v_cndmask_b32_e64 v31, v60, v34, s[0:1]
	v_cndmask_b32_e64 v29, v61, v35, s[0:1]
	v_mov_b32_e32 v81, s43
	v_add_co_u32_e32 v80, vcc, s42, v31
	v_addc_co_u32_e32 v81, vcc, v81, v29, vcc
	global_load_dwordx2 v[80:81], v[80:81], off offset:1536
	v_add_co_u32_e32 v29, vcc, 0, v18
	v_addc_co_u32_e32 v31, vcc, v3, v7, vcc
	v_add_co_u32_e32 v82, vcc, 0, v29
	v_addc_co_u32_e32 v83, vcc, v31, v25, vcc
	v_ashrrev_i64 v[82:83], 29, v[82:83]
	v_mov_b32_e32 v29, s5
	v_add_co_u32_e32 v84, vcc, s4, v82
	v_addc_co_u32_e32 v85, vcc, v29, v83, vcc
	v_mov_b32_e32 v29, s41
	v_add_co_u32_e32 v82, vcc, s40, v82
	v_addc_co_u32_e32 v83, vcc, v29, v83, vcc
	global_store_dwordx2 v[84:85], v[76:77], off
	s_waitcnt vmcnt(1)
	global_store_dwordx2 v[82:83], v[80:81], off
	s_or_b64 exec, exec, s[90:91]
	s_and_saveexec_b64 s[90:91], s[14:15]
	s_cbranch_execz .LBB90_106
.LBB90_140:                             ;   in Loop: Header=BB90_21 Depth=1
	v_mov_b32_e32 v29, s43
	v_add_co_u32_e32 v31, vcc, s42, v34
	v_addc_co_u32_e32 v80, vcc, v29, v35, vcc
	v_add_co_u32_e32 v31, vcc, s39, v31
	v_addc_co_u32_e32 v80, vcc, 0, v80, vcc
	;; [unrolled: 2-line block ×4, first 2 shown]
	v_cndmask_b32_e64 v81, v29, v80, s[0:1]
	v_cndmask_b32_e64 v80, v82, v31, s[0:1]
	global_load_dwordx2 v[80:81], v[80:81], off
	v_add_co_u32_e32 v29, vcc, 0, v18
	v_addc_co_u32_e32 v31, vcc, v3, v7, vcc
	v_add_co_u32_e32 v82, vcc, 0, v29
	v_addc_co_u32_e32 v83, vcc, v31, v27, vcc
	v_ashrrev_i64 v[82:83], 29, v[82:83]
	v_mov_b32_e32 v29, s5
	v_add_co_u32_e32 v84, vcc, s4, v82
	v_addc_co_u32_e32 v85, vcc, v29, v83, vcc
	v_mov_b32_e32 v29, s41
	v_add_co_u32_e32 v82, vcc, s40, v82
	v_addc_co_u32_e32 v83, vcc, v29, v83, vcc
	global_store_dwordx2 v[84:85], v[78:79], off
	s_waitcnt vmcnt(1)
	global_store_dwordx2 v[82:83], v[80:81], off
	s_or_b64 exec, exec, s[90:91]
	s_and_saveexec_b64 s[90:91], s[18:19]
	s_cbranch_execz .LBB90_107
.LBB90_141:                             ;   in Loop: Header=BB90_21 Depth=1
	v_mov_b32_e32 v29, s43
	v_add_co_u32_e32 v31, vcc, s42, v32
	v_addc_co_u32_e32 v80, vcc, v29, v33, vcc
	v_add_co_u32_e32 v81, vcc, s42, v48
	v_addc_co_u32_e32 v29, vcc, v29, v49, vcc
	;; [unrolled: 2-line block ×3, first 2 shown]
	v_cndmask_b32_e64 v81, v29, v80, s[0:1]
	v_cndmask_b32_e64 v80, v82, v31, s[0:1]
	global_load_dwordx2 v[80:81], v[80:81], off
	v_add_co_u32_e32 v82, vcc, 0, v16
	v_addc_co_u32_e32 v83, vcc, v3, v5, vcc
	v_ashrrev_i64 v[82:83], 29, v[82:83]
	v_mov_b32_e32 v29, s5
	v_add_co_u32_e32 v84, vcc, s4, v82
	v_addc_co_u32_e32 v85, vcc, v29, v83, vcc
	global_store_dwordx2 v[84:85], v[68:69], off
	v_mov_b32_e32 v29, s41
	v_add_co_u32_e32 v68, vcc, s40, v82
	v_addc_co_u32_e32 v69, vcc, v29, v83, vcc
	s_waitcnt vmcnt(1)
	global_store_dwordx2 v[68:69], v[80:81], off
	s_or_b64 exec, exec, s[90:91]
	s_and_saveexec_b64 s[90:91], s[20:21]
	s_cbranch_execz .LBB90_108
.LBB90_142:                             ;   in Loop: Header=BB90_21 Depth=1
	v_mov_b32_e32 v29, s43
	v_add_co_u32_e32 v31, vcc, s42, v32
	v_addc_co_u32_e32 v68, vcc, v29, v33, vcc
	v_add_co_u32_e32 v31, vcc, s44, v31
	v_addc_co_u32_e32 v68, vcc, 0, v68, vcc
	;; [unrolled: 2-line block ×4, first 2 shown]
	v_cndmask_b32_e64 v69, v29, v68, s[0:1]
	v_cndmask_b32_e64 v68, v80, v31, s[0:1]
	global_load_dwordx2 v[68:69], v[68:69], off
	v_add_co_u32_e32 v29, vcc, 0, v16
	v_addc_co_u32_e32 v31, vcc, v3, v5, vcc
	v_add_co_u32_e32 v80, vcc, 0, v29
	v_addc_co_u32_e32 v81, vcc, 32, v31, vcc
	v_ashrrev_i64 v[80:81], 29, v[80:81]
	v_mov_b32_e32 v29, s5
	v_add_co_u32_e32 v82, vcc, s4, v80
	v_addc_co_u32_e32 v83, vcc, v29, v81, vcc
	global_store_dwordx2 v[82:83], v[64:65], off
	v_mov_b32_e32 v29, s41
	v_add_co_u32_e32 v64, vcc, s40, v80
	v_addc_co_u32_e32 v65, vcc, v29, v81, vcc
	s_waitcnt vmcnt(1)
	global_store_dwordx2 v[64:65], v[68:69], off
	s_or_b64 exec, exec, s[90:91]
	s_and_saveexec_b64 s[90:91], s[22:23]
	s_cbranch_execz .LBB90_109
.LBB90_143:                             ;   in Loop: Header=BB90_21 Depth=1
	v_mov_b32_e32 v29, s43
	v_add_co_u32_e32 v31, vcc, s42, v32
	v_addc_co_u32_e32 v64, vcc, v29, v33, vcc
	v_add_co_u32_e32 v31, vcc, s95, v31
	v_addc_co_u32_e32 v64, vcc, 0, v64, vcc
	;; [unrolled: 2-line block ×4, first 2 shown]
	v_cndmask_b32_e64 v65, v29, v64, s[0:1]
	v_cndmask_b32_e64 v64, v68, v31, s[0:1]
	global_load_dwordx2 v[64:65], v[64:65], off
	v_add_co_u32_e32 v29, vcc, 0, v16
	v_addc_co_u32_e32 v31, vcc, v3, v5, vcc
	v_add_co_u32_e32 v68, vcc, 0, v29
	v_addc_co_u32_e32 v69, vcc, 64, v31, vcc
	v_ashrrev_i64 v[68:69], 29, v[68:69]
	v_mov_b32_e32 v29, s5
	v_add_co_u32_e32 v80, vcc, s4, v68
	v_addc_co_u32_e32 v81, vcc, v29, v69, vcc
	global_store_dwordx2 v[80:81], v[66:67], off
	v_mov_b32_e32 v29, s41
	v_add_co_u32_e32 v66, vcc, s40, v68
	v_addc_co_u32_e32 v67, vcc, v29, v69, vcc
	s_waitcnt vmcnt(1)
	global_store_dwordx2 v[66:67], v[64:65], off
	s_or_b64 exec, exec, s[90:91]
	s_and_saveexec_b64 s[90:91], s[24:25]
	s_cbranch_execz .LBB90_110
.LBB90_144:                             ;   in Loop: Header=BB90_21 Depth=1
	v_mov_b32_e32 v29, s43
	v_add_co_u32_e32 v31, vcc, s42, v32
	v_addc_co_u32_e32 v64, vcc, v29, v33, vcc
	v_add_co_u32_e32 v31, vcc, s94, v31
	v_addc_co_u32_e32 v64, vcc, 0, v64, vcc
	;; [unrolled: 2-line block ×4, first 2 shown]
	v_cndmask_b32_e64 v65, v29, v64, s[0:1]
	v_cndmask_b32_e64 v64, v66, v31, s[0:1]
	global_load_dwordx2 v[64:65], v[64:65], off
	v_add_co_u32_e32 v29, vcc, 0, v16
	v_addc_co_u32_e32 v31, vcc, v3, v5, vcc
	v_add_co_u32_e32 v66, vcc, 0, v29
	v_addc_co_u32_e32 v67, vcc, v31, v1, vcc
	v_ashrrev_i64 v[66:67], 29, v[66:67]
	v_mov_b32_e32 v29, s5
	v_add_co_u32_e32 v68, vcc, s4, v66
	v_addc_co_u32_e32 v69, vcc, v29, v67, vcc
	v_mov_b32_e32 v29, s41
	v_add_co_u32_e32 v66, vcc, s40, v66
	v_addc_co_u32_e32 v67, vcc, v29, v67, vcc
	global_store_dwordx2 v[68:69], v[70:71], off
	s_waitcnt vmcnt(1)
	global_store_dwordx2 v[66:67], v[64:65], off
	s_or_b64 exec, exec, s[90:91]
	s_and_saveexec_b64 s[90:91], s[26:27]
	s_cbranch_execz .LBB90_111
.LBB90_145:                             ;   in Loop: Header=BB90_21 Depth=1
	v_mov_b32_e32 v29, s43
	v_add_co_u32_e32 v31, vcc, s42, v32
	v_addc_co_u32_e32 v64, vcc, v29, v33, vcc
	v_add_co_u32_e32 v31, vcc, s93, v31
	v_addc_co_u32_e32 v64, vcc, 0, v64, vcc
	;; [unrolled: 2-line block ×4, first 2 shown]
	v_cndmask_b32_e64 v65, v29, v64, s[0:1]
	v_cndmask_b32_e64 v64, v66, v31, s[0:1]
	global_load_dwordx2 v[64:65], v[64:65], off
	v_add_co_u32_e32 v29, vcc, 0, v16
	v_addc_co_u32_e32 v31, vcc, v3, v5, vcc
	v_add_co_u32_e32 v66, vcc, 0, v29
	v_addc_co_u32_e32 v67, vcc, v31, v21, vcc
	v_ashrrev_i64 v[66:67], 29, v[66:67]
	v_mov_b32_e32 v29, s5
	v_add_co_u32_e32 v68, vcc, s4, v66
	v_addc_co_u32_e32 v69, vcc, v29, v67, vcc
	v_mov_b32_e32 v29, s41
	v_add_co_u32_e32 v66, vcc, s40, v66
	v_addc_co_u32_e32 v67, vcc, v29, v67, vcc
	global_store_dwordx2 v[68:69], v[72:73], off
	s_waitcnt vmcnt(1)
	global_store_dwordx2 v[66:67], v[64:65], off
	s_or_b64 exec, exec, s[90:91]
	s_and_saveexec_b64 s[90:91], s[28:29]
	s_cbranch_execz .LBB90_112
.LBB90_146:                             ;   in Loop: Header=BB90_21 Depth=1
	v_mov_b32_e32 v29, s43
	v_add_co_u32_e32 v31, vcc, s42, v32
	v_addc_co_u32_e32 v64, vcc, v29, v33, vcc
	v_add_co_u32_e32 v31, vcc, s92, v31
	v_addc_co_u32_e32 v64, vcc, 0, v64, vcc
	;; [unrolled: 2-line block ×4, first 2 shown]
	v_cndmask_b32_e64 v65, v29, v64, s[0:1]
	v_cndmask_b32_e64 v64, v66, v31, s[0:1]
	global_load_dwordx2 v[64:65], v[64:65], off
	v_add_co_u32_e32 v29, vcc, 0, v16
	v_addc_co_u32_e32 v31, vcc, v3, v5, vcc
	v_add_co_u32_e32 v66, vcc, 0, v29
	v_addc_co_u32_e32 v67, vcc, v31, v23, vcc
	v_ashrrev_i64 v[66:67], 29, v[66:67]
	v_mov_b32_e32 v29, s5
	v_add_co_u32_e32 v68, vcc, s4, v66
	v_addc_co_u32_e32 v69, vcc, v29, v67, vcc
	v_mov_b32_e32 v29, s41
	v_add_co_u32_e32 v66, vcc, s40, v66
	v_addc_co_u32_e32 v67, vcc, v29, v67, vcc
	global_store_dwordx2 v[68:69], v[74:75], off
	s_waitcnt vmcnt(1)
	global_store_dwordx2 v[66:67], v[64:65], off
	s_or_b64 exec, exec, s[90:91]
	s_and_saveexec_b64 s[90:91], s[30:31]
	s_cbranch_execz .LBB90_113
.LBB90_147:                             ;   in Loop: Header=BB90_21 Depth=1
	v_mov_b32_e32 v29, s43
	v_add_co_u32_e32 v31, vcc, s42, v32
	v_addc_co_u32_e32 v64, vcc, v29, v33, vcc
	v_add_co_u32_e32 v31, vcc, s33, v31
	v_addc_co_u32_e32 v64, vcc, 0, v64, vcc
	;; [unrolled: 2-line block ×4, first 2 shown]
	v_cndmask_b32_e64 v65, v29, v64, s[0:1]
	v_cndmask_b32_e64 v64, v66, v31, s[0:1]
	global_load_dwordx2 v[64:65], v[64:65], off
	v_add_co_u32_e32 v29, vcc, 0, v16
	v_addc_co_u32_e32 v31, vcc, v3, v5, vcc
	v_add_co_u32_e32 v66, vcc, 0, v29
	v_addc_co_u32_e32 v67, vcc, v31, v25, vcc
	v_ashrrev_i64 v[66:67], 29, v[66:67]
	v_mov_b32_e32 v29, s5
	v_add_co_u32_e32 v68, vcc, s4, v66
	v_addc_co_u32_e32 v69, vcc, v29, v67, vcc
	v_mov_b32_e32 v29, s41
	v_add_co_u32_e32 v66, vcc, s40, v66
	v_addc_co_u32_e32 v67, vcc, v29, v67, vcc
	global_store_dwordx2 v[68:69], v[76:77], off
	s_waitcnt vmcnt(1)
	global_store_dwordx2 v[66:67], v[64:65], off
	s_or_b64 exec, exec, s[90:91]
	s_and_saveexec_b64 s[90:91], s[16:17]
	s_cbranch_execz .LBB90_20
.LBB90_148:                             ;   in Loop: Header=BB90_21 Depth=1
	v_cndmask_b32_e64 v31, v62, v32, s[0:1]
	v_cndmask_b32_e64 v29, v63, v33, s[0:1]
	v_mov_b32_e32 v65, s43
	v_add_co_u32_e32 v64, vcc, s42, v31
	v_addc_co_u32_e32 v65, vcc, v65, v29, vcc
	global_load_dwordx2 v[64:65], v[64:65], off offset:1792
	v_add_co_u32_e32 v29, vcc, 0, v16
	v_addc_co_u32_e32 v31, vcc, v3, v5, vcc
	v_add_co_u32_e32 v66, vcc, 0, v29
	v_addc_co_u32_e32 v67, vcc, v31, v27, vcc
	v_ashrrev_i64 v[66:67], 29, v[66:67]
	v_mov_b32_e32 v29, s5
	v_add_co_u32_e32 v68, vcc, s4, v66
	v_addc_co_u32_e32 v69, vcc, v29, v67, vcc
	v_mov_b32_e32 v29, s41
	v_add_co_u32_e32 v66, vcc, s40, v66
	v_addc_co_u32_e32 v67, vcc, v29, v67, vcc
	global_store_dwordx2 v[68:69], v[78:79], off
	s_waitcnt vmcnt(1)
	global_store_dwordx2 v[66:67], v[64:65], off
	s_branch .LBB90_20
.LBB90_149:
	s_endpgm
	.section	.rodata,"a",@progbits
	.p2align	6, 0x0
	.amdhsa_kernel _ZN9rocsparseL35bsr2csr_block_per_row_33_256_kernelILj1024ELj256ELj32ElilEEv20rocsparse_direction_T4_S2_21rocsparse_index_base_PKT2_PKT3_PKS2_S2_S3_PS4_PS7_PS2_
		.amdhsa_group_segment_fixed_size 0
		.amdhsa_private_segment_fixed_size 0
		.amdhsa_kernarg_size 96
		.amdhsa_user_sgpr_count 6
		.amdhsa_user_sgpr_private_segment_buffer 1
		.amdhsa_user_sgpr_dispatch_ptr 0
		.amdhsa_user_sgpr_queue_ptr 0
		.amdhsa_user_sgpr_kernarg_segment_ptr 1
		.amdhsa_user_sgpr_dispatch_id 0
		.amdhsa_user_sgpr_flat_scratch_init 0
		.amdhsa_user_sgpr_kernarg_preload_length 0
		.amdhsa_user_sgpr_kernarg_preload_offset 0
		.amdhsa_user_sgpr_private_segment_size 0
		.amdhsa_uses_dynamic_stack 0
		.amdhsa_system_sgpr_private_segment_wavefront_offset 0
		.amdhsa_system_sgpr_workgroup_id_x 1
		.amdhsa_system_sgpr_workgroup_id_y 0
		.amdhsa_system_sgpr_workgroup_id_z 0
		.amdhsa_system_sgpr_workgroup_info 0
		.amdhsa_system_vgpr_workitem_id 0
		.amdhsa_next_free_vgpr 87
		.amdhsa_next_free_sgpr 96
		.amdhsa_accum_offset 88
		.amdhsa_reserve_vcc 1
		.amdhsa_reserve_flat_scratch 0
		.amdhsa_float_round_mode_32 0
		.amdhsa_float_round_mode_16_64 0
		.amdhsa_float_denorm_mode_32 3
		.amdhsa_float_denorm_mode_16_64 3
		.amdhsa_dx10_clamp 1
		.amdhsa_ieee_mode 1
		.amdhsa_fp16_overflow 0
		.amdhsa_tg_split 0
		.amdhsa_exception_fp_ieee_invalid_op 0
		.amdhsa_exception_fp_denorm_src 0
		.amdhsa_exception_fp_ieee_div_zero 0
		.amdhsa_exception_fp_ieee_overflow 0
		.amdhsa_exception_fp_ieee_underflow 0
		.amdhsa_exception_fp_ieee_inexact 0
		.amdhsa_exception_int_div_zero 0
	.end_amdhsa_kernel
	.section	.text._ZN9rocsparseL35bsr2csr_block_per_row_33_256_kernelILj1024ELj256ELj32ElilEEv20rocsparse_direction_T4_S2_21rocsparse_index_base_PKT2_PKT3_PKS2_S2_S3_PS4_PS7_PS2_,"axG",@progbits,_ZN9rocsparseL35bsr2csr_block_per_row_33_256_kernelILj1024ELj256ELj32ElilEEv20rocsparse_direction_T4_S2_21rocsparse_index_base_PKT2_PKT3_PKS2_S2_S3_PS4_PS7_PS2_,comdat
.Lfunc_end90:
	.size	_ZN9rocsparseL35bsr2csr_block_per_row_33_256_kernelILj1024ELj256ELj32ElilEEv20rocsparse_direction_T4_S2_21rocsparse_index_base_PKT2_PKT3_PKS2_S2_S3_PS4_PS7_PS2_, .Lfunc_end90-_ZN9rocsparseL35bsr2csr_block_per_row_33_256_kernelILj1024ELj256ELj32ElilEEv20rocsparse_direction_T4_S2_21rocsparse_index_base_PKT2_PKT3_PKS2_S2_S3_PS4_PS7_PS2_
                                        ; -- End function
	.section	.AMDGPU.csdata,"",@progbits
; Kernel info:
; codeLenInByte = 12812
; NumSgprs: 100
; NumVgprs: 87
; NumAgprs: 0
; TotalNumVgprs: 87
; ScratchSize: 0
; MemoryBound: 0
; FloatMode: 240
; IeeeMode: 1
; LDSByteSize: 0 bytes/workgroup (compile time only)
; SGPRBlocks: 12
; VGPRBlocks: 10
; NumSGPRsForWavesPerEU: 100
; NumVGPRsForWavesPerEU: 87
; AccumOffset: 88
; Occupancy: 5
; WaveLimiterHint : 1
; COMPUTE_PGM_RSRC2:SCRATCH_EN: 0
; COMPUTE_PGM_RSRC2:USER_SGPR: 6
; COMPUTE_PGM_RSRC2:TRAP_HANDLER: 0
; COMPUTE_PGM_RSRC2:TGID_X_EN: 1
; COMPUTE_PGM_RSRC2:TGID_Y_EN: 0
; COMPUTE_PGM_RSRC2:TGID_Z_EN: 0
; COMPUTE_PGM_RSRC2:TIDIG_COMP_CNT: 0
; COMPUTE_PGM_RSRC3_GFX90A:ACCUM_OFFSET: 21
; COMPUTE_PGM_RSRC3_GFX90A:TG_SPLIT: 0
	.section	.text._ZN9rocsparseL35bsr2csr_block_dim_equals_one_kernelILj1024ElllEEvT2_S1_21rocsparse_index_base_PKT0_PKT1_PKS1_S2_PS3_PS6_PS1_,"axG",@progbits,_ZN9rocsparseL35bsr2csr_block_dim_equals_one_kernelILj1024ElllEEvT2_S1_21rocsparse_index_base_PKT0_PKT1_PKS1_S2_PS3_PS6_PS1_,comdat
	.globl	_ZN9rocsparseL35bsr2csr_block_dim_equals_one_kernelILj1024ElllEEvT2_S1_21rocsparse_index_base_PKT0_PKT1_PKS1_S2_PS3_PS6_PS1_ ; -- Begin function _ZN9rocsparseL35bsr2csr_block_dim_equals_one_kernelILj1024ElllEEvT2_S1_21rocsparse_index_base_PKT0_PKT1_PKS1_S2_PS3_PS6_PS1_
	.p2align	8
	.type	_ZN9rocsparseL35bsr2csr_block_dim_equals_one_kernelILj1024ElllEEvT2_S1_21rocsparse_index_base_PKT0_PKT1_PKS1_S2_PS3_PS6_PS1_,@function
_ZN9rocsparseL35bsr2csr_block_dim_equals_one_kernelILj1024ElllEEvT2_S1_21rocsparse_index_base_PKT0_PKT1_PKS1_S2_PS3_PS6_PS1_: ; @_ZN9rocsparseL35bsr2csr_block_dim_equals_one_kernelILj1024ElllEEvT2_S1_21rocsparse_index_base_PKT0_PKT1_PKS1_S2_PS3_PS6_PS1_
; %bb.0:
	v_lshl_or_b32 v0, s6, 10, v0
	v_mov_b32_e32 v1, 0
	s_load_dwordx2 s[14:15], s[4:5], 0x0
	s_load_dword s22, s[4:5], 0x10
	s_load_dwordx4 s[0:3], s[4:5], 0x18
	s_load_dwordx2 s[8:9], s[4:5], 0x28
	s_load_dword s23, s[4:5], 0x30
	s_load_dwordx2 s[10:11], s[4:5], 0x48
	s_load_dwordx2 s[12:13], s[4:5], 0x38
	s_waitcnt lgkmcnt(0)
	v_cmp_gt_i64_e32 vcc, s[14:15], v[0:1]
	s_and_saveexec_b64 s[6:7], vcc
	s_cbranch_execz .LBB91_6
; %bb.1:
	s_load_dwordx2 s[16:17], s[4:5], 0x40
	v_cmp_ne_u32_e32 vcc, 0, v0
                                        ; implicit-def: $sgpr20_sgpr21
	s_and_saveexec_b64 s[18:19], vcc
	s_xor_b64 s[18:19], exec, s[18:19]
; %bb.2:
	s_sub_u32 s20, s23, s22
	s_subb_u32 s21, 0, 0
; %bb.3:
	s_or_saveexec_b64 s[18:19], s[18:19]
	v_pk_mov_b32 v[2:3], s[20:21], s[20:21] op_sel:[0,1]
	s_xor_b64 exec, exec, s[18:19]
	s_cbranch_execz .LBB91_5
; %bb.4:
	s_load_dwordx2 s[20:21], s[2:3], 0x0
	s_sub_u32 s24, s23, s22
	s_subb_u32 s25, 0, 0
	v_mov_b32_e32 v4, 0
	s_waitcnt lgkmcnt(0)
	s_add_u32 s20, s24, s20
	s_addc_u32 s21, s25, s21
	v_pk_mov_b32 v[2:3], s[20:21], s[20:21] op_sel:[0,1]
	global_store_dwordx2 v4, v[2:3], s[16:17]
	v_pk_mov_b32 v[2:3], s[24:25], s[24:25] op_sel:[0,1]
.LBB91_5:
	s_or_b64 exec, exec, s[18:19]
	v_lshlrev_b64 v[4:5], 3, v[0:1]
	v_mov_b32_e32 v7, s3
	v_add_co_u32_e32 v6, vcc, s2, v4
	v_addc_co_u32_e32 v7, vcc, v7, v5, vcc
	global_load_dwordx2 v[6:7], v[6:7], off offset:8
	s_waitcnt lgkmcnt(0)
	v_mov_b32_e32 v8, s17
	s_waitcnt vmcnt(0)
	v_add_co_u32_e32 v2, vcc, v2, v6
	v_addc_co_u32_e32 v3, vcc, v3, v7, vcc
	v_add_co_u32_e32 v4, vcc, s16, v4
	v_addc_co_u32_e32 v5, vcc, v8, v5, vcc
	global_store_dwordx2 v[4:5], v[2:3], off offset:8
.LBB91_6:
	s_or_b64 exec, exec, s[6:7]
	s_lshl_b64 s[6:7], s[14:15], 3
	s_add_u32 s6, s2, s6
	s_addc_u32 s7, s3, s7
	s_load_dwordx2 s[14:15], s[6:7], 0x0
	s_load_dwordx2 s[16:17], s[2:3], 0x0
	s_waitcnt lgkmcnt(0)
	s_sub_u32 s2, s14, s16
	s_subb_u32 s3, s15, s17
	v_cmp_gt_i64_e32 vcc, s[2:3], v[0:1]
	s_and_saveexec_b64 s[6:7], vcc
	s_cbranch_execz .LBB91_9
; %bb.7:
	s_load_dword s4, s[4:5], 0x50
	s_sub_u32 s16, s23, s22
	s_mov_b32 s5, 0
	s_subb_u32 s17, 0, 0
	v_lshlrev_b64 v[2:3], 3, v[0:1]
	s_waitcnt lgkmcnt(0)
	s_lshl_b32 s4, s4, 10
	s_lshl_b64 s[6:7], s[4:5], 3
	s_mov_b64 s[14:15], 0
	v_mov_b32_e32 v4, s9
	v_mov_b32_e32 v5, s17
	;; [unrolled: 1-line block ×7, first 2 shown]
.LBB91_8:                               ; =>This Inner Loop Header: Depth=1
	v_add_co_u32_e32 v12, vcc, s8, v2
	v_addc_co_u32_e32 v13, vcc, v4, v3, vcc
	v_add_co_u32_e32 v14, vcc, s0, v2
	v_addc_co_u32_e32 v15, vcc, v7, v3, vcc
	global_load_dwordx2 v[16:17], v[12:13], off
	global_load_dwordx2 v[18:19], v[14:15], off
	v_add_co_u32_e32 v12, vcc, s10, v2
	v_addc_co_u32_e32 v13, vcc, v6, v3, vcc
	v_add_co_u32_e32 v14, vcc, s12, v2
	v_addc_co_u32_e32 v15, vcc, v8, v3, vcc
	;; [unrolled: 2-line block ×4, first 2 shown]
	v_cmp_le_i64_e32 vcc, s[2:3], v[0:1]
	s_or_b64 s[14:15], vcc, s[14:15]
	s_waitcnt vmcnt(1)
	v_add_co_u32_e32 v16, vcc, s16, v16
	v_addc_co_u32_e32 v17, vcc, v5, v17, vcc
	s_waitcnt vmcnt(0)
	global_store_dwordx2 v[14:15], v[18:19], off
	global_store_dwordx2 v[12:13], v[16:17], off
	s_andn2_b64 exec, exec, s[14:15]
	s_cbranch_execnz .LBB91_8
.LBB91_9:
	s_endpgm
	.section	.rodata,"a",@progbits
	.p2align	6, 0x0
	.amdhsa_kernel _ZN9rocsparseL35bsr2csr_block_dim_equals_one_kernelILj1024ElllEEvT2_S1_21rocsparse_index_base_PKT0_PKT1_PKS1_S2_PS3_PS6_PS1_
		.amdhsa_group_segment_fixed_size 0
		.amdhsa_private_segment_fixed_size 0
		.amdhsa_kernarg_size 336
		.amdhsa_user_sgpr_count 6
		.amdhsa_user_sgpr_private_segment_buffer 1
		.amdhsa_user_sgpr_dispatch_ptr 0
		.amdhsa_user_sgpr_queue_ptr 0
		.amdhsa_user_sgpr_kernarg_segment_ptr 1
		.amdhsa_user_sgpr_dispatch_id 0
		.amdhsa_user_sgpr_flat_scratch_init 0
		.amdhsa_user_sgpr_kernarg_preload_length 0
		.amdhsa_user_sgpr_kernarg_preload_offset 0
		.amdhsa_user_sgpr_private_segment_size 0
		.amdhsa_uses_dynamic_stack 0
		.amdhsa_system_sgpr_private_segment_wavefront_offset 0
		.amdhsa_system_sgpr_workgroup_id_x 1
		.amdhsa_system_sgpr_workgroup_id_y 0
		.amdhsa_system_sgpr_workgroup_id_z 0
		.amdhsa_system_sgpr_workgroup_info 0
		.amdhsa_system_vgpr_workitem_id 0
		.amdhsa_next_free_vgpr 20
		.amdhsa_next_free_sgpr 26
		.amdhsa_accum_offset 20
		.amdhsa_reserve_vcc 1
		.amdhsa_reserve_flat_scratch 0
		.amdhsa_float_round_mode_32 0
		.amdhsa_float_round_mode_16_64 0
		.amdhsa_float_denorm_mode_32 3
		.amdhsa_float_denorm_mode_16_64 3
		.amdhsa_dx10_clamp 1
		.amdhsa_ieee_mode 1
		.amdhsa_fp16_overflow 0
		.amdhsa_tg_split 0
		.amdhsa_exception_fp_ieee_invalid_op 0
		.amdhsa_exception_fp_denorm_src 0
		.amdhsa_exception_fp_ieee_div_zero 0
		.amdhsa_exception_fp_ieee_overflow 0
		.amdhsa_exception_fp_ieee_underflow 0
		.amdhsa_exception_fp_ieee_inexact 0
		.amdhsa_exception_int_div_zero 0
	.end_amdhsa_kernel
	.section	.text._ZN9rocsparseL35bsr2csr_block_dim_equals_one_kernelILj1024ElllEEvT2_S1_21rocsparse_index_base_PKT0_PKT1_PKS1_S2_PS3_PS6_PS1_,"axG",@progbits,_ZN9rocsparseL35bsr2csr_block_dim_equals_one_kernelILj1024ElllEEvT2_S1_21rocsparse_index_base_PKT0_PKT1_PKS1_S2_PS3_PS6_PS1_,comdat
.Lfunc_end91:
	.size	_ZN9rocsparseL35bsr2csr_block_dim_equals_one_kernelILj1024ElllEEvT2_S1_21rocsparse_index_base_PKT0_PKT1_PKS1_S2_PS3_PS6_PS1_, .Lfunc_end91-_ZN9rocsparseL35bsr2csr_block_dim_equals_one_kernelILj1024ElllEEvT2_S1_21rocsparse_index_base_PKT0_PKT1_PKS1_S2_PS3_PS6_PS1_
                                        ; -- End function
	.section	.AMDGPU.csdata,"",@progbits
; Kernel info:
; codeLenInByte = 500
; NumSgprs: 30
; NumVgprs: 20
; NumAgprs: 0
; TotalNumVgprs: 20
; ScratchSize: 0
; MemoryBound: 0
; FloatMode: 240
; IeeeMode: 1
; LDSByteSize: 0 bytes/workgroup (compile time only)
; SGPRBlocks: 3
; VGPRBlocks: 2
; NumSGPRsForWavesPerEU: 30
; NumVGPRsForWavesPerEU: 20
; AccumOffset: 20
; Occupancy: 8
; WaveLimiterHint : 0
; COMPUTE_PGM_RSRC2:SCRATCH_EN: 0
; COMPUTE_PGM_RSRC2:USER_SGPR: 6
; COMPUTE_PGM_RSRC2:TRAP_HANDLER: 0
; COMPUTE_PGM_RSRC2:TGID_X_EN: 1
; COMPUTE_PGM_RSRC2:TGID_Y_EN: 0
; COMPUTE_PGM_RSRC2:TGID_Z_EN: 0
; COMPUTE_PGM_RSRC2:TIDIG_COMP_CNT: 0
; COMPUTE_PGM_RSRC3_GFX90A:ACCUM_OFFSET: 4
; COMPUTE_PGM_RSRC3_GFX90A:TG_SPLIT: 0
	.section	.text._ZN9rocsparseL32bsr2csr_block_per_row_2_7_kernelILj256ELj2ElllEEv20rocsparse_direction_T3_S2_21rocsparse_index_base_PKT1_PKT2_PKS2_S2_S3_PS4_PS7_PS2_,"axG",@progbits,_ZN9rocsparseL32bsr2csr_block_per_row_2_7_kernelILj256ELj2ElllEEv20rocsparse_direction_T3_S2_21rocsparse_index_base_PKT1_PKT2_PKS2_S2_S3_PS4_PS7_PS2_,comdat
	.globl	_ZN9rocsparseL32bsr2csr_block_per_row_2_7_kernelILj256ELj2ElllEEv20rocsparse_direction_T3_S2_21rocsparse_index_base_PKT1_PKT2_PKS2_S2_S3_PS4_PS7_PS2_ ; -- Begin function _ZN9rocsparseL32bsr2csr_block_per_row_2_7_kernelILj256ELj2ElllEEv20rocsparse_direction_T3_S2_21rocsparse_index_base_PKT1_PKT2_PKS2_S2_S3_PS4_PS7_PS2_
	.p2align	8
	.type	_ZN9rocsparseL32bsr2csr_block_per_row_2_7_kernelILj256ELj2ElllEEv20rocsparse_direction_T3_S2_21rocsparse_index_base_PKT1_PKT2_PKS2_S2_S3_PS4_PS7_PS2_,@function
_ZN9rocsparseL32bsr2csr_block_per_row_2_7_kernelILj256ELj2ElllEEv20rocsparse_direction_T3_S2_21rocsparse_index_base_PKT1_PKT2_PKS2_S2_S3_PS4_PS7_PS2_: ; @_ZN9rocsparseL32bsr2csr_block_per_row_2_7_kernelILj256ELj2ElllEEv20rocsparse_direction_T3_S2_21rocsparse_index_base_PKT1_PKT2_PKS2_S2_S3_PS4_PS7_PS2_
; %bb.0:
	s_load_dwordx2 s[2:3], s[4:5], 0x28
	s_load_dword s12, s[4:5], 0x40
	s_load_dwordx2 s[0:1], s[4:5], 0x50
	s_mov_b32 s15, 0
	s_mov_b32 s7, s15
	s_lshl_b64 s[8:9], s[6:7], 3
	s_waitcnt lgkmcnt(0)
	s_add_u32 s2, s2, s8
	s_addc_u32 s3, s3, s9
	s_load_dwordx4 s[8:11], s[2:3], 0x0
	v_or_b32_e32 v1, s6, v0
	s_mov_b32 s13, s15
	v_cmp_eq_u32_e32 vcc, 0, v1
	s_and_saveexec_b64 s[2:3], vcc
	s_cbranch_execz .LBB92_2
; %bb.1:
	v_mov_b32_e32 v1, 0
	v_pk_mov_b32 v[2:3], s[12:13], s[12:13] op_sel:[0,1]
	global_store_dwordx2 v1, v[2:3], s[0:1]
.LBB92_2:
	s_or_b64 exec, exec, s[2:3]
	s_load_dword s14, s[4:5], 0x18
	v_and_b32_e32 v16, 1, v0
	v_lshrrev_b32_e32 v4, 1, v0
	v_mov_b32_e32 v6, s1
	s_waitcnt lgkmcnt(0)
	s_sub_u32 s16, s8, s14
	s_subb_u32 s17, s9, 0
	s_sub_u32 s10, s10, s14
	s_subb_u32 s11, s11, 0
	s_lshl_b64 s[18:19], s[16:17], 2
	s_sub_u32 s20, s10, s16
	s_subb_u32 s21, s11, s17
	s_lshl_b64 s[2:3], s[20:21], 1
	v_mov_b32_e32 v0, s20
	s_add_u32 s20, s2, s12
	s_addc_u32 s3, s3, 0
	s_add_u32 s18, s20, s18
	v_alignbit_b32 v0, s21, v0, 31
	s_addc_u32 s19, s3, s19
	s_lshl_b64 s[6:7], s[6:7], 4
	v_mul_lo_u32 v5, v0, v16
	v_pk_mov_b32 v[0:1], s[18:19], s[18:19] op_sel:[0,1]
	v_lshl_or_b32 v2, v16, 3, s6
	v_mad_u64_u32 v[0:1], s[18:19], s2, v16, v[0:1]
	v_mov_b32_e32 v3, s7
	v_add_co_u32_e32 v2, vcc, s0, v2
	v_add_u32_e32 v1, v5, v1
	v_addc_co_u32_e32 v3, vcc, v6, v3, vcc
	global_store_dwordx2 v[2:3], v[0:1], off offset:8
	v_mov_b32_e32 v1, s17
	v_add_co_u32_e32 v0, vcc, s16, v4
	v_addc_co_u32_e32 v1, vcc, 0, v1, vcc
	v_cmp_gt_i64_e32 vcc, s[10:11], v[0:1]
	s_and_saveexec_b64 s[0:1], vcc
	s_cbranch_execz .LBB92_7
; %bb.3:
	s_load_dwordx2 s[18:19], s[4:5], 0x30
	s_load_dwordx2 s[20:21], s[4:5], 0x48
	s_load_dword s3, s[4:5], 0x0
	s_load_dwordx2 s[6:7], s[4:5], 0x20
	s_load_dwordx2 s[22:23], s[4:5], 0x58
	v_lshlrev_b64 v[2:3], 3, v[0:1]
	s_waitcnt lgkmcnt(0)
	v_mov_b32_e32 v7, s19
	s_cmp_eq_u32 s3, 0
	s_cselect_b64 s[0:1], -1, 0
	s_cmp_lg_u32 s3, 0
	s_cselect_b64 s[4:5], -1, 0
	s_add_u32 s16, s6, 16
	v_add_co_u32_e32 v2, vcc, s18, v2
	v_mul_lo_u32 v6, s2, v16
	s_addc_u32 s17, s7, 0
	v_addc_co_u32_e32 v3, vcc, v7, v3, vcc
	s_lshl_b64 s[2:3], s[8:9], 2
	v_mov_b32_e32 v7, s3
	v_add_co_u32_e32 v6, vcc, s2, v6
	v_addc_co_u32_e32 v5, vcc, v5, v7, vcc
	v_lshlrev_b32_e32 v4, 1, v4
	v_add_co_u32_e32 v4, vcc, v6, v4
	v_addc_co_u32_e32 v5, vcc, 0, v5, vcc
	s_lshl_b64 s[2:3], s[14:15], 2
	v_mov_b32_e32 v6, s3
	v_subrev_co_u32_e32 v4, vcc, s2, v4
	v_subb_co_u32_e32 v5, vcc, v5, v6, vcc
	v_lshlrev_b64 v[4:5], 3, v[4:5]
	v_add_co_u32_e32 v10, vcc, 8, v4
	v_addc_co_u32_e32 v11, vcc, 0, v5, vcc
	v_mov_b32_e32 v5, s21
	v_add_co_u32_e32 v4, vcc, s20, v10
	v_addc_co_u32_e32 v5, vcc, v5, v11, vcc
	v_mov_b32_e32 v12, s23
	v_add_co_u32_e32 v10, vcc, s22, v10
	v_addc_co_u32_e32 v11, vcc, v12, v11, vcc
	v_lshlrev_b64 v[12:13], 5, v[0:1]
	v_lshl_or_b32 v12, v16, 4, v12
	v_mov_b32_e32 v17, s7
	v_add_co_u32_e32 v12, vcc, s6, v12
	v_addc_co_u32_e32 v13, vcc, v13, v17, vcc
	v_lshlrev_b64 v[6:7], 2, v[0:1]
	v_add_co_u32_e32 v12, vcc, 8, v12
	v_or_b32_e32 v8, v6, v16
	v_mov_b32_e32 v9, v7
	v_addc_co_u32_e32 v13, vcc, 0, v13, vcc
	v_lshl_or_b32 v6, v16, 1, v6
	s_mov_b64 s[8:9], 0
	v_mov_b32_e32 v18, s15
	v_mov_b32_e32 v19, s13
	s_branch .LBB92_5
.LBB92_4:                               ;   in Loop: Header=BB92_5 Depth=1
	global_load_dwordx2 v[14:15], v[14:15], off
	v_add_co_u32_e32 v0, vcc, 0x80, v0
	v_addc_co_u32_e32 v1, vcc, 0, v1, vcc
	v_add_co_u32_e32 v2, vcc, 0x400, v2
	v_addc_co_u32_e32 v3, vcc, 0, v3, vcc
	v_cmp_le_i64_e32 vcc, s[10:11], v[0:1]
	s_or_b64 s[8:9], vcc, s[8:9]
	s_waitcnt vmcnt(0)
	global_store_dwordx2 v[4:5], v[14:15], off
	v_add_co_u32_e32 v4, vcc, 0x800, v4
	v_addc_co_u32_e32 v5, vcc, 0, v5, vcc
	v_add_co_u32_e32 v8, vcc, 0x200, v8
	v_addc_co_u32_e32 v9, vcc, 0, v9, vcc
	;; [unrolled: 2-line block ×5, first 2 shown]
	s_andn2_b64 exec, exec, s[8:9]
	s_cbranch_execz .LBB92_7
.LBB92_5:                               ; =>This Inner Loop Header: Depth=1
	global_load_dwordx2 v[14:15], v[2:3], off
	v_cndmask_b32_e64 v21, v9, v7, s[0:1]
	v_cndmask_b32_e64 v20, v8, v6, s[0:1]
	v_lshlrev_b64 v[20:21], 3, v[20:21]
	v_add_co_u32_e32 v20, vcc, s6, v20
	v_addc_co_u32_e32 v21, vcc, v17, v21, vcc
	global_load_dwordx2 v[22:23], v[20:21], off
	s_andn2_b64 vcc, exec, s[4:5]
	s_waitcnt vmcnt(1)
	v_subrev_co_u32_e64 v14, s[2:3], s14, v14
	v_subb_co_u32_e64 v15, s[2:3], v15, v18, s[2:3]
	v_lshlrev_b64 v[14:15], 1, v[14:15]
	v_add_co_u32_e64 v20, s[2:3], s12, v14
	v_addc_co_u32_e64 v21, s[2:3], v15, v19, s[2:3]
	s_waitcnt vmcnt(0)
	global_store_dwordx2 v[4:5], v[22:23], off offset:-8
	v_add_co_u32_e64 v22, s[2:3], 1, v20
	v_addc_co_u32_e64 v23, s[2:3], 0, v21, s[2:3]
	v_pk_mov_b32 v[14:15], v[12:13], v[12:13] op_sel:[0,1]
	global_store_dwordx4 v[10:11], v[20:23], off offset:-8
	s_cbranch_vccnz .LBB92_4
; %bb.6:                                ;   in Loop: Header=BB92_5 Depth=1
	v_lshlrev_b64 v[14:15], 5, v[0:1]
	v_lshl_or_b32 v14, v16, 3, v14
	v_mov_b32_e32 v20, s17
	v_add_co_u32_e32 v14, vcc, s16, v14
	v_addc_co_u32_e32 v15, vcc, v20, v15, vcc
	s_branch .LBB92_4
.LBB92_7:
	s_endpgm
	.section	.rodata,"a",@progbits
	.p2align	6, 0x0
	.amdhsa_kernel _ZN9rocsparseL32bsr2csr_block_per_row_2_7_kernelILj256ELj2ElllEEv20rocsparse_direction_T3_S2_21rocsparse_index_base_PKT1_PKT2_PKS2_S2_S3_PS4_PS7_PS2_
		.amdhsa_group_segment_fixed_size 0
		.amdhsa_private_segment_fixed_size 0
		.amdhsa_kernarg_size 96
		.amdhsa_user_sgpr_count 6
		.amdhsa_user_sgpr_private_segment_buffer 1
		.amdhsa_user_sgpr_dispatch_ptr 0
		.amdhsa_user_sgpr_queue_ptr 0
		.amdhsa_user_sgpr_kernarg_segment_ptr 1
		.amdhsa_user_sgpr_dispatch_id 0
		.amdhsa_user_sgpr_flat_scratch_init 0
		.amdhsa_user_sgpr_kernarg_preload_length 0
		.amdhsa_user_sgpr_kernarg_preload_offset 0
		.amdhsa_user_sgpr_private_segment_size 0
		.amdhsa_uses_dynamic_stack 0
		.amdhsa_system_sgpr_private_segment_wavefront_offset 0
		.amdhsa_system_sgpr_workgroup_id_x 1
		.amdhsa_system_sgpr_workgroup_id_y 0
		.amdhsa_system_sgpr_workgroup_id_z 0
		.amdhsa_system_sgpr_workgroup_info 0
		.amdhsa_system_vgpr_workitem_id 0
		.amdhsa_next_free_vgpr 24
		.amdhsa_next_free_sgpr 24
		.amdhsa_accum_offset 24
		.amdhsa_reserve_vcc 1
		.amdhsa_reserve_flat_scratch 0
		.amdhsa_float_round_mode_32 0
		.amdhsa_float_round_mode_16_64 0
		.amdhsa_float_denorm_mode_32 3
		.amdhsa_float_denorm_mode_16_64 3
		.amdhsa_dx10_clamp 1
		.amdhsa_ieee_mode 1
		.amdhsa_fp16_overflow 0
		.amdhsa_tg_split 0
		.amdhsa_exception_fp_ieee_invalid_op 0
		.amdhsa_exception_fp_denorm_src 0
		.amdhsa_exception_fp_ieee_div_zero 0
		.amdhsa_exception_fp_ieee_overflow 0
		.amdhsa_exception_fp_ieee_underflow 0
		.amdhsa_exception_fp_ieee_inexact 0
		.amdhsa_exception_int_div_zero 0
	.end_amdhsa_kernel
	.section	.text._ZN9rocsparseL32bsr2csr_block_per_row_2_7_kernelILj256ELj2ElllEEv20rocsparse_direction_T3_S2_21rocsparse_index_base_PKT1_PKT2_PKS2_S2_S3_PS4_PS7_PS2_,"axG",@progbits,_ZN9rocsparseL32bsr2csr_block_per_row_2_7_kernelILj256ELj2ElllEEv20rocsparse_direction_T3_S2_21rocsparse_index_base_PKT1_PKT2_PKS2_S2_S3_PS4_PS7_PS2_,comdat
.Lfunc_end92:
	.size	_ZN9rocsparseL32bsr2csr_block_per_row_2_7_kernelILj256ELj2ElllEEv20rocsparse_direction_T3_S2_21rocsparse_index_base_PKT1_PKT2_PKS2_S2_S3_PS4_PS7_PS2_, .Lfunc_end92-_ZN9rocsparseL32bsr2csr_block_per_row_2_7_kernelILj256ELj2ElllEEv20rocsparse_direction_T3_S2_21rocsparse_index_base_PKT1_PKT2_PKS2_S2_S3_PS4_PS7_PS2_
                                        ; -- End function
	.section	.AMDGPU.csdata,"",@progbits
; Kernel info:
; codeLenInByte = 824
; NumSgprs: 28
; NumVgprs: 24
; NumAgprs: 0
; TotalNumVgprs: 24
; ScratchSize: 0
; MemoryBound: 0
; FloatMode: 240
; IeeeMode: 1
; LDSByteSize: 0 bytes/workgroup (compile time only)
; SGPRBlocks: 3
; VGPRBlocks: 2
; NumSGPRsForWavesPerEU: 28
; NumVGPRsForWavesPerEU: 24
; AccumOffset: 24
; Occupancy: 8
; WaveLimiterHint : 0
; COMPUTE_PGM_RSRC2:SCRATCH_EN: 0
; COMPUTE_PGM_RSRC2:USER_SGPR: 6
; COMPUTE_PGM_RSRC2:TRAP_HANDLER: 0
; COMPUTE_PGM_RSRC2:TGID_X_EN: 1
; COMPUTE_PGM_RSRC2:TGID_Y_EN: 0
; COMPUTE_PGM_RSRC2:TGID_Z_EN: 0
; COMPUTE_PGM_RSRC2:TIDIG_COMP_CNT: 0
; COMPUTE_PGM_RSRC3_GFX90A:ACCUM_OFFSET: 5
; COMPUTE_PGM_RSRC3_GFX90A:TG_SPLIT: 0
	.section	.text._ZN9rocsparseL32bsr2csr_block_per_row_2_7_kernelILj256ELj3ElllEEv20rocsparse_direction_T3_S2_21rocsparse_index_base_PKT1_PKT2_PKS2_S2_S3_PS4_PS7_PS2_,"axG",@progbits,_ZN9rocsparseL32bsr2csr_block_per_row_2_7_kernelILj256ELj3ElllEEv20rocsparse_direction_T3_S2_21rocsparse_index_base_PKT1_PKT2_PKS2_S2_S3_PS4_PS7_PS2_,comdat
	.globl	_ZN9rocsparseL32bsr2csr_block_per_row_2_7_kernelILj256ELj3ElllEEv20rocsparse_direction_T3_S2_21rocsparse_index_base_PKT1_PKT2_PKS2_S2_S3_PS4_PS7_PS2_ ; -- Begin function _ZN9rocsparseL32bsr2csr_block_per_row_2_7_kernelILj256ELj3ElllEEv20rocsparse_direction_T3_S2_21rocsparse_index_base_PKT1_PKT2_PKS2_S2_S3_PS4_PS7_PS2_
	.p2align	8
	.type	_ZN9rocsparseL32bsr2csr_block_per_row_2_7_kernelILj256ELj3ElllEEv20rocsparse_direction_T3_S2_21rocsparse_index_base_PKT1_PKT2_PKS2_S2_S3_PS4_PS7_PS2_,@function
_ZN9rocsparseL32bsr2csr_block_per_row_2_7_kernelILj256ELj3ElllEEv20rocsparse_direction_T3_S2_21rocsparse_index_base_PKT1_PKT2_PKS2_S2_S3_PS4_PS7_PS2_: ; @_ZN9rocsparseL32bsr2csr_block_per_row_2_7_kernelILj256ELj3ElllEEv20rocsparse_direction_T3_S2_21rocsparse_index_base_PKT1_PKT2_PKS2_S2_S3_PS4_PS7_PS2_
; %bb.0:
	s_load_dwordx2 s[2:3], s[4:5], 0x28
	s_load_dword s12, s[4:5], 0x40
	s_load_dwordx2 s[0:1], s[4:5], 0x50
	s_mov_b32 s7, 0
	s_lshl_b64 s[8:9], s[6:7], 3
	s_waitcnt lgkmcnt(0)
	s_add_u32 s2, s2, s8
	v_or_b32_e32 v1, s6, v0
	s_addc_u32 s3, s3, s9
	v_cmp_eq_u32_e32 vcc, 0, v1
	s_and_saveexec_b64 s[8:9], vcc
	s_cbranch_execz .LBB93_2
; %bb.1:
	v_mov_b32_e32 v2, s12
	v_mov_b32_e32 v3, 0
	global_store_dwordx2 v3, v[2:3], s[0:1]
.LBB93_2:
	s_or_b64 exec, exec, s[8:9]
	v_and_b32_e32 v12, 3, v0
	v_cmp_ne_u32_e32 vcc, 3, v12
	s_and_saveexec_b64 s[8:9], vcc
	s_cbranch_execz .LBB93_6
; %bb.3:
	s_load_dwordx4 s[8:11], s[2:3], 0x0
	s_load_dword s7, s[4:5], 0x18
	v_lshrrev_b32_e32 v8, 2, v0
	v_lshlrev_b32_e32 v0, 3, v12
	s_mov_b32 s2, 0
	s_waitcnt lgkmcnt(0)
	s_sub_u32 s16, s8, s7
	s_subb_u32 s17, s9, 0
	s_sub_u32 s10, s10, s7
	s_mul_i32 s3, s17, 9
	s_mul_hi_u32 s13, s16, 9
	s_subb_u32 s11, s11, 0
	s_add_i32 s15, s13, s3
	s_sub_u32 s3, s10, s16
	s_subb_u32 s13, s11, s17
	s_mul_i32 s13, s13, 3
	s_mul_hi_u32 s18, s3, 3
	s_add_i32 s18, s18, s13
	s_mul_i32 s3, s3, 3
	s_add_u32 s19, s3, s12
	s_mul_i32 s14, s16, 9
	v_mul_lo_u32 v1, s18, v12
	s_addc_u32 s18, s18, 0
	s_add_u32 s14, s19, s14
	s_addc_u32 s15, s18, s15
	v_pk_mov_b32 v[2:3], s[14:15], s[14:15] op_sel:[0,1]
	v_mad_u64_u32 v[2:3], s[14:15], s3, v12, v[2:3]
	s_mul_hi_u32 s14, s6, 24
	s_mul_i32 s6, s6, 24
	s_add_u32 s0, s0, s6
	v_add_u32_e32 v3, v1, v3
	s_addc_u32 s1, s1, s14
	global_store_dwordx2 v0, v[2:3], s[0:1] offset:8
	v_mov_b32_e32 v3, s17
	v_add_co_u32_e32 v2, vcc, s16, v8
	v_addc_co_u32_e32 v3, vcc, 0, v3, vcc
	v_cmp_gt_i64_e32 vcc, s[10:11], v[2:3]
	s_and_b64 exec, exec, vcc
	s_cbranch_execz .LBB93_6
; %bb.4:
	s_load_dwordx2 s[14:15], s[4:5], 0x30
	s_load_dwordx2 s[16:17], s[4:5], 0x48
	;; [unrolled: 1-line block ×3, first 2 shown]
	s_load_dword s6, s[4:5], 0x0
	s_load_dwordx2 s[20:21], s[4:5], 0x58
	v_mad_u64_u32 v[10:11], s[0:1], s3, v12, 0
	s_movk_i32 s3, 0x48
	s_waitcnt lgkmcnt(0)
	v_pk_mov_b32 v[6:7], s[18:19], s[18:19] op_sel:[0,1]
	v_mad_u64_u32 v[6:7], s[4:5], v2, s3, v[6:7]
	v_add_u32_e32 v11, v11, v1
	v_lshlrev_b64 v[4:5], 3, v[2:3]
	v_mov_b32_e32 v14, v7
	v_mov_b32_e32 v1, s15
	v_add_co_u32_e32 v4, vcc, s14, v4
	v_mad_u64_u32 v[14:15], s[4:5], v3, s3, v[14:15]
	v_mad_u64_u32 v[10:11], s[4:5], s8, 9, v[10:11]
	v_addc_co_u32_e32 v5, vcc, v1, v5, vcc
	v_mov_b32_e32 v1, v14
	v_mov_b32_e32 v14, v11
	v_mad_u64_u32 v[14:15], s[4:5], s9, 9, v[14:15]
	v_mov_b32_e32 v11, v14
	v_mad_u64_u32 v[8:9], s[4:5], v8, 3, v[10:11]
	s_mul_hi_u32 s3, s7, 9
	s_mul_i32 s4, s7, 9
	v_mov_b32_e32 v7, s3
	v_subrev_co_u32_e32 v8, vcc, s4, v8
	v_subb_co_u32_e32 v9, vcc, v9, v7, vcc
	v_lshlrev_b64 v[8:9], 3, v[8:9]
	v_add_co_u32_e32 v7, vcc, 8, v8
	v_addc_co_u32_e32 v11, vcc, 0, v9, vcc
	v_mov_b32_e32 v9, s17
	v_add_co_u32_e32 v8, vcc, s16, v7
	v_addc_co_u32_e32 v9, vcc, v9, v11, vcc
	s_cmp_eq_u32 s6, 0
	v_mov_b32_e32 v13, s21
	v_add_co_u32_e32 v10, vcc, s20, v7
	s_mov_b32 s13, s2
	s_cselect_b64 s[0:1], -1, 0
	v_addc_co_u32_e32 v11, vcc, v13, v11, vcc
	v_mul_hi_u32_u24_e32 v7, 24, v12
	v_mul_u32_u24_e32 v12, 24, v12
	s_mov_b64 s[4:5], 0
	v_mov_b32_e32 v13, s2
	s_movk_i32 s6, 0x200
	s_movk_i32 s8, 0x1200
.LBB93_5:                               ; =>This Inner Loop Header: Depth=1
	v_add_co_u32_e32 v16, vcc, v6, v0
	v_addc_co_u32_e32 v17, vcc, 0, v1, vcc
	v_add_co_u32_e32 v20, vcc, v6, v12
	v_addc_co_u32_e32 v21, vcc, v1, v7, vcc
	;; [unrolled: 2-line block ×5, first 2 shown]
	global_load_dwordx2 v[18:19], v[4:5], off
	v_cndmask_b32_e64 v14, v16, v20, s[0:1]
	v_add_co_u32_e32 v16, vcc, 48, v16
	v_cndmask_b32_e64 v15, v17, v21, s[0:1]
	v_addc_co_u32_e32 v17, vcc, 0, v17, vcc
	v_cndmask_b32_e64 v21, v25, v23, s[0:1]
	v_cndmask_b32_e64 v20, v24, v22, s[0:1]
	global_load_dwordx2 v[14:15], v[14:15], off
	v_cndmask_b32_e64 v23, v17, v27, s[0:1]
	v_cndmask_b32_e64 v22, v16, v26, s[0:1]
	global_load_dwordx2 v[16:17], v[20:21], off
	global_load_dwordx2 v[24:25], v[22:23], off
	v_add_co_u32_e32 v2, vcc, 64, v2
	v_addc_co_u32_e32 v3, vcc, 0, v3, vcc
	v_add_co_u32_e32 v4, vcc, s6, v4
	v_addc_co_u32_e32 v5, vcc, 0, v5, vcc
	v_add_co_u32_e32 v6, vcc, s8, v6
	v_addc_co_u32_e32 v1, vcc, 0, v1, vcc
	v_cmp_le_i64_e64 s[2:3], s[10:11], v[2:3]
	s_or_b64 s[4:5], s[2:3], s[4:5]
	s_waitcnt vmcnt(1)
	global_store_dwordx4 v[8:9], v[14:17], off offset:-8
	s_waitcnt vmcnt(1)
	global_store_dwordx2 v[8:9], v[24:25], off offset:8
	v_subrev_co_u32_e32 v18, vcc, s7, v18
	v_subb_co_u32_e32 v19, vcc, v19, v13, vcc
	v_mad_u64_u32 v[20:21], s[2:3], v18, 3, s[12:13]
	v_mov_b32_e32 v22, v21
	v_add_co_u32_e32 v8, vcc, 0x600, v8
	v_mad_u64_u32 v[22:23], s[2:3], v19, 3, v[22:23]
	v_addc_co_u32_e32 v9, vcc, 0, v9, vcc
	v_mov_b32_e32 v18, v20
	v_mov_b32_e32 v15, v22
	v_add_co_u32_e64 v14, s[2:3], 2, v20
	v_add_co_u32_e32 v20, vcc, 1, v20
	v_mov_b32_e32 v19, v22
	v_addc_co_u32_e32 v21, vcc, 0, v15, vcc
	v_addc_co_u32_e64 v15, vcc, 0, v15, s[2:3]
	global_store_dwordx4 v[10:11], v[18:21], off offset:-8
	global_store_dwordx2 v[10:11], v[14:15], off offset:8
	v_add_co_u32_e32 v10, vcc, 0x600, v10
	v_addc_co_u32_e32 v11, vcc, 0, v11, vcc
	s_andn2_b64 exec, exec, s[4:5]
	s_cbranch_execnz .LBB93_5
.LBB93_6:
	s_endpgm
	.section	.rodata,"a",@progbits
	.p2align	6, 0x0
	.amdhsa_kernel _ZN9rocsparseL32bsr2csr_block_per_row_2_7_kernelILj256ELj3ElllEEv20rocsparse_direction_T3_S2_21rocsparse_index_base_PKT1_PKT2_PKS2_S2_S3_PS4_PS7_PS2_
		.amdhsa_group_segment_fixed_size 0
		.amdhsa_private_segment_fixed_size 0
		.amdhsa_kernarg_size 96
		.amdhsa_user_sgpr_count 6
		.amdhsa_user_sgpr_private_segment_buffer 1
		.amdhsa_user_sgpr_dispatch_ptr 0
		.amdhsa_user_sgpr_queue_ptr 0
		.amdhsa_user_sgpr_kernarg_segment_ptr 1
		.amdhsa_user_sgpr_dispatch_id 0
		.amdhsa_user_sgpr_flat_scratch_init 0
		.amdhsa_user_sgpr_kernarg_preload_length 0
		.amdhsa_user_sgpr_kernarg_preload_offset 0
		.amdhsa_user_sgpr_private_segment_size 0
		.amdhsa_uses_dynamic_stack 0
		.amdhsa_system_sgpr_private_segment_wavefront_offset 0
		.amdhsa_system_sgpr_workgroup_id_x 1
		.amdhsa_system_sgpr_workgroup_id_y 0
		.amdhsa_system_sgpr_workgroup_id_z 0
		.amdhsa_system_sgpr_workgroup_info 0
		.amdhsa_system_vgpr_workitem_id 0
		.amdhsa_next_free_vgpr 28
		.amdhsa_next_free_sgpr 22
		.amdhsa_accum_offset 28
		.amdhsa_reserve_vcc 1
		.amdhsa_reserve_flat_scratch 0
		.amdhsa_float_round_mode_32 0
		.amdhsa_float_round_mode_16_64 0
		.amdhsa_float_denorm_mode_32 3
		.amdhsa_float_denorm_mode_16_64 3
		.amdhsa_dx10_clamp 1
		.amdhsa_ieee_mode 1
		.amdhsa_fp16_overflow 0
		.amdhsa_tg_split 0
		.amdhsa_exception_fp_ieee_invalid_op 0
		.amdhsa_exception_fp_denorm_src 0
		.amdhsa_exception_fp_ieee_div_zero 0
		.amdhsa_exception_fp_ieee_overflow 0
		.amdhsa_exception_fp_ieee_underflow 0
		.amdhsa_exception_fp_ieee_inexact 0
		.amdhsa_exception_int_div_zero 0
	.end_amdhsa_kernel
	.section	.text._ZN9rocsparseL32bsr2csr_block_per_row_2_7_kernelILj256ELj3ElllEEv20rocsparse_direction_T3_S2_21rocsparse_index_base_PKT1_PKT2_PKS2_S2_S3_PS4_PS7_PS2_,"axG",@progbits,_ZN9rocsparseL32bsr2csr_block_per_row_2_7_kernelILj256ELj3ElllEEv20rocsparse_direction_T3_S2_21rocsparse_index_base_PKT1_PKT2_PKS2_S2_S3_PS4_PS7_PS2_,comdat
.Lfunc_end93:
	.size	_ZN9rocsparseL32bsr2csr_block_per_row_2_7_kernelILj256ELj3ElllEEv20rocsparse_direction_T3_S2_21rocsparse_index_base_PKT1_PKT2_PKS2_S2_S3_PS4_PS7_PS2_, .Lfunc_end93-_ZN9rocsparseL32bsr2csr_block_per_row_2_7_kernelILj256ELj3ElllEEv20rocsparse_direction_T3_S2_21rocsparse_index_base_PKT1_PKT2_PKS2_S2_S3_PS4_PS7_PS2_
                                        ; -- End function
	.section	.AMDGPU.csdata,"",@progbits
; Kernel info:
; codeLenInByte = 820
; NumSgprs: 26
; NumVgprs: 28
; NumAgprs: 0
; TotalNumVgprs: 28
; ScratchSize: 0
; MemoryBound: 0
; FloatMode: 240
; IeeeMode: 1
; LDSByteSize: 0 bytes/workgroup (compile time only)
; SGPRBlocks: 3
; VGPRBlocks: 3
; NumSGPRsForWavesPerEU: 26
; NumVGPRsForWavesPerEU: 28
; AccumOffset: 28
; Occupancy: 8
; WaveLimiterHint : 0
; COMPUTE_PGM_RSRC2:SCRATCH_EN: 0
; COMPUTE_PGM_RSRC2:USER_SGPR: 6
; COMPUTE_PGM_RSRC2:TRAP_HANDLER: 0
; COMPUTE_PGM_RSRC2:TGID_X_EN: 1
; COMPUTE_PGM_RSRC2:TGID_Y_EN: 0
; COMPUTE_PGM_RSRC2:TGID_Z_EN: 0
; COMPUTE_PGM_RSRC2:TIDIG_COMP_CNT: 0
; COMPUTE_PGM_RSRC3_GFX90A:ACCUM_OFFSET: 6
; COMPUTE_PGM_RSRC3_GFX90A:TG_SPLIT: 0
	.section	.text._ZN9rocsparseL32bsr2csr_block_per_row_2_7_kernelILj256ELj4ElllEEv20rocsparse_direction_T3_S2_21rocsparse_index_base_PKT1_PKT2_PKS2_S2_S3_PS4_PS7_PS2_,"axG",@progbits,_ZN9rocsparseL32bsr2csr_block_per_row_2_7_kernelILj256ELj4ElllEEv20rocsparse_direction_T3_S2_21rocsparse_index_base_PKT1_PKT2_PKS2_S2_S3_PS4_PS7_PS2_,comdat
	.globl	_ZN9rocsparseL32bsr2csr_block_per_row_2_7_kernelILj256ELj4ElllEEv20rocsparse_direction_T3_S2_21rocsparse_index_base_PKT1_PKT2_PKS2_S2_S3_PS4_PS7_PS2_ ; -- Begin function _ZN9rocsparseL32bsr2csr_block_per_row_2_7_kernelILj256ELj4ElllEEv20rocsparse_direction_T3_S2_21rocsparse_index_base_PKT1_PKT2_PKS2_S2_S3_PS4_PS7_PS2_
	.p2align	8
	.type	_ZN9rocsparseL32bsr2csr_block_per_row_2_7_kernelILj256ELj4ElllEEv20rocsparse_direction_T3_S2_21rocsparse_index_base_PKT1_PKT2_PKS2_S2_S3_PS4_PS7_PS2_,@function
_ZN9rocsparseL32bsr2csr_block_per_row_2_7_kernelILj256ELj4ElllEEv20rocsparse_direction_T3_S2_21rocsparse_index_base_PKT1_PKT2_PKS2_S2_S3_PS4_PS7_PS2_: ; @_ZN9rocsparseL32bsr2csr_block_per_row_2_7_kernelILj256ELj4ElllEEv20rocsparse_direction_T3_S2_21rocsparse_index_base_PKT1_PKT2_PKS2_S2_S3_PS4_PS7_PS2_
; %bb.0:
	s_load_dwordx2 s[2:3], s[4:5], 0x28
	s_load_dword s12, s[4:5], 0x40
	s_load_dwordx2 s[0:1], s[4:5], 0x50
	s_mov_b32 s15, 0
	s_mov_b32 s7, s15
	s_lshl_b64 s[8:9], s[6:7], 3
	s_waitcnt lgkmcnt(0)
	s_add_u32 s2, s2, s8
	s_addc_u32 s3, s3, s9
	s_load_dwordx4 s[8:11], s[2:3], 0x0
	v_or_b32_e32 v1, s6, v0
	s_mov_b32 s13, s15
	v_cmp_eq_u32_e32 vcc, 0, v1
	s_and_saveexec_b64 s[2:3], vcc
	s_cbranch_execz .LBB94_2
; %bb.1:
	v_mov_b32_e32 v1, 0
	v_pk_mov_b32 v[2:3], s[12:13], s[12:13] op_sel:[0,1]
	global_store_dwordx2 v1, v[2:3], s[0:1]
.LBB94_2:
	s_or_b64 exec, exec, s[2:3]
	s_load_dword s14, s[4:5], 0x18
	v_and_b32_e32 v20, 3, v0
	v_mov_b32_e32 v6, s1
	v_lshrrev_b32_e32 v0, 2, v0
	s_waitcnt lgkmcnt(0)
	s_sub_u32 s16, s8, s14
	s_subb_u32 s17, s9, 0
	s_sub_u32 s10, s10, s14
	s_subb_u32 s11, s11, 0
	s_lshl_b64 s[18:19], s[16:17], 4
	s_sub_u32 s20, s10, s16
	s_subb_u32 s21, s11, s17
	s_lshl_b64 s[2:3], s[20:21], 2
	v_mov_b32_e32 v1, s20
	s_add_u32 s20, s2, s12
	s_addc_u32 s3, s3, 0
	s_add_u32 s18, s20, s18
	s_addc_u32 s19, s3, s19
	s_lshl_b64 s[6:7], s[6:7], 5
	v_alignbit_b32 v1, s21, v1, 30
	v_pk_mov_b32 v[2:3], s[18:19], s[18:19] op_sel:[0,1]
	v_lshl_or_b32 v4, v20, 3, s6
	v_mul_lo_u32 v1, v1, v20
	v_mad_u64_u32 v[2:3], s[18:19], s2, v20, v[2:3]
	v_mov_b32_e32 v5, s7
	v_add_co_u32_e32 v4, vcc, s0, v4
	v_add_u32_e32 v3, v1, v3
	v_addc_co_u32_e32 v5, vcc, v6, v5, vcc
	global_store_dwordx2 v[4:5], v[2:3], off offset:8
	v_mov_b32_e32 v2, s17
	v_add_co_u32_e32 v4, vcc, s16, v0
	v_addc_co_u32_e32 v5, vcc, 0, v2, vcc
	v_cmp_gt_i64_e32 vcc, s[10:11], v[4:5]
	s_and_saveexec_b64 s[0:1], vcc
	s_cbranch_execz .LBB94_15
; %bb.3:
	s_load_dwordx2 s[24:25], s[4:5], 0x30
	s_load_dwordx2 s[26:27], s[4:5], 0x48
	;; [unrolled: 1-line block ×3, first 2 shown]
	s_load_dword s3, s[4:5], 0x0
	s_load_dwordx2 s[28:29], s[4:5], 0x58
	v_mad_u64_u32 v[2:3], s[0:1], s2, v20, 0
	v_lshlrev_b64 v[6:7], 3, v[4:5]
	s_waitcnt lgkmcnt(0)
	s_cmp_eq_u32 s3, 0
	s_cselect_b64 s[0:1], -1, 0
	s_cmp_lg_u32 s3, 0
	s_cselect_b64 s[16:17], -1, 0
	s_add_u32 s18, s6, 32
	s_addc_u32 s19, s7, 0
	s_add_u32 s20, s6, 64
	s_addc_u32 s21, s7, 0
	v_add_u32_e32 v1, v3, v1
	s_add_u32 s22, s6, 0x60
	v_mov_b32_e32 v3, s25
	v_add_co_u32_e32 v6, vcc, s24, v6
	s_addc_u32 s23, s7, 0
	v_addc_co_u32_e32 v7, vcc, v3, v7, vcc
	s_lshl_b64 s[2:3], s[8:9], 4
	v_mov_b32_e32 v3, s3
	v_add_co_u32_e32 v2, vcc, s2, v2
	v_addc_co_u32_e32 v1, vcc, v1, v3, vcc
	v_lshlrev_b32_e32 v0, 2, v0
	v_add_co_u32_e32 v0, vcc, v2, v0
	v_addc_co_u32_e32 v1, vcc, 0, v1, vcc
	s_lshl_b64 s[2:3], s[14:15], 4
	v_mov_b32_e32 v2, s3
	v_subrev_co_u32_e32 v0, vcc, s2, v0
	v_subb_co_u32_e32 v1, vcc, v1, v2, vcc
	v_lshlrev_b64 v[0:1], 3, v[0:1]
	v_add_co_u32_e32 v2, vcc, 16, v0
	v_addc_co_u32_e32 v3, vcc, 0, v1, vcc
	v_mov_b32_e32 v0, s27
	v_add_co_u32_e32 v12, vcc, s26, v2
	v_addc_co_u32_e32 v13, vcc, v0, v3, vcc
	v_lshlrev_b64 v[0:1], 7, v[4:5]
	v_lshl_or_b32 v0, v20, 5, v0
	v_mov_b32_e32 v21, s7
	v_add_co_u32_e32 v0, vcc, s6, v0
	v_addc_co_u32_e32 v1, vcc, v1, v21, vcc
	v_add_co_u32_e32 v14, vcc, 24, v0
	v_addc_co_u32_e32 v15, vcc, 0, v1, vcc
	v_lshlrev_b64 v[8:9], 4, v[4:5]
	v_mov_b32_e32 v0, s29
	v_add_co_u32_e32 v16, vcc, s28, v2
	v_or_b32_e32 v10, v8, v20
	v_mov_b32_e32 v11, v9
	v_lshl_or_b32 v8, v20, 2, v8
	v_addc_co_u32_e32 v17, vcc, v0, v3, vcc
	s_mov_b64 s[8:9], 0
	v_mov_b32_e32 v22, s15
	v_mov_b32_e32 v23, s13
	v_cndmask_b32_e64 v24, 0, 1, s[16:17]
	s_branch .LBB94_5
.LBB94_4:                               ;   in Loop: Header=BB94_5 Depth=1
	global_load_dwordx2 v[0:1], v[0:1], off
	v_add_co_u32_e32 v4, vcc, 64, v4
	v_addc_co_u32_e32 v5, vcc, 0, v5, vcc
	v_add_co_u32_e32 v6, vcc, 0x200, v6
	v_addc_co_u32_e32 v7, vcc, 0, v7, vcc
	;; [unrolled: 2-line block ×4, first 2 shown]
	v_cmp_le_i64_e64 s[2:3], s[10:11], v[4:5]
	s_or_b64 s[8:9], s[2:3], s[8:9]
	s_waitcnt vmcnt(0)
	global_store_dwordx2 v[12:13], v[0:1], off offset:8
	v_add_co_u32_e32 v12, vcc, 0x800, v12
	v_addc_co_u32_e32 v13, vcc, 0, v13, vcc
	v_add_co_u32_e32 v14, vcc, 0x2000, v14
	v_addc_co_u32_e32 v15, vcc, 0, v15, vcc
	;; [unrolled: 2-line block ×3, first 2 shown]
	s_andn2_b64 exec, exec, s[8:9]
	s_cbranch_execz .LBB94_15
.LBB94_5:                               ; =>This Inner Loop Header: Depth=1
	global_load_dwordx2 v[0:1], v[6:7], off
	v_cndmask_b32_e64 v3, v11, v9, s[0:1]
	v_cndmask_b32_e64 v2, v10, v8, s[0:1]
	v_lshlrev_b64 v[2:3], 3, v[2:3]
	v_add_co_u32_e32 v2, vcc, s6, v2
	v_addc_co_u32_e32 v3, vcc, v21, v3, vcc
	global_load_dwordx2 v[2:3], v[2:3], off
	v_lshlrev_b64 v[18:19], 4, v[4:5]
	v_or_b32_e32 v18, v18, v20
	v_cmp_ne_u32_e64 s[2:3], 1, v24
	s_andn2_b64 vcc, exec, s[16:17]
	s_waitcnt vmcnt(1)
	v_subrev_co_u32_e64 v0, s[4:5], s14, v0
	v_subb_co_u32_e64 v1, s[4:5], v1, v22, s[4:5]
	v_lshlrev_b64 v[0:1], 2, v[0:1]
	v_add_co_u32_e64 v0, s[4:5], s12, v0
	v_addc_co_u32_e64 v1, s[4:5], v1, v23, s[4:5]
	s_waitcnt vmcnt(0)
	global_store_dwordx2 v[12:13], v[2:3], off offset:-16
	v_add_co_u32_e64 v2, s[4:5], 1, v0
	v_addc_co_u32_e64 v3, s[4:5], 0, v1, s[4:5]
	global_store_dwordx4 v[16:17], v[0:3], off offset:-16
	s_nop 0
	v_lshlrev_b64 v[2:3], 3, v[18:19]
	s_cbranch_vccnz .LBB94_7
; %bb.6:                                ;   in Loop: Header=BB94_5 Depth=1
	v_mov_b32_e32 v19, s19
	v_add_co_u32_e32 v18, vcc, s18, v2
	v_addc_co_u32_e32 v19, vcc, v19, v3, vcc
	s_cbranch_execz .LBB94_8
	s_branch .LBB94_9
.LBB94_7:                               ;   in Loop: Header=BB94_5 Depth=1
                                        ; implicit-def: $vgpr18_vgpr19
.LBB94_8:                               ;   in Loop: Header=BB94_5 Depth=1
	v_add_co_u32_e32 v18, vcc, -16, v14
	v_addc_co_u32_e32 v19, vcc, -1, v15, vcc
.LBB94_9:                               ;   in Loop: Header=BB94_5 Depth=1
	global_load_dwordx2 v[18:19], v[18:19], off
	v_add_co_u32_e32 v26, vcc, 2, v0
	v_addc_co_u32_e32 v27, vcc, 0, v1, vcc
	s_and_b64 vcc, exec, s[2:3]
	s_waitcnt vmcnt(0)
	global_store_dwordx2 v[12:13], v[18:19], off offset:-8
	global_store_dwordx2 v[16:17], v[26:27], off
	s_cbranch_vccnz .LBB94_11
; %bb.10:                               ;   in Loop: Header=BB94_5 Depth=1
	v_mov_b32_e32 v19, s21
	v_add_co_u32_e32 v18, vcc, s20, v2
	v_addc_co_u32_e32 v19, vcc, v19, v3, vcc
	s_cbranch_execz .LBB94_12
	s_branch .LBB94_13
.LBB94_11:                              ;   in Loop: Header=BB94_5 Depth=1
                                        ; implicit-def: $vgpr18_vgpr19
.LBB94_12:                              ;   in Loop: Header=BB94_5 Depth=1
	v_add_co_u32_e32 v18, vcc, -8, v14
	v_addc_co_u32_e32 v19, vcc, -1, v15, vcc
.LBB94_13:                              ;   in Loop: Header=BB94_5 Depth=1
	global_load_dwordx2 v[18:19], v[18:19], off
	v_add_co_u32_e32 v0, vcc, 3, v0
	v_addc_co_u32_e32 v1, vcc, 0, v1, vcc
	s_and_b64 vcc, exec, s[2:3]
	global_store_dwordx2 v[16:17], v[0:1], off offset:8
	s_waitcnt vmcnt(1)
	global_store_dwordx2 v[12:13], v[18:19], off
	v_pk_mov_b32 v[0:1], v[14:15], v[14:15] op_sel:[0,1]
	s_cbranch_vccnz .LBB94_4
; %bb.14:                               ;   in Loop: Header=BB94_5 Depth=1
	v_mov_b32_e32 v1, s23
	v_add_co_u32_e32 v0, vcc, s22, v2
	v_addc_co_u32_e32 v1, vcc, v1, v3, vcc
	s_branch .LBB94_4
.LBB94_15:
	s_endpgm
	.section	.rodata,"a",@progbits
	.p2align	6, 0x0
	.amdhsa_kernel _ZN9rocsparseL32bsr2csr_block_per_row_2_7_kernelILj256ELj4ElllEEv20rocsparse_direction_T3_S2_21rocsparse_index_base_PKT1_PKT2_PKS2_S2_S3_PS4_PS7_PS2_
		.amdhsa_group_segment_fixed_size 0
		.amdhsa_private_segment_fixed_size 0
		.amdhsa_kernarg_size 96
		.amdhsa_user_sgpr_count 6
		.amdhsa_user_sgpr_private_segment_buffer 1
		.amdhsa_user_sgpr_dispatch_ptr 0
		.amdhsa_user_sgpr_queue_ptr 0
		.amdhsa_user_sgpr_kernarg_segment_ptr 1
		.amdhsa_user_sgpr_dispatch_id 0
		.amdhsa_user_sgpr_flat_scratch_init 0
		.amdhsa_user_sgpr_kernarg_preload_length 0
		.amdhsa_user_sgpr_kernarg_preload_offset 0
		.amdhsa_user_sgpr_private_segment_size 0
		.amdhsa_uses_dynamic_stack 0
		.amdhsa_system_sgpr_private_segment_wavefront_offset 0
		.amdhsa_system_sgpr_workgroup_id_x 1
		.amdhsa_system_sgpr_workgroup_id_y 0
		.amdhsa_system_sgpr_workgroup_id_z 0
		.amdhsa_system_sgpr_workgroup_info 0
		.amdhsa_system_vgpr_workitem_id 0
		.amdhsa_next_free_vgpr 28
		.amdhsa_next_free_sgpr 30
		.amdhsa_accum_offset 28
		.amdhsa_reserve_vcc 1
		.amdhsa_reserve_flat_scratch 0
		.amdhsa_float_round_mode_32 0
		.amdhsa_float_round_mode_16_64 0
		.amdhsa_float_denorm_mode_32 3
		.amdhsa_float_denorm_mode_16_64 3
		.amdhsa_dx10_clamp 1
		.amdhsa_ieee_mode 1
		.amdhsa_fp16_overflow 0
		.amdhsa_tg_split 0
		.amdhsa_exception_fp_ieee_invalid_op 0
		.amdhsa_exception_fp_denorm_src 0
		.amdhsa_exception_fp_ieee_div_zero 0
		.amdhsa_exception_fp_ieee_overflow 0
		.amdhsa_exception_fp_ieee_underflow 0
		.amdhsa_exception_fp_ieee_inexact 0
		.amdhsa_exception_int_div_zero 0
	.end_amdhsa_kernel
	.section	.text._ZN9rocsparseL32bsr2csr_block_per_row_2_7_kernelILj256ELj4ElllEEv20rocsparse_direction_T3_S2_21rocsparse_index_base_PKT1_PKT2_PKS2_S2_S3_PS4_PS7_PS2_,"axG",@progbits,_ZN9rocsparseL32bsr2csr_block_per_row_2_7_kernelILj256ELj4ElllEEv20rocsparse_direction_T3_S2_21rocsparse_index_base_PKT1_PKT2_PKS2_S2_S3_PS4_PS7_PS2_,comdat
.Lfunc_end94:
	.size	_ZN9rocsparseL32bsr2csr_block_per_row_2_7_kernelILj256ELj4ElllEEv20rocsparse_direction_T3_S2_21rocsparse_index_base_PKT1_PKT2_PKS2_S2_S3_PS4_PS7_PS2_, .Lfunc_end94-_ZN9rocsparseL32bsr2csr_block_per_row_2_7_kernelILj256ELj4ElllEEv20rocsparse_direction_T3_S2_21rocsparse_index_base_PKT1_PKT2_PKS2_S2_S3_PS4_PS7_PS2_
                                        ; -- End function
	.section	.AMDGPU.csdata,"",@progbits
; Kernel info:
; codeLenInByte = 1016
; NumSgprs: 34
; NumVgprs: 28
; NumAgprs: 0
; TotalNumVgprs: 28
; ScratchSize: 0
; MemoryBound: 0
; FloatMode: 240
; IeeeMode: 1
; LDSByteSize: 0 bytes/workgroup (compile time only)
; SGPRBlocks: 4
; VGPRBlocks: 3
; NumSGPRsForWavesPerEU: 34
; NumVGPRsForWavesPerEU: 28
; AccumOffset: 28
; Occupancy: 8
; WaveLimiterHint : 0
; COMPUTE_PGM_RSRC2:SCRATCH_EN: 0
; COMPUTE_PGM_RSRC2:USER_SGPR: 6
; COMPUTE_PGM_RSRC2:TRAP_HANDLER: 0
; COMPUTE_PGM_RSRC2:TGID_X_EN: 1
; COMPUTE_PGM_RSRC2:TGID_Y_EN: 0
; COMPUTE_PGM_RSRC2:TGID_Z_EN: 0
; COMPUTE_PGM_RSRC2:TIDIG_COMP_CNT: 0
; COMPUTE_PGM_RSRC3_GFX90A:ACCUM_OFFSET: 6
; COMPUTE_PGM_RSRC3_GFX90A:TG_SPLIT: 0
	.section	.text._ZN9rocsparseL32bsr2csr_block_per_row_2_7_kernelILj256ELj5ElllEEv20rocsparse_direction_T3_S2_21rocsparse_index_base_PKT1_PKT2_PKS2_S2_S3_PS4_PS7_PS2_,"axG",@progbits,_ZN9rocsparseL32bsr2csr_block_per_row_2_7_kernelILj256ELj5ElllEEv20rocsparse_direction_T3_S2_21rocsparse_index_base_PKT1_PKT2_PKS2_S2_S3_PS4_PS7_PS2_,comdat
	.globl	_ZN9rocsparseL32bsr2csr_block_per_row_2_7_kernelILj256ELj5ElllEEv20rocsparse_direction_T3_S2_21rocsparse_index_base_PKT1_PKT2_PKS2_S2_S3_PS4_PS7_PS2_ ; -- Begin function _ZN9rocsparseL32bsr2csr_block_per_row_2_7_kernelILj256ELj5ElllEEv20rocsparse_direction_T3_S2_21rocsparse_index_base_PKT1_PKT2_PKS2_S2_S3_PS4_PS7_PS2_
	.p2align	8
	.type	_ZN9rocsparseL32bsr2csr_block_per_row_2_7_kernelILj256ELj5ElllEEv20rocsparse_direction_T3_S2_21rocsparse_index_base_PKT1_PKT2_PKS2_S2_S3_PS4_PS7_PS2_,@function
_ZN9rocsparseL32bsr2csr_block_per_row_2_7_kernelILj256ELj5ElllEEv20rocsparse_direction_T3_S2_21rocsparse_index_base_PKT1_PKT2_PKS2_S2_S3_PS4_PS7_PS2_: ; @_ZN9rocsparseL32bsr2csr_block_per_row_2_7_kernelILj256ELj5ElllEEv20rocsparse_direction_T3_S2_21rocsparse_index_base_PKT1_PKT2_PKS2_S2_S3_PS4_PS7_PS2_
; %bb.0:
	s_load_dwordx2 s[2:3], s[4:5], 0x28
	s_load_dword s12, s[4:5], 0x40
	s_load_dwordx2 s[0:1], s[4:5], 0x50
	s_mov_b32 s7, 0
	s_lshl_b64 s[8:9], s[6:7], 3
	s_waitcnt lgkmcnt(0)
	s_add_u32 s2, s2, s8
	v_or_b32_e32 v1, s6, v0
	s_addc_u32 s3, s3, s9
	v_cmp_eq_u32_e32 vcc, 0, v1
	s_and_saveexec_b64 s[8:9], vcc
	s_cbranch_execz .LBB95_2
; %bb.1:
	v_mov_b32_e32 v2, s12
	v_mov_b32_e32 v3, 0
	global_store_dwordx2 v3, v[2:3], s[0:1]
.LBB95_2:
	s_or_b64 exec, exec, s[8:9]
	v_and_b32_e32 v10, 7, v0
	v_cmp_gt_u32_e32 vcc, 5, v10
	s_and_saveexec_b64 s[8:9], vcc
	s_cbranch_execz .LBB95_6
; %bb.3:
	s_load_dwordx4 s[8:11], s[2:3], 0x0
	s_load_dword s14, s[4:5], 0x18
	v_lshrrev_b32_e32 v8, 3, v0
	v_lshlrev_b32_e32 v0, 3, v10
	s_mov_b32 s2, 0
	s_waitcnt lgkmcnt(0)
	s_sub_u32 s7, s8, s14
	s_subb_u32 s15, s9, 0
	s_sub_u32 s10, s10, s14
	s_mul_i32 s3, s15, 25
	s_mul_hi_u32 s13, s7, 25
	s_subb_u32 s11, s11, 0
	s_add_i32 s17, s13, s3
	s_sub_u32 s3, s10, s7
	s_subb_u32 s13, s11, s15
	s_mul_i32 s13, s13, 5
	s_mul_hi_u32 s18, s3, 5
	s_add_i32 s18, s18, s13
	s_mul_i32 s3, s3, 5
	s_add_u32 s19, s3, s12
	s_mul_i32 s16, s7, 25
	v_mul_lo_u32 v1, s18, v10
	s_addc_u32 s18, s18, 0
	s_add_u32 s16, s19, s16
	s_addc_u32 s17, s18, s17
	v_pk_mov_b32 v[2:3], s[16:17], s[16:17] op_sel:[0,1]
	v_mad_u64_u32 v[2:3], s[16:17], s3, v10, v[2:3]
	s_mul_hi_u32 s16, s6, 40
	s_mul_i32 s6, s6, 40
	s_add_u32 s0, s0, s6
	v_add_u32_e32 v3, v1, v3
	s_addc_u32 s1, s1, s16
	global_store_dwordx2 v0, v[2:3], s[0:1] offset:8
	v_mov_b32_e32 v3, s15
	v_add_co_u32_e32 v2, vcc, s7, v8
	v_addc_co_u32_e32 v3, vcc, 0, v3, vcc
	v_cmp_gt_i64_e32 vcc, s[10:11], v[2:3]
	s_and_b64 exec, exec, vcc
	s_cbranch_execz .LBB95_6
; %bb.4:
	s_load_dwordx2 s[6:7], s[4:5], 0x30
	s_load_dwordx2 s[16:17], s[4:5], 0x48
	s_load_dwordx2 s[18:19], s[4:5], 0x20
	s_load_dword s15, s[4:5], 0x0
	s_load_dwordx2 s[20:21], s[4:5], 0x58
	v_mad_u64_u32 v[12:13], s[0:1], s3, v10, 0
	s_movk_i32 s3, 0xc8
	s_waitcnt lgkmcnt(0)
	v_pk_mov_b32 v[6:7], s[18:19], s[18:19] op_sel:[0,1]
	v_mad_u64_u32 v[6:7], s[4:5], v2, s3, v[6:7]
	v_add_u32_e32 v13, v13, v1
	v_lshlrev_b64 v[4:5], 3, v[2:3]
	v_mov_b32_e32 v14, v7
	v_mov_b32_e32 v1, s7
	v_add_co_u32_e32 v4, vcc, s6, v4
	v_mad_u64_u32 v[14:15], s[4:5], v3, s3, v[14:15]
	v_mad_u64_u32 v[12:13], s[4:5], s8, 25, v[12:13]
	v_addc_co_u32_e32 v5, vcc, v1, v5, vcc
	v_mov_b32_e32 v1, v14
	v_mov_b32_e32 v14, v13
	v_mad_u64_u32 v[14:15], s[4:5], s9, 25, v[14:15]
	v_mov_b32_e32 v13, v14
	v_mad_u64_u32 v[8:9], s[4:5], v8, 5, v[12:13]
	s_mul_hi_u32 s3, s14, 25
	s_mul_i32 s4, s14, 25
	v_mov_b32_e32 v7, s3
	v_subrev_co_u32_e32 v8, vcc, s4, v8
	v_subb_co_u32_e32 v9, vcc, v9, v7, vcc
	v_lshlrev_b64 v[8:9], 3, v[8:9]
	v_add_co_u32_e32 v11, vcc, 16, v8
	v_addc_co_u32_e32 v13, vcc, 0, v9, vcc
	v_mov_b32_e32 v7, s17
	v_add_co_u32_e32 v8, vcc, s16, v11
	v_addc_co_u32_e32 v9, vcc, v7, v13, vcc
	s_cmp_eq_u32 s15, 0
	v_mov_b32_e32 v14, s21
	v_add_co_u32_e32 v12, vcc, s20, v11
	s_mov_b32 s13, s2
	s_cselect_b64 s[0:1], -1, 0
	v_mul_hi_u32_u24_e32 v7, 40, v10
	v_mul_u32_u24_e32 v10, 40, v10
	v_addc_co_u32_e32 v13, vcc, v14, v13, vcc
	s_mov_b64 s[8:9], 0
	v_mov_b32_e32 v11, s2
	s_movk_i32 s15, 0x50
	s_movk_i32 s16, 0x78
	;; [unrolled: 1-line block ×5, first 2 shown]
.LBB95_5:                               ; =>This Inner Loop Header: Depth=1
	v_add_co_u32_e32 v16, vcc, v6, v0
	v_addc_co_u32_e32 v17, vcc, 0, v1, vcc
	v_add_co_u32_e32 v18, vcc, v6, v10
	v_addc_co_u32_e32 v19, vcc, v1, v7, vcc
	;; [unrolled: 2-line block ×8, first 2 shown]
	v_cndmask_b32_e64 v14, v16, v18, s[0:1]
	v_add_co_u32_e32 v18, vcc, 32, v18
	v_cndmask_b32_e64 v15, v17, v19, s[0:1]
	v_addc_co_u32_e32 v19, vcc, 0, v19, vcc
	global_load_dwordx2 v[22:23], v[4:5], off
	v_add_co_u32_e32 v16, vcc, s17, v16
	v_addc_co_u32_e32 v17, vcc, 0, v17, vcc
	v_cndmask_b32_e64 v25, v25, v21, s[0:1]
	v_cndmask_b32_e64 v24, v24, v20, s[0:1]
	global_load_dwordx2 v[14:15], v[14:15], off
	v_cndmask_b32_e64 v27, v29, v27, s[0:1]
	v_cndmask_b32_e64 v26, v28, v26, s[0:1]
	;; [unrolled: 1-line block ×6, first 2 shown]
	global_load_dwordx2 v[16:17], v[24:25], off
	global_load_dwordx2 v[18:19], v[26:27], off
	;; [unrolled: 1-line block ×4, first 2 shown]
	v_add_co_u32_e32 v2, vcc, 32, v2
	v_addc_co_u32_e32 v3, vcc, 0, v3, vcc
	v_add_co_u32_e32 v4, vcc, s18, v4
	v_addc_co_u32_e32 v5, vcc, 0, v5, vcc
	;; [unrolled: 2-line block ×3, first 2 shown]
	v_cmp_le_i64_e64 s[2:3], s[10:11], v[2:3]
	s_or_b64 s[8:9], s[2:3], s[8:9]
	s_waitcnt vmcnt(3)
	global_store_dwordx4 v[8:9], v[14:17], off offset:-16
	s_waitcnt vmcnt(2)
	global_store_dwordx4 v[8:9], v[18:21], off
	s_waitcnt vmcnt(2)
	global_store_dwordx2 v[8:9], v[32:33], off offset:16
	v_subrev_co_u32_e32 v22, vcc, s14, v22
	v_subb_co_u32_e32 v23, vcc, v23, v11, vcc
	v_mad_u64_u32 v[24:25], s[2:3], v22, 5, s[12:13]
	v_mov_b32_e32 v26, v25
	v_add_co_u32_e32 v8, vcc, 0x500, v8
	v_mad_u64_u32 v[26:27], s[2:3], v23, 5, v[26:27]
	v_addc_co_u32_e32 v9, vcc, 0, v9, vcc
	v_mov_b32_e32 v22, v24
	v_mov_b32_e32 v19, v26
	v_add_co_u32_e64 v14, s[2:3], 2, v24
	v_add_co_u32_e64 v16, s[4:5], 3, v24
	;; [unrolled: 1-line block ×3, first 2 shown]
	v_add_co_u32_e32 v24, vcc, 1, v24
	v_mov_b32_e32 v23, v26
	v_addc_co_u32_e32 v25, vcc, 0, v19, vcc
	v_addc_co_u32_e64 v15, vcc, 0, v19, s[2:3]
	v_addc_co_u32_e64 v17, vcc, 0, v19, s[4:5]
	;; [unrolled: 1-line block ×3, first 2 shown]
	global_store_dwordx4 v[12:13], v[22:25], off offset:-16
	global_store_dwordx4 v[12:13], v[14:17], off
	global_store_dwordx2 v[12:13], v[18:19], off offset:16
	v_add_co_u32_e32 v12, vcc, 0x500, v12
	v_addc_co_u32_e32 v13, vcc, 0, v13, vcc
	s_andn2_b64 exec, exec, s[8:9]
	s_cbranch_execnz .LBB95_5
.LBB95_6:
	s_endpgm
	.section	.rodata,"a",@progbits
	.p2align	6, 0x0
	.amdhsa_kernel _ZN9rocsparseL32bsr2csr_block_per_row_2_7_kernelILj256ELj5ElllEEv20rocsparse_direction_T3_S2_21rocsparse_index_base_PKT1_PKT2_PKS2_S2_S3_PS4_PS7_PS2_
		.amdhsa_group_segment_fixed_size 0
		.amdhsa_private_segment_fixed_size 0
		.amdhsa_kernarg_size 96
		.amdhsa_user_sgpr_count 6
		.amdhsa_user_sgpr_private_segment_buffer 1
		.amdhsa_user_sgpr_dispatch_ptr 0
		.amdhsa_user_sgpr_queue_ptr 0
		.amdhsa_user_sgpr_kernarg_segment_ptr 1
		.amdhsa_user_sgpr_dispatch_id 0
		.amdhsa_user_sgpr_flat_scratch_init 0
		.amdhsa_user_sgpr_kernarg_preload_length 0
		.amdhsa_user_sgpr_kernarg_preload_offset 0
		.amdhsa_user_sgpr_private_segment_size 0
		.amdhsa_uses_dynamic_stack 0
		.amdhsa_system_sgpr_private_segment_wavefront_offset 0
		.amdhsa_system_sgpr_workgroup_id_x 1
		.amdhsa_system_sgpr_workgroup_id_y 0
		.amdhsa_system_sgpr_workgroup_id_z 0
		.amdhsa_system_sgpr_workgroup_info 0
		.amdhsa_system_vgpr_workitem_id 0
		.amdhsa_next_free_vgpr 34
		.amdhsa_next_free_sgpr 22
		.amdhsa_accum_offset 36
		.amdhsa_reserve_vcc 1
		.amdhsa_reserve_flat_scratch 0
		.amdhsa_float_round_mode_32 0
		.amdhsa_float_round_mode_16_64 0
		.amdhsa_float_denorm_mode_32 3
		.amdhsa_float_denorm_mode_16_64 3
		.amdhsa_dx10_clamp 1
		.amdhsa_ieee_mode 1
		.amdhsa_fp16_overflow 0
		.amdhsa_tg_split 0
		.amdhsa_exception_fp_ieee_invalid_op 0
		.amdhsa_exception_fp_denorm_src 0
		.amdhsa_exception_fp_ieee_div_zero 0
		.amdhsa_exception_fp_ieee_overflow 0
		.amdhsa_exception_fp_ieee_underflow 0
		.amdhsa_exception_fp_ieee_inexact 0
		.amdhsa_exception_int_div_zero 0
	.end_amdhsa_kernel
	.section	.text._ZN9rocsparseL32bsr2csr_block_per_row_2_7_kernelILj256ELj5ElllEEv20rocsparse_direction_T3_S2_21rocsparse_index_base_PKT1_PKT2_PKS2_S2_S3_PS4_PS7_PS2_,"axG",@progbits,_ZN9rocsparseL32bsr2csr_block_per_row_2_7_kernelILj256ELj5ElllEEv20rocsparse_direction_T3_S2_21rocsparse_index_base_PKT1_PKT2_PKS2_S2_S3_PS4_PS7_PS2_,comdat
.Lfunc_end95:
	.size	_ZN9rocsparseL32bsr2csr_block_per_row_2_7_kernelILj256ELj5ElllEEv20rocsparse_direction_T3_S2_21rocsparse_index_base_PKT1_PKT2_PKS2_S2_S3_PS4_PS7_PS2_, .Lfunc_end95-_ZN9rocsparseL32bsr2csr_block_per_row_2_7_kernelILj256ELj5ElllEEv20rocsparse_direction_T3_S2_21rocsparse_index_base_PKT1_PKT2_PKS2_S2_S3_PS4_PS7_PS2_
                                        ; -- End function
	.section	.AMDGPU.csdata,"",@progbits
; Kernel info:
; codeLenInByte = 964
; NumSgprs: 26
; NumVgprs: 34
; NumAgprs: 0
; TotalNumVgprs: 34
; ScratchSize: 0
; MemoryBound: 0
; FloatMode: 240
; IeeeMode: 1
; LDSByteSize: 0 bytes/workgroup (compile time only)
; SGPRBlocks: 3
; VGPRBlocks: 4
; NumSGPRsForWavesPerEU: 26
; NumVGPRsForWavesPerEU: 34
; AccumOffset: 36
; Occupancy: 8
; WaveLimiterHint : 0
; COMPUTE_PGM_RSRC2:SCRATCH_EN: 0
; COMPUTE_PGM_RSRC2:USER_SGPR: 6
; COMPUTE_PGM_RSRC2:TRAP_HANDLER: 0
; COMPUTE_PGM_RSRC2:TGID_X_EN: 1
; COMPUTE_PGM_RSRC2:TGID_Y_EN: 0
; COMPUTE_PGM_RSRC2:TGID_Z_EN: 0
; COMPUTE_PGM_RSRC2:TIDIG_COMP_CNT: 0
; COMPUTE_PGM_RSRC3_GFX90A:ACCUM_OFFSET: 8
; COMPUTE_PGM_RSRC3_GFX90A:TG_SPLIT: 0
	.section	.text._ZN9rocsparseL32bsr2csr_block_per_row_2_7_kernelILj256ELj6ElllEEv20rocsparse_direction_T3_S2_21rocsparse_index_base_PKT1_PKT2_PKS2_S2_S3_PS4_PS7_PS2_,"axG",@progbits,_ZN9rocsparseL32bsr2csr_block_per_row_2_7_kernelILj256ELj6ElllEEv20rocsparse_direction_T3_S2_21rocsparse_index_base_PKT1_PKT2_PKS2_S2_S3_PS4_PS7_PS2_,comdat
	.globl	_ZN9rocsparseL32bsr2csr_block_per_row_2_7_kernelILj256ELj6ElllEEv20rocsparse_direction_T3_S2_21rocsparse_index_base_PKT1_PKT2_PKS2_S2_S3_PS4_PS7_PS2_ ; -- Begin function _ZN9rocsparseL32bsr2csr_block_per_row_2_7_kernelILj256ELj6ElllEEv20rocsparse_direction_T3_S2_21rocsparse_index_base_PKT1_PKT2_PKS2_S2_S3_PS4_PS7_PS2_
	.p2align	8
	.type	_ZN9rocsparseL32bsr2csr_block_per_row_2_7_kernelILj256ELj6ElllEEv20rocsparse_direction_T3_S2_21rocsparse_index_base_PKT1_PKT2_PKS2_S2_S3_PS4_PS7_PS2_,@function
_ZN9rocsparseL32bsr2csr_block_per_row_2_7_kernelILj256ELj6ElllEEv20rocsparse_direction_T3_S2_21rocsparse_index_base_PKT1_PKT2_PKS2_S2_S3_PS4_PS7_PS2_: ; @_ZN9rocsparseL32bsr2csr_block_per_row_2_7_kernelILj256ELj6ElllEEv20rocsparse_direction_T3_S2_21rocsparse_index_base_PKT1_PKT2_PKS2_S2_S3_PS4_PS7_PS2_
; %bb.0:
	s_load_dwordx2 s[2:3], s[4:5], 0x28
	s_load_dword s12, s[4:5], 0x40
	s_load_dwordx2 s[0:1], s[4:5], 0x50
	s_mov_b32 s7, 0
	s_lshl_b64 s[8:9], s[6:7], 3
	s_waitcnt lgkmcnt(0)
	s_add_u32 s2, s2, s8
	v_or_b32_e32 v1, s6, v0
	s_addc_u32 s3, s3, s9
	v_cmp_eq_u32_e32 vcc, 0, v1
	s_and_saveexec_b64 s[8:9], vcc
	s_cbranch_execz .LBB96_2
; %bb.1:
	v_mov_b32_e32 v2, s12
	v_mov_b32_e32 v3, 0
	global_store_dwordx2 v3, v[2:3], s[0:1]
.LBB96_2:
	s_or_b64 exec, exec, s[8:9]
	v_and_b32_e32 v2, 7, v0
	v_cmp_gt_u32_e32 vcc, 6, v2
	s_and_saveexec_b64 s[8:9], vcc
	s_cbranch_execz .LBB96_6
; %bb.3:
	s_load_dwordx4 s[8:11], s[2:3], 0x0
	s_load_dword s16, s[4:5], 0x18
	v_lshrrev_b32_e32 v8, 3, v0
	v_lshlrev_b32_e32 v6, 3, v2
	s_mov_b32 s2, 0
	v_mov_b32_e32 v7, 0
	s_waitcnt lgkmcnt(0)
	s_sub_u32 s7, s8, s16
	s_subb_u32 s17, s9, 0
	s_sub_u32 s10, s10, s16
	s_mul_i32 s3, s17, 36
	s_mul_hi_u32 s13, s7, 36
	s_subb_u32 s11, s11, 0
	s_add_i32 s15, s13, s3
	s_sub_u32 s3, s10, s7
	s_subb_u32 s13, s11, s17
	s_mul_i32 s13, s13, 6
	s_mul_hi_u32 s18, s3, 6
	s_add_i32 s18, s18, s13
	s_mul_i32 s3, s3, 6
	s_add_u32 s19, s3, s12
	s_mul_i32 s14, s7, 36
	v_mul_lo_u32 v3, s18, v2
	s_addc_u32 s18, s18, 0
	s_add_u32 s14, s19, s14
	s_addc_u32 s15, s18, s15
	v_pk_mov_b32 v[0:1], s[14:15], s[14:15] op_sel:[0,1]
	v_mad_u64_u32 v[0:1], s[14:15], s3, v2, v[0:1]
	s_mul_hi_u32 s14, s6, 48
	s_mul_i32 s6, s6, 48
	s_add_u32 s0, s0, s6
	v_add_u32_e32 v1, v3, v1
	s_addc_u32 s1, s1, s14
	global_store_dwordx2 v6, v[0:1], s[0:1] offset:8
	v_mov_b32_e32 v1, s17
	v_add_co_u32_e32 v0, vcc, s7, v8
	v_addc_co_u32_e32 v1, vcc, 0, v1, vcc
	v_cmp_gt_i64_e32 vcc, s[10:11], v[0:1]
	s_and_b64 exec, exec, vcc
	s_cbranch_execz .LBB96_6
; %bb.4:
	v_mad_u64_u32 v[10:11], s[0:1], s3, v2, 0
	s_movk_i32 s3, 0x120
	s_load_dwordx2 s[6:7], s[4:5], 0x30
	s_load_dwordx2 s[14:15], s[4:5], 0x48
	;; [unrolled: 1-line block ×3, first 2 shown]
	s_load_dword s17, s[4:5], 0x0
	s_load_dwordx2 s[20:21], s[4:5], 0x58
	v_mad_u64_u32 v[6:7], s[4:5], v0, s3, v[6:7]
	v_add_u32_e32 v11, v11, v3
	v_mov_b32_e32 v12, v7
	v_lshlrev_b64 v[4:5], 3, v[0:1]
	v_mad_u64_u32 v[12:13], s[4:5], v1, s3, v[12:13]
	v_mad_u64_u32 v[10:11], s[4:5], s8, 36, v[10:11]
	s_waitcnt lgkmcnt(0)
	v_mov_b32_e32 v9, s7
	v_add_co_u32_e32 v4, vcc, s6, v4
	v_mov_b32_e32 v7, v12
	v_mov_b32_e32 v12, v11
	v_addc_co_u32_e32 v5, vcc, v9, v5, vcc
	v_mad_u64_u32 v[12:13], s[4:5], s9, 36, v[12:13]
	v_mov_b32_e32 v9, s19
	v_add_co_u32_e32 v6, vcc, s18, v6
	v_mov_b32_e32 v11, v12
	v_addc_co_u32_e32 v7, vcc, v9, v7, vcc
	v_mad_u64_u32 v[8:9], s[4:5], v8, 6, v[10:11]
	s_mul_hi_u32 s3, s16, 36
	s_mul_i32 s4, s16, 36
	v_mov_b32_e32 v10, s3
	v_subrev_co_u32_e32 v8, vcc, s4, v8
	v_subb_co_u32_e32 v9, vcc, v9, v10, vcc
	v_lshlrev_b64 v[8:9], 3, v[8:9]
	v_add_co_u32_e32 v10, vcc, 24, v8
	v_addc_co_u32_e32 v11, vcc, 0, v9, vcc
	v_mov_b32_e32 v9, s15
	v_add_co_u32_e32 v8, vcc, s14, v10
	v_addc_co_u32_e32 v9, vcc, v9, v11, vcc
	s_cmp_eq_u32 s17, 0
	v_mov_b32_e32 v12, s21
	v_add_co_u32_e32 v10, vcc, s20, v10
	s_mov_b32 s13, s2
	s_cselect_b64 s[0:1], -1, 0
	v_mul_hi_u32_u24_e32 v3, 40, v2
	v_mul_u32_u24_e32 v2, 40, v2
	v_addc_co_u32_e32 v11, vcc, v12, v11, vcc
	s_mov_b64 s[14:15], 0
	v_mov_b32_e32 v12, s2
	s_movk_i32 s17, 0x60
	s_movk_i32 s18, 0x90
	;; [unrolled: 1-line block ×6, first 2 shown]
.LBB96_5:                               ; =>This Inner Loop Header: Depth=1
	v_add_co_u32_e32 v13, vcc, v6, v2
	v_addc_co_u32_e32 v16, vcc, v7, v3, vcc
	v_add_co_u32_e32 v17, vcc, 48, v6
	v_addc_co_u32_e32 v18, vcc, 0, v7, vcc
	;; [unrolled: 2-line block ×10, first 2 shown]
	global_load_dwordx2 v[26:27], v[4:5], off
	v_cndmask_b32_e64 v14, v6, v13, s[0:1]
	v_add_co_u32_e32 v13, vcc, 40, v13
	v_cndmask_b32_e64 v15, v7, v16, s[0:1]
	v_addc_co_u32_e32 v16, vcc, 0, v16, vcc
	v_cndmask_b32_e64 v29, v18, v29, s[0:1]
	v_cndmask_b32_e64 v28, v17, v28, s[0:1]
	global_load_dwordx2 v[14:15], v[14:15], off
	v_cndmask_b32_e64 v31, v20, v31, s[0:1]
	v_cndmask_b32_e64 v30, v19, v30, s[0:1]
	;; [unrolled: 1-line block ×8, first 2 shown]
	global_load_dwordx2 v[16:17], v[28:29], off
	global_load_dwordx2 v[18:19], v[30:31], off
	;; [unrolled: 1-line block ×5, first 2 shown]
	v_add_co_u32_e32 v0, vcc, 32, v0
	v_addc_co_u32_e32 v1, vcc, 0, v1, vcc
	v_add_co_u32_e32 v4, vcc, s21, v4
	v_addc_co_u32_e32 v5, vcc, 0, v5, vcc
	;; [unrolled: 2-line block ×3, first 2 shown]
	v_cmp_le_i64_e64 s[2:3], s[10:11], v[0:1]
	s_or_b64 s[14:15], s[2:3], s[14:15]
	s_waitcnt vmcnt(4)
	global_store_dwordx4 v[8:9], v[14:17], off offset:-24
	s_waitcnt vmcnt(3)
	global_store_dwordx4 v[8:9], v[18:21], off offset:-8
	s_waitcnt vmcnt(2)
	global_store_dwordx4 v[8:9], v[22:25], off offset:8
	v_subrev_co_u32_e32 v13, vcc, s16, v26
	v_subb_co_u32_e32 v27, vcc, v27, v12, vcc
	v_mad_u64_u32 v[28:29], s[2:3], v13, 6, s[12:13]
	v_mov_b32_e32 v30, v29
	v_add_co_u32_e32 v8, vcc, 0x600, v8
	v_mad_u64_u32 v[30:31], s[2:3], v27, 6, v[30:31]
	v_addc_co_u32_e32 v9, vcc, 0, v9, vcc
	v_mov_b32_e32 v26, v28
	v_mov_b32_e32 v13, v30
	v_add_co_u32_e64 v14, s[2:3], 2, v28
	v_add_co_u32_e64 v16, s[4:5], 3, v28
	;; [unrolled: 1-line block ×4, first 2 shown]
	v_add_co_u32_e32 v28, vcc, 1, v28
	v_mov_b32_e32 v27, v30
	v_addc_co_u32_e32 v29, vcc, 0, v13, vcc
	v_addc_co_u32_e64 v15, vcc, 0, v13, s[2:3]
	v_addc_co_u32_e64 v17, vcc, 0, v13, s[4:5]
	;; [unrolled: 1-line block ×4, first 2 shown]
	global_store_dwordx4 v[10:11], v[26:29], off offset:-24
	global_store_dwordx4 v[10:11], v[14:17], off offset:-8
	global_store_dwordx4 v[10:11], v[18:21], off offset:8
	v_add_co_u32_e32 v10, vcc, 0x600, v10
	v_addc_co_u32_e32 v11, vcc, 0, v11, vcc
	s_andn2_b64 exec, exec, s[14:15]
	s_cbranch_execnz .LBB96_5
.LBB96_6:
	s_endpgm
	.section	.rodata,"a",@progbits
	.p2align	6, 0x0
	.amdhsa_kernel _ZN9rocsparseL32bsr2csr_block_per_row_2_7_kernelILj256ELj6ElllEEv20rocsparse_direction_T3_S2_21rocsparse_index_base_PKT1_PKT2_PKS2_S2_S3_PS4_PS7_PS2_
		.amdhsa_group_segment_fixed_size 0
		.amdhsa_private_segment_fixed_size 0
		.amdhsa_kernarg_size 96
		.amdhsa_user_sgpr_count 6
		.amdhsa_user_sgpr_private_segment_buffer 1
		.amdhsa_user_sgpr_dispatch_ptr 0
		.amdhsa_user_sgpr_queue_ptr 0
		.amdhsa_user_sgpr_kernarg_segment_ptr 1
		.amdhsa_user_sgpr_dispatch_id 0
		.amdhsa_user_sgpr_flat_scratch_init 0
		.amdhsa_user_sgpr_kernarg_preload_length 0
		.amdhsa_user_sgpr_kernarg_preload_offset 0
		.amdhsa_user_sgpr_private_segment_size 0
		.amdhsa_uses_dynamic_stack 0
		.amdhsa_system_sgpr_private_segment_wavefront_offset 0
		.amdhsa_system_sgpr_workgroup_id_x 1
		.amdhsa_system_sgpr_workgroup_id_y 0
		.amdhsa_system_sgpr_workgroup_id_z 0
		.amdhsa_system_sgpr_workgroup_info 0
		.amdhsa_system_vgpr_workitem_id 0
		.amdhsa_next_free_vgpr 38
		.amdhsa_next_free_sgpr 23
		.amdhsa_accum_offset 40
		.amdhsa_reserve_vcc 1
		.amdhsa_reserve_flat_scratch 0
		.amdhsa_float_round_mode_32 0
		.amdhsa_float_round_mode_16_64 0
		.amdhsa_float_denorm_mode_32 3
		.amdhsa_float_denorm_mode_16_64 3
		.amdhsa_dx10_clamp 1
		.amdhsa_ieee_mode 1
		.amdhsa_fp16_overflow 0
		.amdhsa_tg_split 0
		.amdhsa_exception_fp_ieee_invalid_op 0
		.amdhsa_exception_fp_denorm_src 0
		.amdhsa_exception_fp_ieee_div_zero 0
		.amdhsa_exception_fp_ieee_overflow 0
		.amdhsa_exception_fp_ieee_underflow 0
		.amdhsa_exception_fp_ieee_inexact 0
		.amdhsa_exception_int_div_zero 0
	.end_amdhsa_kernel
	.section	.text._ZN9rocsparseL32bsr2csr_block_per_row_2_7_kernelILj256ELj6ElllEEv20rocsparse_direction_T3_S2_21rocsparse_index_base_PKT1_PKT2_PKS2_S2_S3_PS4_PS7_PS2_,"axG",@progbits,_ZN9rocsparseL32bsr2csr_block_per_row_2_7_kernelILj256ELj6ElllEEv20rocsparse_direction_T3_S2_21rocsparse_index_base_PKT1_PKT2_PKS2_S2_S3_PS4_PS7_PS2_,comdat
.Lfunc_end96:
	.size	_ZN9rocsparseL32bsr2csr_block_per_row_2_7_kernelILj256ELj6ElllEEv20rocsparse_direction_T3_S2_21rocsparse_index_base_PKT1_PKT2_PKS2_S2_S3_PS4_PS7_PS2_, .Lfunc_end96-_ZN9rocsparseL32bsr2csr_block_per_row_2_7_kernelILj256ELj6ElllEEv20rocsparse_direction_T3_S2_21rocsparse_index_base_PKT1_PKT2_PKS2_S2_S3_PS4_PS7_PS2_
                                        ; -- End function
	.section	.AMDGPU.csdata,"",@progbits
; Kernel info:
; codeLenInByte = 1024
; NumSgprs: 27
; NumVgprs: 38
; NumAgprs: 0
; TotalNumVgprs: 38
; ScratchSize: 0
; MemoryBound: 0
; FloatMode: 240
; IeeeMode: 1
; LDSByteSize: 0 bytes/workgroup (compile time only)
; SGPRBlocks: 3
; VGPRBlocks: 4
; NumSGPRsForWavesPerEU: 27
; NumVGPRsForWavesPerEU: 38
; AccumOffset: 40
; Occupancy: 8
; WaveLimiterHint : 0
; COMPUTE_PGM_RSRC2:SCRATCH_EN: 0
; COMPUTE_PGM_RSRC2:USER_SGPR: 6
; COMPUTE_PGM_RSRC2:TRAP_HANDLER: 0
; COMPUTE_PGM_RSRC2:TGID_X_EN: 1
; COMPUTE_PGM_RSRC2:TGID_Y_EN: 0
; COMPUTE_PGM_RSRC2:TGID_Z_EN: 0
; COMPUTE_PGM_RSRC2:TIDIG_COMP_CNT: 0
; COMPUTE_PGM_RSRC3_GFX90A:ACCUM_OFFSET: 9
; COMPUTE_PGM_RSRC3_GFX90A:TG_SPLIT: 0
	.section	.text._ZN9rocsparseL32bsr2csr_block_per_row_2_7_kernelILj256ELj7ElllEEv20rocsparse_direction_T3_S2_21rocsparse_index_base_PKT1_PKT2_PKS2_S2_S3_PS4_PS7_PS2_,"axG",@progbits,_ZN9rocsparseL32bsr2csr_block_per_row_2_7_kernelILj256ELj7ElllEEv20rocsparse_direction_T3_S2_21rocsparse_index_base_PKT1_PKT2_PKS2_S2_S3_PS4_PS7_PS2_,comdat
	.globl	_ZN9rocsparseL32bsr2csr_block_per_row_2_7_kernelILj256ELj7ElllEEv20rocsparse_direction_T3_S2_21rocsparse_index_base_PKT1_PKT2_PKS2_S2_S3_PS4_PS7_PS2_ ; -- Begin function _ZN9rocsparseL32bsr2csr_block_per_row_2_7_kernelILj256ELj7ElllEEv20rocsparse_direction_T3_S2_21rocsparse_index_base_PKT1_PKT2_PKS2_S2_S3_PS4_PS7_PS2_
	.p2align	8
	.type	_ZN9rocsparseL32bsr2csr_block_per_row_2_7_kernelILj256ELj7ElllEEv20rocsparse_direction_T3_S2_21rocsparse_index_base_PKT1_PKT2_PKS2_S2_S3_PS4_PS7_PS2_,@function
_ZN9rocsparseL32bsr2csr_block_per_row_2_7_kernelILj256ELj7ElllEEv20rocsparse_direction_T3_S2_21rocsparse_index_base_PKT1_PKT2_PKS2_S2_S3_PS4_PS7_PS2_: ; @_ZN9rocsparseL32bsr2csr_block_per_row_2_7_kernelILj256ELj7ElllEEv20rocsparse_direction_T3_S2_21rocsparse_index_base_PKT1_PKT2_PKS2_S2_S3_PS4_PS7_PS2_
; %bb.0:
	s_load_dwordx2 s[2:3], s[4:5], 0x28
	s_load_dword s12, s[4:5], 0x40
	s_load_dwordx2 s[0:1], s[4:5], 0x50
	s_mov_b32 s7, 0
	s_lshl_b64 s[8:9], s[6:7], 3
	s_waitcnt lgkmcnt(0)
	s_add_u32 s2, s2, s8
	v_or_b32_e32 v1, s6, v0
	s_addc_u32 s3, s3, s9
	v_cmp_eq_u32_e32 vcc, 0, v1
	s_and_saveexec_b64 s[8:9], vcc
	s_cbranch_execz .LBB97_2
; %bb.1:
	v_mov_b32_e32 v2, s12
	v_mov_b32_e32 v3, 0
	global_store_dwordx2 v3, v[2:3], s[0:1]
.LBB97_2:
	s_or_b64 exec, exec, s[8:9]
	v_and_b32_e32 v2, 7, v0
	v_cmp_ne_u32_e32 vcc, 7, v2
	s_and_saveexec_b64 s[8:9], vcc
	s_cbranch_execz .LBB97_6
; %bb.3:
	s_load_dwordx4 s[8:11], s[2:3], 0x0
	s_load_dword s18, s[4:5], 0x18
	v_lshrrev_b32_e32 v8, 3, v0
	v_lshlrev_b32_e32 v6, 3, v2
	s_mov_b32 s2, 0
	v_mov_b32_e32 v7, 0
	s_waitcnt lgkmcnt(0)
	s_sub_u32 s7, s8, s18
	s_subb_u32 s16, s9, 0
	s_sub_u32 s14, s10, s18
	s_mul_i32 s3, s16, 49
	s_mul_hi_u32 s10, s7, 49
	s_subb_u32 s15, s11, 0
	s_add_i32 s11, s10, s3
	s_sub_u32 s3, s14, s7
	s_subb_u32 s13, s15, s16
	s_mul_i32 s13, s13, 7
	s_mul_hi_u32 s17, s3, 7
	s_add_i32 s17, s17, s13
	s_mul_i32 s3, s3, 7
	s_add_u32 s19, s3, s12
	s_mul_i32 s10, s7, 49
	v_mul_lo_u32 v3, s17, v2
	s_addc_u32 s17, s17, 0
	s_add_u32 s10, s19, s10
	s_addc_u32 s11, s17, s11
	v_pk_mov_b32 v[0:1], s[10:11], s[10:11] op_sel:[0,1]
	v_mad_u64_u32 v[0:1], s[10:11], s3, v2, v[0:1]
	s_mul_hi_u32 s10, s6, 56
	s_mul_i32 s6, s6, 56
	s_add_u32 s0, s0, s6
	v_add_u32_e32 v1, v3, v1
	s_addc_u32 s1, s1, s10
	global_store_dwordx2 v6, v[0:1], s[0:1] offset:8
	v_mov_b32_e32 v1, s16
	v_add_co_u32_e32 v0, vcc, s7, v8
	v_addc_co_u32_e32 v1, vcc, 0, v1, vcc
	v_cmp_gt_i64_e32 vcc, s[14:15], v[0:1]
	s_and_b64 exec, exec, vcc
	s_cbranch_execz .LBB97_6
; %bb.4:
	v_mad_u64_u32 v[10:11], s[0:1], s3, v2, 0
	s_movk_i32 s3, 0x188
	s_load_dwordx2 s[6:7], s[4:5], 0x30
	s_load_dwordx2 s[10:11], s[4:5], 0x48
	;; [unrolled: 1-line block ×3, first 2 shown]
	s_load_dword s19, s[4:5], 0x0
	s_load_dwordx2 s[20:21], s[4:5], 0x58
	v_mad_u64_u32 v[6:7], s[4:5], v0, s3, v[6:7]
	v_add_u32_e32 v11, v11, v3
	v_mov_b32_e32 v12, v7
	v_lshlrev_b64 v[4:5], 3, v[0:1]
	v_mad_u64_u32 v[12:13], s[4:5], v1, s3, v[12:13]
	v_mad_u64_u32 v[10:11], s[4:5], s8, 49, v[10:11]
	s_waitcnt lgkmcnt(0)
	v_mov_b32_e32 v9, s7
	v_add_co_u32_e32 v4, vcc, s6, v4
	v_mov_b32_e32 v7, v12
	v_mov_b32_e32 v12, v11
	v_addc_co_u32_e32 v5, vcc, v9, v5, vcc
	v_mad_u64_u32 v[12:13], s[4:5], s9, 49, v[12:13]
	v_mov_b32_e32 v9, s17
	v_add_co_u32_e32 v6, vcc, s16, v6
	v_mov_b32_e32 v11, v12
	v_addc_co_u32_e32 v7, vcc, v9, v7, vcc
	v_mad_u64_u32 v[8:9], s[4:5], v8, 7, v[10:11]
	s_mul_hi_u32 s3, s18, 49
	s_mul_i32 s4, s18, 49
	v_mov_b32_e32 v10, s3
	v_subrev_co_u32_e32 v8, vcc, s4, v8
	v_subb_co_u32_e32 v9, vcc, v9, v10, vcc
	v_lshlrev_b64 v[8:9], 3, v[8:9]
	v_add_co_u32_e32 v10, vcc, 24, v8
	v_addc_co_u32_e32 v11, vcc, 0, v9, vcc
	v_mov_b32_e32 v9, s11
	v_add_co_u32_e32 v8, vcc, s10, v10
	v_addc_co_u32_e32 v9, vcc, v9, v11, vcc
	s_cmp_eq_u32 s19, 0
	v_mov_b32_e32 v12, s21
	v_add_co_u32_e32 v10, vcc, s20, v10
	s_mov_b32 s13, s2
	s_cselect_b64 s[0:1], -1, 0
	v_mul_hi_u32_u24_e32 v3, 48, v2
	v_mul_u32_u24_e32 v2, 48, v2
	v_addc_co_u32_e32 v11, vcc, v12, v11, vcc
	s_mov_b64 s[16:17], 0
	v_mov_b32_e32 v12, s2
	s_movk_i32 s19, 0x70
	s_movk_i32 s20, 0xa8
	;; [unrolled: 1-line block ×7, first 2 shown]
.LBB97_5:                               ; =>This Inner Loop Header: Depth=1
	v_add_co_u32_e32 v13, vcc, v6, v2
	v_addc_co_u32_e32 v16, vcc, v7, v3, vcc
	v_add_co_u32_e32 v17, vcc, 56, v6
	v_addc_co_u32_e32 v18, vcc, 0, v7, vcc
	;; [unrolled: 2-line block ×12, first 2 shown]
	global_load_dwordx2 v[26:27], v[4:5], off
	v_cndmask_b32_e64 v14, v6, v13, s[0:1]
	v_add_co_u32_e32 v13, vcc, 48, v13
	v_cndmask_b32_e64 v15, v7, v16, s[0:1]
	v_addc_co_u32_e32 v16, vcc, 0, v16, vcc
	v_cndmask_b32_e64 v29, v18, v29, s[0:1]
	v_cndmask_b32_e64 v28, v17, v28, s[0:1]
	global_load_dwordx2 v[14:15], v[14:15], off
	v_cndmask_b32_e64 v31, v20, v31, s[0:1]
	v_cndmask_b32_e64 v30, v19, v30, s[0:1]
	v_cndmask_b32_e64 v33, v22, v33, s[0:1]
	v_cndmask_b32_e64 v32, v21, v32, s[0:1]
	v_cndmask_b32_e64 v35, v24, v35, s[0:1]
	v_cndmask_b32_e64 v34, v23, v34, s[0:1]
	v_cndmask_b32_e64 v37, v36, v37, s[0:1]
	v_cndmask_b32_e64 v36, v25, v40, s[0:1]
	v_cndmask_b32_e64 v39, v39, v16, s[0:1]
	v_cndmask_b32_e64 v38, v38, v13, s[0:1]
	global_load_dwordx2 v[16:17], v[28:29], off
	global_load_dwordx2 v[18:19], v[30:31], off
	;; [unrolled: 1-line block ×6, first 2 shown]
	v_add_co_u32_e32 v0, vcc, 32, v0
	v_addc_co_u32_e32 v1, vcc, 0, v1, vcc
	v_add_co_u32_e32 v4, vcc, s24, v4
	v_addc_co_u32_e32 v5, vcc, 0, v5, vcc
	;; [unrolled: 2-line block ×3, first 2 shown]
	v_cmp_le_i64_e64 s[2:3], s[14:15], v[0:1]
	s_or_b64 s[16:17], s[2:3], s[16:17]
	s_waitcnt vmcnt(5)
	global_store_dwordx4 v[8:9], v[14:17], off offset:-24
	s_waitcnt vmcnt(4)
	global_store_dwordx4 v[8:9], v[18:21], off offset:-8
	s_waitcnt vmcnt(3)
	global_store_dwordx4 v[8:9], v[22:25], off offset:8
	s_waitcnt vmcnt(3)
	global_store_dwordx2 v[8:9], v[40:41], off offset:24
	v_subrev_co_u32_e32 v13, vcc, s18, v26
	v_subb_co_u32_e32 v27, vcc, v27, v12, vcc
	v_mad_u64_u32 v[28:29], s[2:3], v13, 7, s[12:13]
	v_mov_b32_e32 v30, v29
	v_add_co_u32_e32 v8, vcc, 0x700, v8
	v_mad_u64_u32 v[30:31], s[2:3], v27, 7, v[30:31]
	v_addc_co_u32_e32 v9, vcc, 0, v9, vcc
	v_mov_b32_e32 v26, v28
	v_mov_b32_e32 v13, v30
	v_add_co_u32_e64 v14, s[2:3], 2, v28
	v_add_co_u32_e64 v16, s[4:5], 3, v28
	;; [unrolled: 1-line block ×5, first 2 shown]
	v_add_co_u32_e32 v28, vcc, 1, v28
	v_mov_b32_e32 v27, v30
	v_addc_co_u32_e32 v29, vcc, 0, v13, vcc
	v_addc_co_u32_e64 v15, vcc, 0, v13, s[2:3]
	v_addc_co_u32_e64 v17, vcc, 0, v13, s[4:5]
	;; [unrolled: 1-line block ×5, first 2 shown]
	global_store_dwordx4 v[10:11], v[26:29], off offset:-24
	global_store_dwordx4 v[10:11], v[14:17], off offset:-8
	global_store_dwordx4 v[10:11], v[18:21], off offset:8
	global_store_dwordx2 v[10:11], v[22:23], off offset:24
	v_add_co_u32_e32 v10, vcc, 0x700, v10
	v_addc_co_u32_e32 v11, vcc, 0, v11, vcc
	s_andn2_b64 exec, exec, s[16:17]
	s_cbranch_execnz .LBB97_5
.LBB97_6:
	s_endpgm
	.section	.rodata,"a",@progbits
	.p2align	6, 0x0
	.amdhsa_kernel _ZN9rocsparseL32bsr2csr_block_per_row_2_7_kernelILj256ELj7ElllEEv20rocsparse_direction_T3_S2_21rocsparse_index_base_PKT1_PKT2_PKS2_S2_S3_PS4_PS7_PS2_
		.amdhsa_group_segment_fixed_size 0
		.amdhsa_private_segment_fixed_size 0
		.amdhsa_kernarg_size 96
		.amdhsa_user_sgpr_count 6
		.amdhsa_user_sgpr_private_segment_buffer 1
		.amdhsa_user_sgpr_dispatch_ptr 0
		.amdhsa_user_sgpr_queue_ptr 0
		.amdhsa_user_sgpr_kernarg_segment_ptr 1
		.amdhsa_user_sgpr_dispatch_id 0
		.amdhsa_user_sgpr_flat_scratch_init 0
		.amdhsa_user_sgpr_kernarg_preload_length 0
		.amdhsa_user_sgpr_kernarg_preload_offset 0
		.amdhsa_user_sgpr_private_segment_size 0
		.amdhsa_uses_dynamic_stack 0
		.amdhsa_system_sgpr_private_segment_wavefront_offset 0
		.amdhsa_system_sgpr_workgroup_id_x 1
		.amdhsa_system_sgpr_workgroup_id_y 0
		.amdhsa_system_sgpr_workgroup_id_z 0
		.amdhsa_system_sgpr_workgroup_info 0
		.amdhsa_system_vgpr_workitem_id 0
		.amdhsa_next_free_vgpr 42
		.amdhsa_next_free_sgpr 26
		.amdhsa_accum_offset 44
		.amdhsa_reserve_vcc 1
		.amdhsa_reserve_flat_scratch 0
		.amdhsa_float_round_mode_32 0
		.amdhsa_float_round_mode_16_64 0
		.amdhsa_float_denorm_mode_32 3
		.amdhsa_float_denorm_mode_16_64 3
		.amdhsa_dx10_clamp 1
		.amdhsa_ieee_mode 1
		.amdhsa_fp16_overflow 0
		.amdhsa_tg_split 0
		.amdhsa_exception_fp_ieee_invalid_op 0
		.amdhsa_exception_fp_denorm_src 0
		.amdhsa_exception_fp_ieee_div_zero 0
		.amdhsa_exception_fp_ieee_overflow 0
		.amdhsa_exception_fp_ieee_underflow 0
		.amdhsa_exception_fp_ieee_inexact 0
		.amdhsa_exception_int_div_zero 0
	.end_amdhsa_kernel
	.section	.text._ZN9rocsparseL32bsr2csr_block_per_row_2_7_kernelILj256ELj7ElllEEv20rocsparse_direction_T3_S2_21rocsparse_index_base_PKT1_PKT2_PKS2_S2_S3_PS4_PS7_PS2_,"axG",@progbits,_ZN9rocsparseL32bsr2csr_block_per_row_2_7_kernelILj256ELj7ElllEEv20rocsparse_direction_T3_S2_21rocsparse_index_base_PKT1_PKT2_PKS2_S2_S3_PS4_PS7_PS2_,comdat
.Lfunc_end97:
	.size	_ZN9rocsparseL32bsr2csr_block_per_row_2_7_kernelILj256ELj7ElllEEv20rocsparse_direction_T3_S2_21rocsparse_index_base_PKT1_PKT2_PKS2_S2_S3_PS4_PS7_PS2_, .Lfunc_end97-_ZN9rocsparseL32bsr2csr_block_per_row_2_7_kernelILj256ELj7ElllEEv20rocsparse_direction_T3_S2_21rocsparse_index_base_PKT1_PKT2_PKS2_S2_S3_PS4_PS7_PS2_
                                        ; -- End function
	.section	.AMDGPU.csdata,"",@progbits
; Kernel info:
; codeLenInByte = 1104
; NumSgprs: 30
; NumVgprs: 42
; NumAgprs: 0
; TotalNumVgprs: 42
; ScratchSize: 0
; MemoryBound: 0
; FloatMode: 240
; IeeeMode: 1
; LDSByteSize: 0 bytes/workgroup (compile time only)
; SGPRBlocks: 3
; VGPRBlocks: 5
; NumSGPRsForWavesPerEU: 30
; NumVGPRsForWavesPerEU: 42
; AccumOffset: 44
; Occupancy: 8
; WaveLimiterHint : 0
; COMPUTE_PGM_RSRC2:SCRATCH_EN: 0
; COMPUTE_PGM_RSRC2:USER_SGPR: 6
; COMPUTE_PGM_RSRC2:TRAP_HANDLER: 0
; COMPUTE_PGM_RSRC2:TGID_X_EN: 1
; COMPUTE_PGM_RSRC2:TGID_Y_EN: 0
; COMPUTE_PGM_RSRC2:TGID_Z_EN: 0
; COMPUTE_PGM_RSRC2:TIDIG_COMP_CNT: 0
; COMPUTE_PGM_RSRC3_GFX90A:ACCUM_OFFSET: 10
; COMPUTE_PGM_RSRC3_GFX90A:TG_SPLIT: 0
	.section	.text._ZN9rocsparseL33bsr2csr_block_per_row_8_32_kernelILj1024ELj8ElllEEv20rocsparse_direction_T3_S2_21rocsparse_index_base_PKT1_PKT2_PKS2_S2_S3_PS4_PS7_PS2_,"axG",@progbits,_ZN9rocsparseL33bsr2csr_block_per_row_8_32_kernelILj1024ELj8ElllEEv20rocsparse_direction_T3_S2_21rocsparse_index_base_PKT1_PKT2_PKS2_S2_S3_PS4_PS7_PS2_,comdat
	.globl	_ZN9rocsparseL33bsr2csr_block_per_row_8_32_kernelILj1024ELj8ElllEEv20rocsparse_direction_T3_S2_21rocsparse_index_base_PKT1_PKT2_PKS2_S2_S3_PS4_PS7_PS2_ ; -- Begin function _ZN9rocsparseL33bsr2csr_block_per_row_8_32_kernelILj1024ELj8ElllEEv20rocsparse_direction_T3_S2_21rocsparse_index_base_PKT1_PKT2_PKS2_S2_S3_PS4_PS7_PS2_
	.p2align	8
	.type	_ZN9rocsparseL33bsr2csr_block_per_row_8_32_kernelILj1024ELj8ElllEEv20rocsparse_direction_T3_S2_21rocsparse_index_base_PKT1_PKT2_PKS2_S2_S3_PS4_PS7_PS2_,@function
_ZN9rocsparseL33bsr2csr_block_per_row_8_32_kernelILj1024ELj8ElllEEv20rocsparse_direction_T3_S2_21rocsparse_index_base_PKT1_PKT2_PKS2_S2_S3_PS4_PS7_PS2_: ; @_ZN9rocsparseL33bsr2csr_block_per_row_8_32_kernelILj1024ELj8ElllEEv20rocsparse_direction_T3_S2_21rocsparse_index_base_PKT1_PKT2_PKS2_S2_S3_PS4_PS7_PS2_
; %bb.0:
	s_load_dwordx2 s[0:1], s[4:5], 0x28
	s_load_dword s16, s[4:5], 0x40
	s_load_dwordx2 s[2:3], s[4:5], 0x50
	s_mov_b32 s22, 0
	s_mov_b32 s7, s22
	s_lshl_b64 s[8:9], s[6:7], 3
	s_waitcnt lgkmcnt(0)
	s_add_u32 s10, s0, s8
	v_or_b32_e32 v1, s6, v0
	s_addc_u32 s11, s1, s9
	v_cmp_eq_u32_e32 vcc, 0, v1
	s_and_saveexec_b64 s[0:1], vcc
	s_cbranch_execz .LBB98_2
; %bb.1:
	v_mov_b32_e32 v2, s16
	v_mov_b32_e32 v3, 0
	global_store_dwordx2 v3, v[2:3], s[2:3]
.LBB98_2:
	s_or_b64 exec, exec, s[0:1]
	s_load_dwordx2 s[8:9], s[4:5], 0x38
	v_mov_b32_e32 v7, 0
	v_and_b32_e32 v6, 7, v0
	v_bfe_u32 v2, v0, 3, 3
	v_mov_b32_e32 v3, v7
	s_waitcnt lgkmcnt(0)
	v_cmp_gt_i64_e32 vcc, s[8:9], v[2:3]
	v_cmp_gt_i64_e64 s[0:1], s[8:9], v[6:7]
	s_and_b64 s[0:1], vcc, s[0:1]
	s_and_saveexec_b64 s[12:13], s[0:1]
	s_cbranch_execz .LBB98_6
; %bb.3:
	s_load_dwordx4 s[12:15], s[10:11], 0x0
	s_load_dword s23, s[4:5], 0x18
	s_mul_i32 s0, s8, s9
	s_mul_hi_u32 s1, s8, s8
	v_lshrrev_b32_e32 v8, 6, v0
	v_lshlrev_b32_e32 v3, 3, v2
	s_waitcnt lgkmcnt(0)
	s_sub_u32 s7, s12, s23
	s_subb_u32 s18, s13, 0
	s_sub_u32 s10, s14, s23
	s_subb_u32 s11, s15, 0
	s_add_i32 s1, s1, s0
	s_add_i32 s1, s1, s0
	s_mul_i32 s0, s8, s8
	s_mul_i32 s12, s7, s1
	s_mul_hi_u32 s13, s7, s0
	s_add_i32 s12, s13, s12
	s_mul_i32 s13, s18, s0
	s_add_i32 s13, s12, s13
	s_sub_u32 s20, s10, s7
	s_subb_u32 s19, s11, s18
	s_mul_i32 s14, s20, s9
	s_mul_hi_u32 s15, s20, s8
	s_add_i32 s14, s15, s14
	s_mul_i32 s15, s19, s8
	s_add_i32 s14, s14, s15
	s_mul_i32 s15, s20, s8
	s_add_u32 s21, s15, s16
	s_mul_i32 s12, s7, s0
	s_addc_u32 s24, s14, 0
	s_add_u32 s12, s21, s12
	s_addc_u32 s13, s24, s13
	v_pk_mov_b32 v[0:1], s[12:13], s[12:13] op_sel:[0,1]
	v_mad_u64_u32 v[0:1], s[12:13], s15, v2, v[0:1]
	v_mov_b32_e32 v4, v1
	v_mad_u64_u32 v[4:5], s[12:13], s14, v2, v[4:5]
	s_mul_i32 s12, s6, s9
	s_mul_hi_u32 s13, s6, s8
	s_add_i32 s13, s13, s12
	s_mul_i32 s12, s6, s8
	s_lshl_b64 s[12:13], s[12:13], 3
	s_add_u32 s2, s2, s12
	v_mov_b32_e32 v1, v4
	s_addc_u32 s3, s3, s13
	global_store_dwordx2 v3, v[0:1], s[2:3] offset:8
	v_mov_b32_e32 v1, s18
	v_add_co_u32_e32 v0, vcc, s7, v8
	v_addc_co_u32_e32 v1, vcc, 0, v1, vcc
	v_mov_b32_e32 v9, v7
	v_cmp_gt_i64_e32 vcc, s[10:11], v[0:1]
	s_and_b64 exec, exec, vcc
	s_cbranch_execz .LBB98_6
; %bb.4:
	s_load_dwordx2 s[2:3], s[4:5], 0x30
	s_load_dwordx2 s[12:13], s[4:5], 0x48
	;; [unrolled: 1-line block ×4, first 2 shown]
	s_load_dword s6, s[4:5], 0x0
	v_mad_u64_u32 v[10:11], s[4:5], v6, s8, 0
	v_mov_b32_e32 v12, v11
	v_mad_u64_u32 v[12:13], s[4:5], v6, s9, v[12:13]
	v_mov_b32_e32 v5, s22
	v_add_co_u32_e32 v4, vcc, s16, v6
	v_mov_b32_e32 v11, v12
	v_addc_co_u32_e32 v5, vcc, 0, v5, vcc
	v_lshlrev_b64 v[10:11], 3, v[10:11]
	s_waitcnt lgkmcnt(0)
	v_mov_b32_e32 v7, s25
	v_add_co_u32_e32 v10, vcc, s24, v10
	v_addc_co_u32_e32 v11, vcc, v7, v11, vcc
	v_add_co_u32_e32 v3, vcc, v10, v3
	v_addc_co_u32_e32 v14, vcc, 0, v11, vcc
	v_mad_u64_u32 v[10:11], s[4:5], v2, s8, 0
	v_mov_b32_e32 v12, v11
	v_mad_u64_u32 v[12:13], s[4:5], v2, s9, v[12:13]
	v_mov_b32_e32 v11, v12
	v_lshlrev_b64 v[10:11], 3, v[10:11]
	v_add_co_u32_e32 v10, vcc, s24, v10
	v_addc_co_u32_e32 v7, vcc, v7, v11, vcc
	v_lshlrev_b32_e32 v11, 3, v6
	v_add_co_u32_e32 v6, vcc, v10, v11
	s_cmp_eq_u32 s6, 0
	v_addc_co_u32_e32 v7, vcc, 0, v7, vcc
	s_cselect_b64 vcc, -1, 0
	v_cndmask_b32_e32 v10, v14, v7, vcc
	v_cndmask_b32_e32 v3, v3, v6, vcc
	v_mul_lo_u32 v12, s1, v0
	v_mul_lo_u32 v13, s0, v1
	v_mad_u64_u32 v[6:7], s[4:5], s0, v0, 0
	v_add3_u32 v7, v7, v13, v12
	v_lshlrev_b64 v[6:7], 3, v[6:7]
	v_add_co_u32_e32 v6, vcc, v3, v6
	s_lshl_b64 s[16:17], s[0:1], 7
	s_mul_i32 s0, s9, s7
	s_mul_i32 s1, s8, s18
	v_mov_b32_e32 v3, s7
	s_add_i32 s4, s1, s0
	v_mad_u64_u32 v[8:9], s[0:1], s8, v3, v[8:9]
	v_add_u32_e32 v9, s4, v9
	v_mad_u64_u32 v[8:9], s[0:1], s20, v2, v[8:9]
	v_addc_co_u32_e32 v7, vcc, v10, v7, vcc
	v_mov_b32_e32 v10, v9
	v_mad_u64_u32 v[2:3], s[0:1], s19, v2, v[10:11]
	v_mul_lo_u32 v9, s9, v8
	v_mul_lo_u32 v10, s8, v2
	v_mad_u64_u32 v[2:3], s[0:1], s8, v8, 0
	v_add3_u32 v3, v3, v10, v9
	v_lshlrev_b64 v[2:3], 3, v[2:3]
	v_add_co_u32_e32 v2, vcc, v2, v11
	v_addc_co_u32_e32 v3, vcc, 0, v3, vcc
	v_lshlrev_b64 v[8:9], 3, v[0:1]
	v_mov_b32_e32 v10, s3
	v_add_co_u32_e32 v8, vcc, s2, v8
	s_lshl_b64 s[18:19], s[8:9], 7
	v_addc_co_u32_e32 v9, vcc, v10, v9, vcc
	s_mov_b64 s[20:21], 0
.LBB98_5:                               ; =>This Inner Loop Header: Depth=1
	global_load_dwordx2 v[10:11], v[8:9], off
	global_load_dwordx2 v[12:13], v[6:7], off
	v_add_co_u32_e32 v0, vcc, 16, v0
	v_addc_co_u32_e32 v1, vcc, 0, v1, vcc
	v_add_co_u32_e32 v8, vcc, 0x80, v8
	v_addc_co_u32_e32 v9, vcc, 0, v9, vcc
	v_cmp_le_i64_e32 vcc, s[10:11], v[0:1]
	v_mov_b32_e32 v18, s22
	v_mov_b32_e32 v15, s15
	v_mov_b32_e32 v19, s13
	v_add_co_u32_e64 v14, s[0:1], s12, v2
	v_add_co_u32_e64 v16, s[4:5], s14, v2
	s_or_b64 s[20:21], vcc, s[20:21]
	v_addc_co_u32_e64 v17, s[4:5], v15, v3, s[4:5]
	v_addc_co_u32_e64 v15, s[0:1], v19, v3, s[0:1]
	v_mov_b32_e32 v20, s17
	v_add_co_u32_e64 v6, s[2:3], s16, v6
	v_mov_b32_e32 v21, s19
	v_add_co_u32_e64 v2, s[6:7], s18, v2
	v_addc_co_u32_e64 v7, s[0:1], v7, v20, s[2:3]
	v_addc_co_u32_e64 v3, s[0:1], v3, v21, s[6:7]
	s_waitcnt vmcnt(1)
	v_subrev_co_u32_e32 v10, vcc, s23, v10
	v_subb_co_u32_e32 v11, vcc, v11, v18, vcc
	s_waitcnt vmcnt(0)
	global_store_dwordx2 v[14:15], v[12:13], off
	v_mul_lo_u32 v12, v10, s9
	v_mul_lo_u32 v13, v11, s8
	v_mad_u64_u32 v[10:11], s[0:1], v10, s8, v[4:5]
	v_add3_u32 v11, v13, v11, v12
	global_store_dwordx2 v[16:17], v[10:11], off
	s_andn2_b64 exec, exec, s[20:21]
	s_cbranch_execnz .LBB98_5
.LBB98_6:
	s_endpgm
	.section	.rodata,"a",@progbits
	.p2align	6, 0x0
	.amdhsa_kernel _ZN9rocsparseL33bsr2csr_block_per_row_8_32_kernelILj1024ELj8ElllEEv20rocsparse_direction_T3_S2_21rocsparse_index_base_PKT1_PKT2_PKS2_S2_S3_PS4_PS7_PS2_
		.amdhsa_group_segment_fixed_size 0
		.amdhsa_private_segment_fixed_size 0
		.amdhsa_kernarg_size 96
		.amdhsa_user_sgpr_count 6
		.amdhsa_user_sgpr_private_segment_buffer 1
		.amdhsa_user_sgpr_dispatch_ptr 0
		.amdhsa_user_sgpr_queue_ptr 0
		.amdhsa_user_sgpr_kernarg_segment_ptr 1
		.amdhsa_user_sgpr_dispatch_id 0
		.amdhsa_user_sgpr_flat_scratch_init 0
		.amdhsa_user_sgpr_kernarg_preload_length 0
		.amdhsa_user_sgpr_kernarg_preload_offset 0
		.amdhsa_user_sgpr_private_segment_size 0
		.amdhsa_uses_dynamic_stack 0
		.amdhsa_system_sgpr_private_segment_wavefront_offset 0
		.amdhsa_system_sgpr_workgroup_id_x 1
		.amdhsa_system_sgpr_workgroup_id_y 0
		.amdhsa_system_sgpr_workgroup_id_z 0
		.amdhsa_system_sgpr_workgroup_info 0
		.amdhsa_system_vgpr_workitem_id 0
		.amdhsa_next_free_vgpr 22
		.amdhsa_next_free_sgpr 26
		.amdhsa_accum_offset 24
		.amdhsa_reserve_vcc 1
		.amdhsa_reserve_flat_scratch 0
		.amdhsa_float_round_mode_32 0
		.amdhsa_float_round_mode_16_64 0
		.amdhsa_float_denorm_mode_32 3
		.amdhsa_float_denorm_mode_16_64 3
		.amdhsa_dx10_clamp 1
		.amdhsa_ieee_mode 1
		.amdhsa_fp16_overflow 0
		.amdhsa_tg_split 0
		.amdhsa_exception_fp_ieee_invalid_op 0
		.amdhsa_exception_fp_denorm_src 0
		.amdhsa_exception_fp_ieee_div_zero 0
		.amdhsa_exception_fp_ieee_overflow 0
		.amdhsa_exception_fp_ieee_underflow 0
		.amdhsa_exception_fp_ieee_inexact 0
		.amdhsa_exception_int_div_zero 0
	.end_amdhsa_kernel
	.section	.text._ZN9rocsparseL33bsr2csr_block_per_row_8_32_kernelILj1024ELj8ElllEEv20rocsparse_direction_T3_S2_21rocsparse_index_base_PKT1_PKT2_PKS2_S2_S3_PS4_PS7_PS2_,"axG",@progbits,_ZN9rocsparseL33bsr2csr_block_per_row_8_32_kernelILj1024ELj8ElllEEv20rocsparse_direction_T3_S2_21rocsparse_index_base_PKT1_PKT2_PKS2_S2_S3_PS4_PS7_PS2_,comdat
.Lfunc_end98:
	.size	_ZN9rocsparseL33bsr2csr_block_per_row_8_32_kernelILj1024ELj8ElllEEv20rocsparse_direction_T3_S2_21rocsparse_index_base_PKT1_PKT2_PKS2_S2_S3_PS4_PS7_PS2_, .Lfunc_end98-_ZN9rocsparseL33bsr2csr_block_per_row_8_32_kernelILj1024ELj8ElllEEv20rocsparse_direction_T3_S2_21rocsparse_index_base_PKT1_PKT2_PKS2_S2_S3_PS4_PS7_PS2_
                                        ; -- End function
	.section	.AMDGPU.csdata,"",@progbits
; Kernel info:
; codeLenInByte = 928
; NumSgprs: 30
; NumVgprs: 22
; NumAgprs: 0
; TotalNumVgprs: 22
; ScratchSize: 0
; MemoryBound: 0
; FloatMode: 240
; IeeeMode: 1
; LDSByteSize: 0 bytes/workgroup (compile time only)
; SGPRBlocks: 3
; VGPRBlocks: 2
; NumSGPRsForWavesPerEU: 30
; NumVGPRsForWavesPerEU: 22
; AccumOffset: 24
; Occupancy: 8
; WaveLimiterHint : 0
; COMPUTE_PGM_RSRC2:SCRATCH_EN: 0
; COMPUTE_PGM_RSRC2:USER_SGPR: 6
; COMPUTE_PGM_RSRC2:TRAP_HANDLER: 0
; COMPUTE_PGM_RSRC2:TGID_X_EN: 1
; COMPUTE_PGM_RSRC2:TGID_Y_EN: 0
; COMPUTE_PGM_RSRC2:TGID_Z_EN: 0
; COMPUTE_PGM_RSRC2:TIDIG_COMP_CNT: 0
; COMPUTE_PGM_RSRC3_GFX90A:ACCUM_OFFSET: 5
; COMPUTE_PGM_RSRC3_GFX90A:TG_SPLIT: 0
	.section	.text._ZN9rocsparseL33bsr2csr_block_per_row_8_32_kernelILj1024ELj16ElllEEv20rocsparse_direction_T3_S2_21rocsparse_index_base_PKT1_PKT2_PKS2_S2_S3_PS4_PS7_PS2_,"axG",@progbits,_ZN9rocsparseL33bsr2csr_block_per_row_8_32_kernelILj1024ELj16ElllEEv20rocsparse_direction_T3_S2_21rocsparse_index_base_PKT1_PKT2_PKS2_S2_S3_PS4_PS7_PS2_,comdat
	.globl	_ZN9rocsparseL33bsr2csr_block_per_row_8_32_kernelILj1024ELj16ElllEEv20rocsparse_direction_T3_S2_21rocsparse_index_base_PKT1_PKT2_PKS2_S2_S3_PS4_PS7_PS2_ ; -- Begin function _ZN9rocsparseL33bsr2csr_block_per_row_8_32_kernelILj1024ELj16ElllEEv20rocsparse_direction_T3_S2_21rocsparse_index_base_PKT1_PKT2_PKS2_S2_S3_PS4_PS7_PS2_
	.p2align	8
	.type	_ZN9rocsparseL33bsr2csr_block_per_row_8_32_kernelILj1024ELj16ElllEEv20rocsparse_direction_T3_S2_21rocsparse_index_base_PKT1_PKT2_PKS2_S2_S3_PS4_PS7_PS2_,@function
_ZN9rocsparseL33bsr2csr_block_per_row_8_32_kernelILj1024ELj16ElllEEv20rocsparse_direction_T3_S2_21rocsparse_index_base_PKT1_PKT2_PKS2_S2_S3_PS4_PS7_PS2_: ; @_ZN9rocsparseL33bsr2csr_block_per_row_8_32_kernelILj1024ELj16ElllEEv20rocsparse_direction_T3_S2_21rocsparse_index_base_PKT1_PKT2_PKS2_S2_S3_PS4_PS7_PS2_
; %bb.0:
	s_load_dwordx2 s[0:1], s[4:5], 0x28
	s_load_dword s16, s[4:5], 0x40
	s_load_dwordx2 s[2:3], s[4:5], 0x50
	s_mov_b32 s22, 0
	s_mov_b32 s7, s22
	s_lshl_b64 s[8:9], s[6:7], 3
	s_waitcnt lgkmcnt(0)
	s_add_u32 s10, s0, s8
	v_or_b32_e32 v1, s6, v0
	s_addc_u32 s11, s1, s9
	v_cmp_eq_u32_e32 vcc, 0, v1
	s_and_saveexec_b64 s[0:1], vcc
	s_cbranch_execz .LBB99_2
; %bb.1:
	v_mov_b32_e32 v2, s16
	v_mov_b32_e32 v3, 0
	global_store_dwordx2 v3, v[2:3], s[2:3]
.LBB99_2:
	s_or_b64 exec, exec, s[0:1]
	s_load_dwordx2 s[8:9], s[4:5], 0x38
	v_mov_b32_e32 v7, 0
	v_and_b32_e32 v6, 15, v0
	v_bfe_u32 v2, v0, 4, 4
	v_mov_b32_e32 v3, v7
	s_waitcnt lgkmcnt(0)
	v_cmp_gt_i64_e32 vcc, s[8:9], v[2:3]
	v_cmp_gt_i64_e64 s[0:1], s[8:9], v[6:7]
	s_and_b64 s[0:1], vcc, s[0:1]
	s_and_saveexec_b64 s[12:13], s[0:1]
	s_cbranch_execz .LBB99_6
; %bb.3:
	s_load_dwordx4 s[12:15], s[10:11], 0x0
	s_load_dword s23, s[4:5], 0x18
	s_mul_i32 s0, s8, s9
	s_mul_hi_u32 s1, s8, s8
	v_lshrrev_b32_e32 v8, 8, v0
	v_lshlrev_b32_e32 v3, 3, v2
	s_waitcnt lgkmcnt(0)
	s_sub_u32 s7, s12, s23
	s_subb_u32 s18, s13, 0
	s_sub_u32 s10, s14, s23
	s_subb_u32 s11, s15, 0
	s_add_i32 s1, s1, s0
	s_add_i32 s1, s1, s0
	s_mul_i32 s0, s8, s8
	s_mul_i32 s12, s7, s1
	s_mul_hi_u32 s13, s7, s0
	s_add_i32 s12, s13, s12
	s_mul_i32 s13, s18, s0
	s_add_i32 s13, s12, s13
	s_sub_u32 s20, s10, s7
	s_subb_u32 s19, s11, s18
	s_mul_i32 s14, s20, s9
	s_mul_hi_u32 s15, s20, s8
	s_add_i32 s14, s15, s14
	s_mul_i32 s15, s19, s8
	s_add_i32 s14, s14, s15
	s_mul_i32 s15, s20, s8
	s_add_u32 s21, s15, s16
	s_mul_i32 s12, s7, s0
	s_addc_u32 s24, s14, 0
	s_add_u32 s12, s21, s12
	s_addc_u32 s13, s24, s13
	v_pk_mov_b32 v[0:1], s[12:13], s[12:13] op_sel:[0,1]
	v_mad_u64_u32 v[0:1], s[12:13], s15, v2, v[0:1]
	v_mov_b32_e32 v4, v1
	v_mad_u64_u32 v[4:5], s[12:13], s14, v2, v[4:5]
	s_mul_i32 s12, s6, s9
	s_mul_hi_u32 s13, s6, s8
	s_add_i32 s13, s13, s12
	s_mul_i32 s12, s6, s8
	s_lshl_b64 s[12:13], s[12:13], 3
	s_add_u32 s2, s2, s12
	v_mov_b32_e32 v1, v4
	s_addc_u32 s3, s3, s13
	global_store_dwordx2 v3, v[0:1], s[2:3] offset:8
	v_mov_b32_e32 v1, s18
	v_add_co_u32_e32 v0, vcc, s7, v8
	v_addc_co_u32_e32 v1, vcc, 0, v1, vcc
	v_mov_b32_e32 v9, v7
	v_cmp_gt_i64_e32 vcc, s[10:11], v[0:1]
	s_and_b64 exec, exec, vcc
	s_cbranch_execz .LBB99_6
; %bb.4:
	s_load_dwordx2 s[2:3], s[4:5], 0x30
	s_load_dwordx2 s[12:13], s[4:5], 0x48
	;; [unrolled: 1-line block ×4, first 2 shown]
	s_load_dword s6, s[4:5], 0x0
	v_mad_u64_u32 v[10:11], s[4:5], v6, s8, 0
	v_mov_b32_e32 v12, v11
	v_mad_u64_u32 v[12:13], s[4:5], v6, s9, v[12:13]
	v_mov_b32_e32 v5, s22
	v_add_co_u32_e32 v4, vcc, s16, v6
	v_mov_b32_e32 v11, v12
	v_addc_co_u32_e32 v5, vcc, 0, v5, vcc
	v_lshlrev_b64 v[10:11], 3, v[10:11]
	s_waitcnt lgkmcnt(0)
	v_mov_b32_e32 v7, s25
	v_add_co_u32_e32 v10, vcc, s24, v10
	v_addc_co_u32_e32 v11, vcc, v7, v11, vcc
	v_add_co_u32_e32 v3, vcc, v10, v3
	v_addc_co_u32_e32 v14, vcc, 0, v11, vcc
	v_mad_u64_u32 v[10:11], s[4:5], v2, s8, 0
	v_mov_b32_e32 v12, v11
	v_mad_u64_u32 v[12:13], s[4:5], v2, s9, v[12:13]
	v_mov_b32_e32 v11, v12
	v_lshlrev_b64 v[10:11], 3, v[10:11]
	v_add_co_u32_e32 v10, vcc, s24, v10
	v_addc_co_u32_e32 v7, vcc, v7, v11, vcc
	v_lshlrev_b32_e32 v11, 3, v6
	v_add_co_u32_e32 v6, vcc, v10, v11
	s_cmp_eq_u32 s6, 0
	v_addc_co_u32_e32 v7, vcc, 0, v7, vcc
	s_cselect_b64 vcc, -1, 0
	v_cndmask_b32_e32 v10, v14, v7, vcc
	v_cndmask_b32_e32 v3, v3, v6, vcc
	v_mul_lo_u32 v12, s1, v0
	v_mul_lo_u32 v13, s0, v1
	v_mad_u64_u32 v[6:7], s[4:5], s0, v0, 0
	v_add3_u32 v7, v7, v13, v12
	v_lshlrev_b64 v[6:7], 3, v[6:7]
	v_add_co_u32_e32 v6, vcc, v3, v6
	s_lshl_b64 s[16:17], s[0:1], 5
	s_mul_i32 s0, s9, s7
	s_mul_i32 s1, s8, s18
	v_mov_b32_e32 v3, s7
	s_add_i32 s4, s1, s0
	v_mad_u64_u32 v[8:9], s[0:1], s8, v3, v[8:9]
	v_add_u32_e32 v9, s4, v9
	v_mad_u64_u32 v[8:9], s[0:1], s20, v2, v[8:9]
	v_addc_co_u32_e32 v7, vcc, v10, v7, vcc
	v_mov_b32_e32 v10, v9
	v_mad_u64_u32 v[2:3], s[0:1], s19, v2, v[10:11]
	v_mul_lo_u32 v9, s9, v8
	v_mul_lo_u32 v10, s8, v2
	v_mad_u64_u32 v[2:3], s[0:1], s8, v8, 0
	v_add3_u32 v3, v3, v10, v9
	v_lshlrev_b64 v[2:3], 3, v[2:3]
	v_add_co_u32_e32 v2, vcc, v2, v11
	v_addc_co_u32_e32 v3, vcc, 0, v3, vcc
	v_lshlrev_b64 v[8:9], 3, v[0:1]
	v_mov_b32_e32 v10, s3
	v_add_co_u32_e32 v8, vcc, s2, v8
	s_lshl_b64 s[18:19], s[8:9], 5
	v_addc_co_u32_e32 v9, vcc, v10, v9, vcc
	s_mov_b64 s[20:21], 0
.LBB99_5:                               ; =>This Inner Loop Header: Depth=1
	global_load_dwordx2 v[10:11], v[8:9], off
	global_load_dwordx2 v[12:13], v[6:7], off
	v_add_co_u32_e64 v0, s[2:3], 4, v0
	v_addc_co_u32_e64 v1, s[2:3], 0, v1, s[2:3]
	v_mov_b32_e32 v15, s15
	v_add_co_u32_e32 v14, vcc, s14, v2
	v_mov_b32_e32 v17, s13
	v_add_co_u32_e64 v16, s[0:1], s12, v2
	v_mov_b32_e32 v19, s17
	v_add_co_u32_e64 v6, s[2:3], s16, v6
	;; [unrolled: 2-line block ×3, first 2 shown]
	v_addc_co_u32_e32 v15, vcc, v15, v3, vcc
	v_addc_co_u32_e64 v17, vcc, v17, v3, s[0:1]
	v_addc_co_u32_e64 v7, vcc, v7, v19, s[2:3]
	;; [unrolled: 1-line block ×3, first 2 shown]
	v_cmp_le_i64_e32 vcc, s[10:11], v[0:1]
	v_mov_b32_e32 v18, s22
	s_or_b64 s[20:21], vcc, s[20:21]
	v_add_co_u32_e64 v8, s[6:7], 32, v8
	v_addc_co_u32_e64 v9, s[6:7], 0, v9, s[6:7]
	s_waitcnt vmcnt(1)
	v_subrev_co_u32_e32 v10, vcc, s23, v10
	v_subb_co_u32_e32 v11, vcc, v11, v18, vcc
	s_waitcnt vmcnt(0)
	global_store_dwordx2 v[16:17], v[12:13], off
	v_mul_lo_u32 v12, v10, s9
	v_mul_lo_u32 v13, v11, s8
	v_mad_u64_u32 v[10:11], s[0:1], v10, s8, v[4:5]
	v_add3_u32 v11, v13, v11, v12
	global_store_dwordx2 v[14:15], v[10:11], off
	s_andn2_b64 exec, exec, s[20:21]
	s_cbranch_execnz .LBB99_5
.LBB99_6:
	s_endpgm
	.section	.rodata,"a",@progbits
	.p2align	6, 0x0
	.amdhsa_kernel _ZN9rocsparseL33bsr2csr_block_per_row_8_32_kernelILj1024ELj16ElllEEv20rocsparse_direction_T3_S2_21rocsparse_index_base_PKT1_PKT2_PKS2_S2_S3_PS4_PS7_PS2_
		.amdhsa_group_segment_fixed_size 0
		.amdhsa_private_segment_fixed_size 0
		.amdhsa_kernarg_size 96
		.amdhsa_user_sgpr_count 6
		.amdhsa_user_sgpr_private_segment_buffer 1
		.amdhsa_user_sgpr_dispatch_ptr 0
		.amdhsa_user_sgpr_queue_ptr 0
		.amdhsa_user_sgpr_kernarg_segment_ptr 1
		.amdhsa_user_sgpr_dispatch_id 0
		.amdhsa_user_sgpr_flat_scratch_init 0
		.amdhsa_user_sgpr_kernarg_preload_length 0
		.amdhsa_user_sgpr_kernarg_preload_offset 0
		.amdhsa_user_sgpr_private_segment_size 0
		.amdhsa_uses_dynamic_stack 0
		.amdhsa_system_sgpr_private_segment_wavefront_offset 0
		.amdhsa_system_sgpr_workgroup_id_x 1
		.amdhsa_system_sgpr_workgroup_id_y 0
		.amdhsa_system_sgpr_workgroup_id_z 0
		.amdhsa_system_sgpr_workgroup_info 0
		.amdhsa_system_vgpr_workitem_id 0
		.amdhsa_next_free_vgpr 21
		.amdhsa_next_free_sgpr 26
		.amdhsa_accum_offset 24
		.amdhsa_reserve_vcc 1
		.amdhsa_reserve_flat_scratch 0
		.amdhsa_float_round_mode_32 0
		.amdhsa_float_round_mode_16_64 0
		.amdhsa_float_denorm_mode_32 3
		.amdhsa_float_denorm_mode_16_64 3
		.amdhsa_dx10_clamp 1
		.amdhsa_ieee_mode 1
		.amdhsa_fp16_overflow 0
		.amdhsa_tg_split 0
		.amdhsa_exception_fp_ieee_invalid_op 0
		.amdhsa_exception_fp_denorm_src 0
		.amdhsa_exception_fp_ieee_div_zero 0
		.amdhsa_exception_fp_ieee_overflow 0
		.amdhsa_exception_fp_ieee_underflow 0
		.amdhsa_exception_fp_ieee_inexact 0
		.amdhsa_exception_int_div_zero 0
	.end_amdhsa_kernel
	.section	.text._ZN9rocsparseL33bsr2csr_block_per_row_8_32_kernelILj1024ELj16ElllEEv20rocsparse_direction_T3_S2_21rocsparse_index_base_PKT1_PKT2_PKS2_S2_S3_PS4_PS7_PS2_,"axG",@progbits,_ZN9rocsparseL33bsr2csr_block_per_row_8_32_kernelILj1024ELj16ElllEEv20rocsparse_direction_T3_S2_21rocsparse_index_base_PKT1_PKT2_PKS2_S2_S3_PS4_PS7_PS2_,comdat
.Lfunc_end99:
	.size	_ZN9rocsparseL33bsr2csr_block_per_row_8_32_kernelILj1024ELj16ElllEEv20rocsparse_direction_T3_S2_21rocsparse_index_base_PKT1_PKT2_PKS2_S2_S3_PS4_PS7_PS2_, .Lfunc_end99-_ZN9rocsparseL33bsr2csr_block_per_row_8_32_kernelILj1024ELj16ElllEEv20rocsparse_direction_T3_S2_21rocsparse_index_base_PKT1_PKT2_PKS2_S2_S3_PS4_PS7_PS2_
                                        ; -- End function
	.section	.AMDGPU.csdata,"",@progbits
; Kernel info:
; codeLenInByte = 932
; NumSgprs: 30
; NumVgprs: 21
; NumAgprs: 0
; TotalNumVgprs: 21
; ScratchSize: 0
; MemoryBound: 0
; FloatMode: 240
; IeeeMode: 1
; LDSByteSize: 0 bytes/workgroup (compile time only)
; SGPRBlocks: 3
; VGPRBlocks: 2
; NumSGPRsForWavesPerEU: 30
; NumVGPRsForWavesPerEU: 21
; AccumOffset: 24
; Occupancy: 8
; WaveLimiterHint : 0
; COMPUTE_PGM_RSRC2:SCRATCH_EN: 0
; COMPUTE_PGM_RSRC2:USER_SGPR: 6
; COMPUTE_PGM_RSRC2:TRAP_HANDLER: 0
; COMPUTE_PGM_RSRC2:TGID_X_EN: 1
; COMPUTE_PGM_RSRC2:TGID_Y_EN: 0
; COMPUTE_PGM_RSRC2:TGID_Z_EN: 0
; COMPUTE_PGM_RSRC2:TIDIG_COMP_CNT: 0
; COMPUTE_PGM_RSRC3_GFX90A:ACCUM_OFFSET: 5
; COMPUTE_PGM_RSRC3_GFX90A:TG_SPLIT: 0
	.section	.text._ZN9rocsparseL33bsr2csr_block_per_row_8_32_kernelILj1024ELj32ElllEEv20rocsparse_direction_T3_S2_21rocsparse_index_base_PKT1_PKT2_PKS2_S2_S3_PS4_PS7_PS2_,"axG",@progbits,_ZN9rocsparseL33bsr2csr_block_per_row_8_32_kernelILj1024ELj32ElllEEv20rocsparse_direction_T3_S2_21rocsparse_index_base_PKT1_PKT2_PKS2_S2_S3_PS4_PS7_PS2_,comdat
	.globl	_ZN9rocsparseL33bsr2csr_block_per_row_8_32_kernelILj1024ELj32ElllEEv20rocsparse_direction_T3_S2_21rocsparse_index_base_PKT1_PKT2_PKS2_S2_S3_PS4_PS7_PS2_ ; -- Begin function _ZN9rocsparseL33bsr2csr_block_per_row_8_32_kernelILj1024ELj32ElllEEv20rocsparse_direction_T3_S2_21rocsparse_index_base_PKT1_PKT2_PKS2_S2_S3_PS4_PS7_PS2_
	.p2align	8
	.type	_ZN9rocsparseL33bsr2csr_block_per_row_8_32_kernelILj1024ELj32ElllEEv20rocsparse_direction_T3_S2_21rocsparse_index_base_PKT1_PKT2_PKS2_S2_S3_PS4_PS7_PS2_,@function
_ZN9rocsparseL33bsr2csr_block_per_row_8_32_kernelILj1024ELj32ElllEEv20rocsparse_direction_T3_S2_21rocsparse_index_base_PKT1_PKT2_PKS2_S2_S3_PS4_PS7_PS2_: ; @_ZN9rocsparseL33bsr2csr_block_per_row_8_32_kernelILj1024ELj32ElllEEv20rocsparse_direction_T3_S2_21rocsparse_index_base_PKT1_PKT2_PKS2_S2_S3_PS4_PS7_PS2_
; %bb.0:
	s_load_dwordx2 s[0:1], s[4:5], 0x28
	s_load_dword s22, s[4:5], 0x40
	s_load_dwordx2 s[16:17], s[4:5], 0x50
	s_mov_b32 s9, 0
	s_mov_b32 s7, s9
	s_lshl_b64 s[2:3], s[6:7], 3
	s_waitcnt lgkmcnt(0)
	s_add_u32 s12, s0, s2
	v_or_b32_e32 v1, s6, v0
	s_addc_u32 s13, s1, s3
	v_cmp_eq_u32_e32 vcc, 0, v1
	s_and_saveexec_b64 s[0:1], vcc
	s_cbranch_execz .LBB100_2
; %bb.1:
	v_mov_b32_e32 v2, s22
	v_mov_b32_e32 v3, 0
	global_store_dwordx2 v3, v[2:3], s[16:17]
.LBB100_2:
	s_or_b64 exec, exec, s[0:1]
	s_load_dwordx2 s[10:11], s[4:5], 0x38
	v_mov_b32_e32 v5, 0
	v_and_b32_e32 v4, 31, v0
	v_lshrrev_b32_e32 v0, 5, v0
	v_mov_b32_e32 v1, v5
	s_waitcnt lgkmcnt(0)
	v_cmp_gt_i64_e32 vcc, s[10:11], v[0:1]
	v_cmp_gt_i64_e64 s[0:1], s[10:11], v[4:5]
	s_and_b64 s[0:1], vcc, s[0:1]
	s_and_saveexec_b64 s[2:3], s[0:1]
	s_cbranch_execz .LBB100_6
; %bb.3:
	s_load_dwordx4 s[0:3], s[12:13], 0x0
	s_load_dword s8, s[4:5], 0x18
	s_mul_i32 s7, s10, s11
	s_mul_hi_u32 s18, s10, s10
	v_lshlrev_b32_e32 v1, 3, v0
	s_waitcnt lgkmcnt(0)
	s_sub_u32 s12, s0, s8
	s_subb_u32 s13, s1, 0
	s_sub_u32 s14, s2, s8
	s_subb_u32 s15, s3, 0
	s_add_i32 s18, s18, s7
	s_add_i32 s19, s18, s7
	s_mul_i32 s18, s10, s10
	s_mul_i32 s7, s12, s19
	s_mul_hi_u32 s20, s12, s18
	s_add_i32 s7, s20, s7
	s_mul_i32 s20, s13, s18
	s_add_i32 s21, s7, s20
	s_sub_u32 s24, s14, s12
	s_subb_u32 s23, s15, s13
	s_mul_i32 s7, s24, s11
	s_mul_hi_u32 s25, s24, s10
	s_add_i32 s7, s25, s7
	s_mul_i32 s25, s23, s10
	s_add_i32 s7, s7, s25
	s_mul_i32 s28, s24, s10
	s_add_u32 s26, s28, s22
	s_mul_i32 s20, s12, s18
	s_addc_u32 s27, s7, 0
	s_add_u32 s26, s26, s20
	s_addc_u32 s27, s27, s21
	v_pk_mov_b32 v[2:3], s[26:27], s[26:27] op_sel:[0,1]
	v_mad_u64_u32 v[2:3], s[26:27], s28, v0, v[2:3]
	v_mov_b32_e32 v6, v3
	v_mad_u64_u32 v[6:7], s[26:27], s7, v0, v[6:7]
	s_mul_i32 s7, s6, s11
	s_mul_hi_u32 s26, s6, s10
	s_add_i32 s7, s26, s7
	s_mul_i32 s6, s6, s10
	s_lshl_b64 s[6:7], s[6:7], 3
	s_add_u32 s6, s16, s6
	v_mov_b32_e32 v3, v6
	s_addc_u32 s7, s17, s7
	global_store_dwordx2 v1, v[2:3], s[6:7] offset:8
	v_pk_mov_b32 v[2:3], s[2:3], s[2:3] op_sel:[0,1]
	v_cmp_ge_i64_e32 vcc, s[0:1], v[2:3]
	s_cbranch_vccnz .LBB100_6
; %bb.4:
	s_load_dwordx2 s[26:27], s[4:5], 0x30
	s_load_dwordx2 s[2:3], s[4:5], 0x48
	;; [unrolled: 1-line block ×4, first 2 shown]
	s_load_dword s28, s[4:5], 0x0
	v_mad_u64_u32 v[6:7], s[4:5], v4, s10, 0
	v_mov_b32_e32 v8, v7
	v_mad_u64_u32 v[8:9], s[4:5], v4, s11, v[8:9]
	v_mov_b32_e32 v3, s9
	v_add_co_u32_e32 v2, vcc, s22, v4
	v_mov_b32_e32 v7, v8
	v_addc_co_u32_e32 v3, vcc, 0, v3, vcc
	v_lshlrev_b64 v[6:7], 3, v[6:7]
	s_waitcnt lgkmcnt(0)
	v_mov_b32_e32 v5, s17
	v_add_co_u32_e32 v6, vcc, s16, v6
	v_addc_co_u32_e32 v7, vcc, v5, v7, vcc
	v_add_co_u32_e32 v1, vcc, v6, v1
	v_addc_co_u32_e32 v10, vcc, 0, v7, vcc
	v_mad_u64_u32 v[6:7], s[4:5], v0, s10, 0
	v_mov_b32_e32 v8, v7
	v_mad_u64_u32 v[8:9], s[4:5], v0, s11, v[8:9]
	v_mov_b32_e32 v7, v8
	v_lshlrev_b64 v[6:7], 3, v[6:7]
	v_add_co_u32_e32 v6, vcc, s16, v6
	v_addc_co_u32_e32 v5, vcc, v5, v7, vcc
	v_lshlrev_b32_e32 v9, 3, v4
	v_add_co_u32_e32 v4, vcc, v6, v9
	s_cmp_eq_u32 s28, 0
	v_addc_co_u32_e32 v5, vcc, 0, v5, vcc
	s_cselect_b64 vcc, -1, 0
	s_mul_i32 s16, s10, s13
	s_mul_hi_u32 s17, s10, s12
	v_cndmask_b32_e32 v1, v1, v4, vcc
	s_lshl_b64 s[4:5], s[20:21], 3
	s_add_i32 s16, s17, s16
	s_mul_i32 s17, s11, s12
	v_cndmask_b32_e32 v5, v10, v5, vcc
	v_mov_b32_e32 v6, s5
	v_add_co_u32_e32 v4, vcc, s4, v1
	s_add_i32 s16, s16, s17
	s_mul_i32 s17, s10, s12
	v_addc_co_u32_e32 v5, vcc, v5, v6, vcc
	v_mov_b32_e32 v6, s17
	v_mov_b32_e32 v7, s16
	v_mad_u64_u32 v[6:7], s[16:17], v0, s24, v[6:7]
	v_mov_b32_e32 v8, v7
	v_mad_u64_u32 v[0:1], s[16:17], v0, s23, v[8:9]
	v_mul_lo_u32 v8, s10, v0
	v_mad_u64_u32 v[0:1], s[16:17], s10, v6, 0
	s_lshl_b64 s[4:5], s[18:19], 3
	v_mul_lo_u32 v7, s11, v6
	s_lshl_b64 s[16:17], s[10:11], 3
	s_lshl_b64 s[0:1], s[0:1], 3
	;; [unrolled: 1-line block ×3, first 2 shown]
	v_add3_u32 v1, v1, v8, v7
	s_sub_u32 s0, s0, s18
	v_lshlrev_b64 v[0:1], 3, v[0:1]
	s_subb_u32 s1, s1, s19
	v_add_co_u32_e32 v0, vcc, v0, v9
	s_add_u32 s0, s26, s0
	v_addc_co_u32_e32 v1, vcc, 0, v1, vcc
	s_addc_u32 s1, s27, s1
	v_mov_b32_e32 v8, s10
	v_mov_b32_e32 v9, s7
	;; [unrolled: 1-line block ×5, first 2 shown]
	v_pk_mov_b32 v[6:7], s[14:15], s[14:15] op_sel:[0,1]
.LBB100_5:                              ; =>This Inner Loop Header: Depth=1
	global_load_dwordx2 v[14:15], v[4:5], off
	s_load_dwordx2 s[14:15], s[0:1], 0x0
	v_add_co_u32_e32 v16, vcc, s6, v0
	v_addc_co_u32_e32 v17, vcc, v9, v1, vcc
	v_add_co_u32_e32 v18, vcc, s2, v0
	s_waitcnt lgkmcnt(0)
	s_sub_u32 s3, s14, s8
	v_addc_co_u32_e32 v19, vcc, v10, v1, vcc
	s_subb_u32 s5, s15, 0
	v_add_co_u32_e32 v4, vcc, s4, v4
	s_mul_i32 s7, s3, s11
	s_mul_i32 s5, s5, s10
	v_addc_co_u32_e32 v5, vcc, v5, v11, vcc
	s_add_i32 s7, s7, s5
	v_add_co_u32_e32 v0, vcc, s16, v0
	s_add_u32 s12, s12, 1
	v_addc_co_u32_e32 v1, vcc, v1, v12, vcc
	s_addc_u32 s13, s13, 0
	v_mad_u64_u32 v[20:21], s[14:15], s3, v8, v[2:3]
	s_add_u32 s0, s0, 8
	v_cmp_lt_i64_e32 vcc, s[12:13], v[6:7]
	v_add_u32_e32 v21, s7, v21
	s_addc_u32 s1, s1, 0
	global_store_dwordx2 v[16:17], v[20:21], off
	s_waitcnt vmcnt(1)
	global_store_dwordx2 v[18:19], v[14:15], off
	s_cbranch_vccnz .LBB100_5
.LBB100_6:
	s_endpgm
	.section	.rodata,"a",@progbits
	.p2align	6, 0x0
	.amdhsa_kernel _ZN9rocsparseL33bsr2csr_block_per_row_8_32_kernelILj1024ELj32ElllEEv20rocsparse_direction_T3_S2_21rocsparse_index_base_PKT1_PKT2_PKS2_S2_S3_PS4_PS7_PS2_
		.amdhsa_group_segment_fixed_size 0
		.amdhsa_private_segment_fixed_size 0
		.amdhsa_kernarg_size 96
		.amdhsa_user_sgpr_count 6
		.amdhsa_user_sgpr_private_segment_buffer 1
		.amdhsa_user_sgpr_dispatch_ptr 0
		.amdhsa_user_sgpr_queue_ptr 0
		.amdhsa_user_sgpr_kernarg_segment_ptr 1
		.amdhsa_user_sgpr_dispatch_id 0
		.amdhsa_user_sgpr_flat_scratch_init 0
		.amdhsa_user_sgpr_kernarg_preload_length 0
		.amdhsa_user_sgpr_kernarg_preload_offset 0
		.amdhsa_user_sgpr_private_segment_size 0
		.amdhsa_uses_dynamic_stack 0
		.amdhsa_system_sgpr_private_segment_wavefront_offset 0
		.amdhsa_system_sgpr_workgroup_id_x 1
		.amdhsa_system_sgpr_workgroup_id_y 0
		.amdhsa_system_sgpr_workgroup_id_z 0
		.amdhsa_system_sgpr_workgroup_info 0
		.amdhsa_system_vgpr_workitem_id 0
		.amdhsa_next_free_vgpr 22
		.amdhsa_next_free_sgpr 29
		.amdhsa_accum_offset 24
		.amdhsa_reserve_vcc 1
		.amdhsa_reserve_flat_scratch 0
		.amdhsa_float_round_mode_32 0
		.amdhsa_float_round_mode_16_64 0
		.amdhsa_float_denorm_mode_32 3
		.amdhsa_float_denorm_mode_16_64 3
		.amdhsa_dx10_clamp 1
		.amdhsa_ieee_mode 1
		.amdhsa_fp16_overflow 0
		.amdhsa_tg_split 0
		.amdhsa_exception_fp_ieee_invalid_op 0
		.amdhsa_exception_fp_denorm_src 0
		.amdhsa_exception_fp_ieee_div_zero 0
		.amdhsa_exception_fp_ieee_overflow 0
		.amdhsa_exception_fp_ieee_underflow 0
		.amdhsa_exception_fp_ieee_inexact 0
		.amdhsa_exception_int_div_zero 0
	.end_amdhsa_kernel
	.section	.text._ZN9rocsparseL33bsr2csr_block_per_row_8_32_kernelILj1024ELj32ElllEEv20rocsparse_direction_T3_S2_21rocsparse_index_base_PKT1_PKT2_PKS2_S2_S3_PS4_PS7_PS2_,"axG",@progbits,_ZN9rocsparseL33bsr2csr_block_per_row_8_32_kernelILj1024ELj32ElllEEv20rocsparse_direction_T3_S2_21rocsparse_index_base_PKT1_PKT2_PKS2_S2_S3_PS4_PS7_PS2_,comdat
.Lfunc_end100:
	.size	_ZN9rocsparseL33bsr2csr_block_per_row_8_32_kernelILj1024ELj32ElllEEv20rocsparse_direction_T3_S2_21rocsparse_index_base_PKT1_PKT2_PKS2_S2_S3_PS4_PS7_PS2_, .Lfunc_end100-_ZN9rocsparseL33bsr2csr_block_per_row_8_32_kernelILj1024ELj32ElllEEv20rocsparse_direction_T3_S2_21rocsparse_index_base_PKT1_PKT2_PKS2_S2_S3_PS4_PS7_PS2_
                                        ; -- End function
	.section	.AMDGPU.csdata,"",@progbits
; Kernel info:
; codeLenInByte = 836
; NumSgprs: 33
; NumVgprs: 22
; NumAgprs: 0
; TotalNumVgprs: 22
; ScratchSize: 0
; MemoryBound: 0
; FloatMode: 240
; IeeeMode: 1
; LDSByteSize: 0 bytes/workgroup (compile time only)
; SGPRBlocks: 4
; VGPRBlocks: 2
; NumSGPRsForWavesPerEU: 33
; NumVGPRsForWavesPerEU: 22
; AccumOffset: 24
; Occupancy: 8
; WaveLimiterHint : 0
; COMPUTE_PGM_RSRC2:SCRATCH_EN: 0
; COMPUTE_PGM_RSRC2:USER_SGPR: 6
; COMPUTE_PGM_RSRC2:TRAP_HANDLER: 0
; COMPUTE_PGM_RSRC2:TGID_X_EN: 1
; COMPUTE_PGM_RSRC2:TGID_Y_EN: 0
; COMPUTE_PGM_RSRC2:TGID_Z_EN: 0
; COMPUTE_PGM_RSRC2:TIDIG_COMP_CNT: 0
; COMPUTE_PGM_RSRC3_GFX90A:ACCUM_OFFSET: 5
; COMPUTE_PGM_RSRC3_GFX90A:TG_SPLIT: 0
	.section	.text._ZN9rocsparseL35bsr2csr_block_per_row_33_256_kernelILj1024ELj64ELj32ElllEEv20rocsparse_direction_T4_S2_21rocsparse_index_base_PKT2_PKT3_PKS2_S2_S3_PS4_PS7_PS2_,"axG",@progbits,_ZN9rocsparseL35bsr2csr_block_per_row_33_256_kernelILj1024ELj64ELj32ElllEEv20rocsparse_direction_T4_S2_21rocsparse_index_base_PKT2_PKT3_PKS2_S2_S3_PS4_PS7_PS2_,comdat
	.globl	_ZN9rocsparseL35bsr2csr_block_per_row_33_256_kernelILj1024ELj64ELj32ElllEEv20rocsparse_direction_T4_S2_21rocsparse_index_base_PKT2_PKT3_PKS2_S2_S3_PS4_PS7_PS2_ ; -- Begin function _ZN9rocsparseL35bsr2csr_block_per_row_33_256_kernelILj1024ELj64ELj32ElllEEv20rocsparse_direction_T4_S2_21rocsparse_index_base_PKT2_PKT3_PKS2_S2_S3_PS4_PS7_PS2_
	.p2align	8
	.type	_ZN9rocsparseL35bsr2csr_block_per_row_33_256_kernelILj1024ELj64ELj32ElllEEv20rocsparse_direction_T4_S2_21rocsparse_index_base_PKT2_PKT3_PKS2_S2_S3_PS4_PS7_PS2_,@function
_ZN9rocsparseL35bsr2csr_block_per_row_33_256_kernelILj1024ELj64ELj32ElllEEv20rocsparse_direction_T4_S2_21rocsparse_index_base_PKT2_PKT3_PKS2_S2_S3_PS4_PS7_PS2_: ; @_ZN9rocsparseL35bsr2csr_block_per_row_33_256_kernelILj1024ELj64ELj32ElllEEv20rocsparse_direction_T4_S2_21rocsparse_index_base_PKT2_PKT3_PKS2_S2_S3_PS4_PS7_PS2_
; %bb.0:
	s_load_dwordx2 s[2:3], s[4:5], 0x28
	s_load_dword s12, s[4:5], 0x40
	s_load_dwordx2 s[0:1], s[4:5], 0x50
	s_mov_b32 s15, 0
	s_mov_b32 s7, s15
	s_lshl_b64 s[8:9], s[6:7], 3
	s_waitcnt lgkmcnt(0)
	s_add_u32 s2, s2, s8
	s_addc_u32 s3, s3, s9
	s_load_dwordx4 s[8:11], s[2:3], 0x0
	v_or_b32_e32 v1, s6, v0
	v_cmp_eq_u32_e32 vcc, 0, v1
	s_and_saveexec_b64 s[2:3], vcc
	s_cbranch_execz .LBB101_2
; %bb.1:
	s_mov_b32 s13, s15
	v_mov_b32_e32 v1, 0
	v_pk_mov_b32 v[2:3], s[12:13], s[12:13] op_sel:[0,1]
	global_store_dwordx2 v1, v[2:3], s[0:1]
.LBB101_2:
	s_or_b64 exec, exec, s[2:3]
	s_load_dword s14, s[4:5], 0x18
	s_load_dwordx2 s[16:17], s[4:5], 0x38
	v_mov_b32_e32 v15, 0
	v_lshrrev_b32_e32 v14, 5, v0
	v_lshlrev_b32_e32 v12, 3, v14
	s_waitcnt lgkmcnt(0)
	s_sub_u32 s18, s8, s14
	s_subb_u32 s19, s9, 0
	s_mul_i32 s2, s18, s17
	s_sub_u32 s20, s10, s14
	s_mul_hi_u32 s3, s18, s16
	s_subb_u32 s21, s11, 0
	s_add_i32 s2, s3, s2
	s_mul_i32 s3, s19, s16
	s_mul_i32 s30, s18, s16
	s_add_i32 s31, s2, s3
	s_mul_i32 s2, s30, s17
	s_mul_hi_u32 s3, s30, s16
	s_add_i32 s2, s3, s2
	s_mul_i32 s3, s31, s16
	s_add_i32 s2, s2, s3
	s_sub_u32 s33, s20, s18
	s_subb_u32 s13, s21, s19
	s_mul_i32 s7, s33, s17
	s_mul_hi_u32 s22, s33, s16
	s_add_i32 s7, s22, s7
	s_mul_i32 s22, s13, s16
	s_mul_i32 s3, s30, s16
	s_add_i32 s26, s7, s22
	s_add_u32 s3, s3, s12
	s_mul_i32 s27, s33, s16
	s_addc_u32 s2, s2, 0
	s_add_u32 s22, s3, s27
	s_addc_u32 s23, s2, s26
	s_mul_i32 s2, s6, s17
	s_mul_hi_u32 s3, s6, s16
	s_add_i32 s3, s3, s2
	s_mul_i32 s2, s6, s16
	s_lshl_b64 s[2:3], s[2:3], 3
	s_add_u32 s0, s0, s2
	s_addc_u32 s1, s1, s3
	v_cmp_gt_i64_e64 s[2:3], s[16:17], v[14:15]
	s_and_saveexec_b64 s[6:7], s[2:3]
	s_cbranch_execz .LBB101_4
; %bb.3:
	v_pk_mov_b32 v[2:3], s[22:23], s[22:23] op_sel:[0,1]
	v_mad_u64_u32 v[2:3], s[24:25], v14, s27, v[2:3]
	v_mov_b32_e32 v4, v3
	v_mad_u64_u32 v[4:5], s[24:25], v14, s26, v[4:5]
	v_mov_b32_e32 v3, v4
	global_store_dwordx2 v12, v[2:3], s[0:1] offset:8
.LBB101_4:
	s_or_b64 exec, exec, s[6:7]
	v_or_b32_e32 v2, 32, v14
	v_mov_b32_e32 v3, v15
	v_cmp_gt_i64_e64 s[6:7], s[16:17], v[2:3]
	s_and_saveexec_b64 s[24:25], s[6:7]
	s_cbranch_execz .LBB101_6
; %bb.5:
	v_pk_mov_b32 v[4:5], s[22:23], s[22:23] op_sel:[0,1]
	v_mad_u64_u32 v[4:5], s[22:23], v2, s27, v[4:5]
	v_mov_b32_e32 v6, v5
	s_add_u32 s0, s0, 8
	v_mad_u64_u32 v[2:3], s[22:23], v2, s26, v[6:7]
	s_addc_u32 s1, s1, 0
	v_mov_b32_e32 v5, v2
	global_store_dwordx2 v12, v[4:5], s[0:1] offset:256
.LBB101_6:
	s_or_b64 exec, exec, s[24:25]
	v_pk_mov_b32 v[2:3], s[10:11], s[10:11] op_sel:[0,1]
	v_cmp_lt_i64_e32 vcc, s[8:9], v[2:3]
	s_cbranch_vccz .LBB101_17
; %bb.7:
	s_load_dwordx2 s[28:29], s[4:5], 0x30
	s_load_dwordx2 s[34:35], s[4:5], 0x48
	s_load_dword s0, s[4:5], 0x0
	s_load_dwordx2 s[22:23], s[4:5], 0x20
	s_load_dwordx2 s[36:37], s[4:5], 0x58
	v_and_b32_e32 v0, 31, v0
	v_mov_b32_e32 v1, 0
	s_waitcnt lgkmcnt(0)
	s_cmp_eq_u32 s0, 0
	s_cselect_b64 s[0:1], -1, 0
	v_cmp_gt_i64_e32 vcc, s[16:17], v[0:1]
	v_or_b32_e32 v2, 32, v0
	v_mov_b32_e32 v3, v1
	s_lshl_b64 s[38:39], s[30:31], 3
	s_and_b64 s[24:25], s[2:3], vcc
	v_cmp_gt_i64_e64 s[4:5], s[16:17], v[2:3]
	s_and_b64 s[26:27], s[6:7], vcc
	v_mov_b32_e32 v13, v1
	v_mov_b32_e32 v1, s39
	v_add_co_u32_e32 v3, vcc, s38, v12
	v_addc_co_u32_e32 v5, vcc, 0, v1, vcc
	s_movk_i32 s42, 0x100
	v_add_co_u32_e32 v6, vcc, s42, v3
	v_addc_co_u32_e32 v7, vcc, 0, v5, vcc
	v_pk_mov_b32 v[8:9], s[22:23], s[22:23] op_sel:[0,1]
	s_and_b64 s[2:3], s[2:3], s[4:5]
	s_and_b64 s[4:5], s[6:7], s[4:5]
	v_lshlrev_b32_e32 v4, 3, v0
	v_mul_lo_u32 v10, s16, v7
	v_mul_lo_u32 v11, s17, v6
	v_mad_u64_u32 v[6:7], s[6:7], s16, v6, v[8:9]
	v_add3_u32 v7, v11, v7, v10
	v_mul_lo_u32 v10, s17, v3
	v_mad_u64_u32 v[8:9], s[40:41], s16, v3, v[8:9]
	v_add_co_u32_e32 v3, vcc, s38, v4
	v_mul_lo_u32 v5, s16, v5
	v_addc_co_u32_e32 v1, vcc, 0, v1, vcc
	v_add3_u32 v9, v10, v9, v5
	v_add_co_u32_e32 v5, vcc, s42, v3
	v_addc_co_u32_e32 v10, vcc, 0, v1, vcc
	v_mul_lo_u32 v15, s16, v10
	v_mul_lo_u32 v16, s17, v5
	v_mad_u64_u32 v[10:11], s[38:39], s16, v5, v[12:13]
	v_add3_u32 v11, v16, v11, v15
	v_pk_mov_b32 v[16:17], s[30:31], s[30:31] op_sel:[0,1]
	v_mad_u64_u32 v[16:17], s[30:31], v14, s33, v[16:17]
	v_mov_b32_e32 v18, v17
	s_mul_i32 s6, s16, s17
	s_mul_hi_u32 s7, s16, s16
	v_mul_lo_u32 v1, s16, v1
	v_mul_lo_u32 v5, s17, v3
	v_mad_u64_u32 v[12:13], s[38:39], s16, v3, v[12:13]
	v_mad_u64_u32 v[14:15], s[30:31], v14, s13, v[18:19]
	s_add_i32 s7, s7, s6
	v_add3_u32 v13, v5, v13, v1
	v_mov_b32_e32 v3, v14
	v_mul_lo_u32 v1, s17, v16
	v_mul_lo_u32 v5, s16, v14
	v_mad_u64_u32 v[14:15], s[30:31], s16, v16, 0
	s_add_i32 s7, s7, s6
	s_mul_i32 s6, s16, s16
	v_add3_u32 v15, v15, v5, v1
	s_lshl_b64 s[6:7], s[6:7], 3
	s_lshl_b64 s[38:39], s[8:9], 3
	;; [unrolled: 1-line block ×3, first 2 shown]
	v_lshlrev_b64 v[14:15], 3, v[14:15]
	s_sub_u32 s15, s38, s40
	v_add_co_u32_e32 v20, vcc, s42, v14
	s_subb_u32 s38, s39, s41
	v_addc_co_u32_e32 v15, vcc, 0, v15, vcc
	s_add_u32 s28, s28, s15
	v_mov_b32_e32 v5, s37
	v_add_co_u32_e32 v14, vcc, s36, v20
	s_addc_u32 s29, s29, s38
	v_addc_co_u32_e32 v1, vcc, v5, v15, vcc
	s_lshl_b64 s[10:11], s[10:11], 5
	v_mov_b32_e32 v17, s11
	v_add_co_u32_e32 v16, vcc, s10, v16
	v_addc_co_u32_e32 v3, vcc, v3, v17, vcc
	s_lshl_b64 s[8:9], s[8:9], 5
	v_mov_b32_e32 v17, s9
	v_subrev_co_u32_e32 v16, vcc, s8, v16
	v_subb_co_u32_e32 v3, vcc, v3, v17, vcc
	v_mul_lo_u32 v18, s17, v16
	v_mul_lo_u32 v3, s16, v3
	v_mad_u64_u32 v[16:17], s[8:9], s16, v16, 0
	v_add3_u32 v17, v17, v3, v18
	v_lshlrev_b64 v[18:19], 3, v[16:17]
	v_mov_b32_e32 v17, s35
	v_add_co_u32_e32 v16, vcc, s34, v18
	v_addc_co_u32_e32 v3, vcc, v17, v19, vcc
	v_add_co_u32_e32 v18, vcc, s36, v18
	v_addc_co_u32_e32 v5, vcc, v5, v19, vcc
	v_add_co_u32_e32 v20, vcc, s34, v20
	s_lshl_b64 s[30:31], s[16:17], 3
	v_addc_co_u32_e32 v15, vcc, v17, v15, vcc
	s_branch .LBB101_9
.LBB101_8:                              ;   in Loop: Header=BB101_9 Depth=1
	s_or_b64 exec, exec, s[8:9]
	v_mov_b32_e32 v17, s7
	v_add_co_u32_e32 v6, vcc, s6, v6
	v_addc_co_u32_e32 v7, vcc, v7, v17, vcc
	v_add_co_u32_e32 v8, vcc, s6, v8
	v_addc_co_u32_e32 v9, vcc, v9, v17, vcc
	v_mov_b32_e32 v17, s31
	v_add_co_u32_e32 v14, vcc, s30, v14
	v_addc_co_u32_e32 v1, vcc, v1, v17, vcc
	v_add_co_u32_e32 v16, vcc, s30, v16
	v_addc_co_u32_e32 v3, vcc, v3, v17, vcc
	s_add_u32 s18, s18, 1
	v_add_co_u32_e32 v18, vcc, s30, v18
	s_addc_u32 s19, s19, 0
	v_addc_co_u32_e32 v5, vcc, v5, v17, vcc
	s_add_u32 s22, s22, s6
	v_add_co_u32_e32 v20, vcc, s30, v20
	s_addc_u32 s23, s23, s7
	v_addc_co_u32_e32 v15, vcc, v15, v17, vcc
	v_pk_mov_b32 v[22:23], s[20:21], s[20:21] op_sel:[0,1]
	s_add_u32 s28, s28, 8
	v_cmp_ge_i64_e32 vcc, s[18:19], v[22:23]
	s_addc_u32 s29, s29, 0
	s_cbranch_vccnz .LBB101_17
.LBB101_9:                              ; =>This Inner Loop Header: Depth=1
	s_load_dwordx2 s[8:9], s[28:29], 0x0
	s_waitcnt lgkmcnt(0)
	s_sub_u32 s8, s8, s14
	s_subb_u32 s9, s9, 0
	s_mul_i32 s10, s8, s17
	s_mul_hi_u32 s11, s8, s16
	s_add_i32 s10, s11, s10
	s_mul_i32 s9, s9, s16
	s_add_i32 s9, s10, s9
	s_mul_i32 s8, s8, s16
	s_add_u32 s10, s8, s12
	s_addc_u32 s11, s9, 0
	s_and_saveexec_b64 s[8:9], s[24:25]
	s_cbranch_execnz .LBB101_13
; %bb.10:                               ;   in Loop: Header=BB101_9 Depth=1
	s_or_b64 exec, exec, s[8:9]
	s_and_saveexec_b64 s[8:9], s[2:3]
	s_cbranch_execnz .LBB101_14
.LBB101_11:                             ;   in Loop: Header=BB101_9 Depth=1
	s_or_b64 exec, exec, s[8:9]
	s_and_saveexec_b64 s[8:9], s[26:27]
	s_cbranch_execnz .LBB101_15
.LBB101_12:                             ;   in Loop: Header=BB101_9 Depth=1
	s_or_b64 exec, exec, s[8:9]
	s_and_saveexec_b64 s[8:9], s[4:5]
	s_cbranch_execz .LBB101_8
	s_branch .LBB101_16
.LBB101_13:                             ;   in Loop: Header=BB101_9 Depth=1
	v_add_co_u32_e32 v17, vcc, v8, v4
	v_addc_co_u32_e32 v19, vcc, 0, v9, vcc
	v_mov_b32_e32 v21, s23
	v_add_co_u32_e32 v22, vcc, s22, v12
	v_addc_co_u32_e32 v21, vcc, v21, v13, vcc
	v_cndmask_b32_e64 v23, v21, v19, s[0:1]
	v_cndmask_b32_e64 v22, v22, v17, s[0:1]
	global_load_dwordx2 v[22:23], v[22:23], off
	v_mov_b32_e32 v17, s11
	v_add_co_u32_e32 v24, vcc, s10, v0
	v_addc_co_u32_e32 v25, vcc, 0, v17, vcc
	v_add_co_u32_e32 v26, vcc, v14, v4
	v_addc_co_u32_e32 v27, vcc, 0, v1, vcc
	global_store_dwordx2 v[26:27], v[24:25], off offset:-256
	v_add_co_u32_e32 v24, vcc, v20, v4
	v_addc_co_u32_e32 v25, vcc, 0, v15, vcc
	s_waitcnt vmcnt(1)
	global_store_dwordx2 v[24:25], v[22:23], off offset:-256
	s_or_b64 exec, exec, s[8:9]
	s_and_saveexec_b64 s[8:9], s[2:3]
	s_cbranch_execz .LBB101_11
.LBB101_14:                             ;   in Loop: Header=BB101_9 Depth=1
	v_add_co_u32_e32 v17, vcc, v8, v4
	v_addc_co_u32_e32 v19, vcc, 0, v9, vcc
	v_add_co_u32_e32 v17, vcc, 0x100, v17
	v_addc_co_u32_e32 v19, vcc, 0, v19, vcc
	v_mov_b32_e32 v21, s23
	v_add_co_u32_e32 v22, vcc, s22, v10
	v_addc_co_u32_e32 v21, vcc, v21, v11, vcc
	v_cndmask_b32_e64 v23, v21, v19, s[0:1]
	v_cndmask_b32_e64 v22, v22, v17, s[0:1]
	global_load_dwordx2 v[22:23], v[22:23], off
	v_mov_b32_e32 v17, s11
	v_add_co_u32_e32 v24, vcc, s10, v2
	v_addc_co_u32_e32 v25, vcc, 0, v17, vcc
	v_add_co_u32_e32 v26, vcc, v14, v4
	v_addc_co_u32_e32 v27, vcc, 0, v1, vcc
	global_store_dwordx2 v[26:27], v[24:25], off
	v_add_co_u32_e32 v24, vcc, v20, v4
	v_addc_co_u32_e32 v25, vcc, 0, v15, vcc
	s_waitcnt vmcnt(1)
	global_store_dwordx2 v[24:25], v[22:23], off
	s_or_b64 exec, exec, s[8:9]
	s_and_saveexec_b64 s[8:9], s[26:27]
	s_cbranch_execz .LBB101_12
.LBB101_15:                             ;   in Loop: Header=BB101_9 Depth=1
	v_add_co_u32_e32 v17, vcc, v6, v4
	v_addc_co_u32_e32 v19, vcc, 0, v7, vcc
	v_mov_b32_e32 v21, s23
	v_add_co_u32_e32 v22, vcc, s22, v12
	v_addc_co_u32_e32 v21, vcc, v21, v13, vcc
	v_add_co_u32_e32 v22, vcc, 0x100, v22
	v_addc_co_u32_e32 v21, vcc, 0, v21, vcc
	v_cndmask_b32_e64 v23, v21, v19, s[0:1]
	v_cndmask_b32_e64 v22, v22, v17, s[0:1]
	global_load_dwordx2 v[22:23], v[22:23], off
	v_mov_b32_e32 v17, s11
	v_add_co_u32_e32 v24, vcc, s10, v0
	v_addc_co_u32_e32 v25, vcc, 0, v17, vcc
	v_add_co_u32_e32 v26, vcc, v18, v4
	v_addc_co_u32_e32 v27, vcc, 0, v5, vcc
	global_store_dwordx2 v[26:27], v[24:25], off
	v_add_co_u32_e32 v24, vcc, v16, v4
	v_addc_co_u32_e32 v25, vcc, 0, v3, vcc
	s_waitcnt vmcnt(1)
	global_store_dwordx2 v[24:25], v[22:23], off
	s_or_b64 exec, exec, s[8:9]
	s_and_saveexec_b64 s[8:9], s[4:5]
	s_cbranch_execz .LBB101_8
.LBB101_16:                             ;   in Loop: Header=BB101_9 Depth=1
	v_add_co_u32_e32 v17, vcc, v6, v4
	v_addc_co_u32_e32 v19, vcc, 0, v7, vcc
	v_mov_b32_e32 v21, s23
	v_add_co_u32_e32 v22, vcc, s22, v10
	v_addc_co_u32_e32 v21, vcc, v21, v11, vcc
	v_cndmask_b32_e64 v23, v21, v19, s[0:1]
	v_cndmask_b32_e64 v22, v22, v17, s[0:1]
	global_load_dwordx2 v[22:23], v[22:23], off offset:256
	v_mov_b32_e32 v17, s11
	v_add_co_u32_e32 v24, vcc, s10, v2
	v_addc_co_u32_e32 v25, vcc, 0, v17, vcc
	v_add_co_u32_e32 v26, vcc, v18, v4
	v_addc_co_u32_e32 v27, vcc, 0, v5, vcc
	global_store_dwordx2 v[26:27], v[24:25], off offset:256
	v_add_co_u32_e32 v24, vcc, v16, v4
	v_addc_co_u32_e32 v25, vcc, 0, v3, vcc
	s_waitcnt vmcnt(1)
	global_store_dwordx2 v[24:25], v[22:23], off offset:256
	s_branch .LBB101_8
.LBB101_17:
	s_endpgm
	.section	.rodata,"a",@progbits
	.p2align	6, 0x0
	.amdhsa_kernel _ZN9rocsparseL35bsr2csr_block_per_row_33_256_kernelILj1024ELj64ELj32ElllEEv20rocsparse_direction_T4_S2_21rocsparse_index_base_PKT2_PKT3_PKS2_S2_S3_PS4_PS7_PS2_
		.amdhsa_group_segment_fixed_size 0
		.amdhsa_private_segment_fixed_size 0
		.amdhsa_kernarg_size 96
		.amdhsa_user_sgpr_count 6
		.amdhsa_user_sgpr_private_segment_buffer 1
		.amdhsa_user_sgpr_dispatch_ptr 0
		.amdhsa_user_sgpr_queue_ptr 0
		.amdhsa_user_sgpr_kernarg_segment_ptr 1
		.amdhsa_user_sgpr_dispatch_id 0
		.amdhsa_user_sgpr_flat_scratch_init 0
		.amdhsa_user_sgpr_kernarg_preload_length 0
		.amdhsa_user_sgpr_kernarg_preload_offset 0
		.amdhsa_user_sgpr_private_segment_size 0
		.amdhsa_uses_dynamic_stack 0
		.amdhsa_system_sgpr_private_segment_wavefront_offset 0
		.amdhsa_system_sgpr_workgroup_id_x 1
		.amdhsa_system_sgpr_workgroup_id_y 0
		.amdhsa_system_sgpr_workgroup_id_z 0
		.amdhsa_system_sgpr_workgroup_info 0
		.amdhsa_system_vgpr_workitem_id 0
		.amdhsa_next_free_vgpr 28
		.amdhsa_next_free_sgpr 43
		.amdhsa_accum_offset 28
		.amdhsa_reserve_vcc 1
		.amdhsa_reserve_flat_scratch 0
		.amdhsa_float_round_mode_32 0
		.amdhsa_float_round_mode_16_64 0
		.amdhsa_float_denorm_mode_32 3
		.amdhsa_float_denorm_mode_16_64 3
		.amdhsa_dx10_clamp 1
		.amdhsa_ieee_mode 1
		.amdhsa_fp16_overflow 0
		.amdhsa_tg_split 0
		.amdhsa_exception_fp_ieee_invalid_op 0
		.amdhsa_exception_fp_denorm_src 0
		.amdhsa_exception_fp_ieee_div_zero 0
		.amdhsa_exception_fp_ieee_overflow 0
		.amdhsa_exception_fp_ieee_underflow 0
		.amdhsa_exception_fp_ieee_inexact 0
		.amdhsa_exception_int_div_zero 0
	.end_amdhsa_kernel
	.section	.text._ZN9rocsparseL35bsr2csr_block_per_row_33_256_kernelILj1024ELj64ELj32ElllEEv20rocsparse_direction_T4_S2_21rocsparse_index_base_PKT2_PKT3_PKS2_S2_S3_PS4_PS7_PS2_,"axG",@progbits,_ZN9rocsparseL35bsr2csr_block_per_row_33_256_kernelILj1024ELj64ELj32ElllEEv20rocsparse_direction_T4_S2_21rocsparse_index_base_PKT2_PKT3_PKS2_S2_S3_PS4_PS7_PS2_,comdat
.Lfunc_end101:
	.size	_ZN9rocsparseL35bsr2csr_block_per_row_33_256_kernelILj1024ELj64ELj32ElllEEv20rocsparse_direction_T4_S2_21rocsparse_index_base_PKT2_PKT3_PKS2_S2_S3_PS4_PS7_PS2_, .Lfunc_end101-_ZN9rocsparseL35bsr2csr_block_per_row_33_256_kernelILj1024ELj64ELj32ElllEEv20rocsparse_direction_T4_S2_21rocsparse_index_base_PKT2_PKT3_PKS2_S2_S3_PS4_PS7_PS2_
                                        ; -- End function
	.section	.AMDGPU.csdata,"",@progbits
; Kernel info:
; codeLenInByte = 1592
; NumSgprs: 47
; NumVgprs: 28
; NumAgprs: 0
; TotalNumVgprs: 28
; ScratchSize: 0
; MemoryBound: 0
; FloatMode: 240
; IeeeMode: 1
; LDSByteSize: 0 bytes/workgroup (compile time only)
; SGPRBlocks: 5
; VGPRBlocks: 3
; NumSGPRsForWavesPerEU: 47
; NumVGPRsForWavesPerEU: 28
; AccumOffset: 28
; Occupancy: 8
; WaveLimiterHint : 1
; COMPUTE_PGM_RSRC2:SCRATCH_EN: 0
; COMPUTE_PGM_RSRC2:USER_SGPR: 6
; COMPUTE_PGM_RSRC2:TRAP_HANDLER: 0
; COMPUTE_PGM_RSRC2:TGID_X_EN: 1
; COMPUTE_PGM_RSRC2:TGID_Y_EN: 0
; COMPUTE_PGM_RSRC2:TGID_Z_EN: 0
; COMPUTE_PGM_RSRC2:TIDIG_COMP_CNT: 0
; COMPUTE_PGM_RSRC3_GFX90A:ACCUM_OFFSET: 6
; COMPUTE_PGM_RSRC3_GFX90A:TG_SPLIT: 0
	.section	.text._ZN9rocsparseL35bsr2csr_block_per_row_33_256_kernelILj1024ELj128ELj32ElllEEv20rocsparse_direction_T4_S2_21rocsparse_index_base_PKT2_PKT3_PKS2_S2_S3_PS4_PS7_PS2_,"axG",@progbits,_ZN9rocsparseL35bsr2csr_block_per_row_33_256_kernelILj1024ELj128ELj32ElllEEv20rocsparse_direction_T4_S2_21rocsparse_index_base_PKT2_PKT3_PKS2_S2_S3_PS4_PS7_PS2_,comdat
	.globl	_ZN9rocsparseL35bsr2csr_block_per_row_33_256_kernelILj1024ELj128ELj32ElllEEv20rocsparse_direction_T4_S2_21rocsparse_index_base_PKT2_PKT3_PKS2_S2_S3_PS4_PS7_PS2_ ; -- Begin function _ZN9rocsparseL35bsr2csr_block_per_row_33_256_kernelILj1024ELj128ELj32ElllEEv20rocsparse_direction_T4_S2_21rocsparse_index_base_PKT2_PKT3_PKS2_S2_S3_PS4_PS7_PS2_
	.p2align	8
	.type	_ZN9rocsparseL35bsr2csr_block_per_row_33_256_kernelILj1024ELj128ELj32ElllEEv20rocsparse_direction_T4_S2_21rocsparse_index_base_PKT2_PKT3_PKS2_S2_S3_PS4_PS7_PS2_,@function
_ZN9rocsparseL35bsr2csr_block_per_row_33_256_kernelILj1024ELj128ELj32ElllEEv20rocsparse_direction_T4_S2_21rocsparse_index_base_PKT2_PKT3_PKS2_S2_S3_PS4_PS7_PS2_: ; @_ZN9rocsparseL35bsr2csr_block_per_row_33_256_kernelILj1024ELj128ELj32ElllEEv20rocsparse_direction_T4_S2_21rocsparse_index_base_PKT2_PKT3_PKS2_S2_S3_PS4_PS7_PS2_
; %bb.0:
	s_load_dwordx2 s[2:3], s[4:5], 0x28
	s_load_dword s20, s[4:5], 0x40
	s_load_dwordx2 s[0:1], s[4:5], 0x50
	s_mov_b32 s23, 0
	s_mov_b32 s7, s23
	s_lshl_b64 s[8:9], s[6:7], 3
	s_waitcnt lgkmcnt(0)
	s_add_u32 s2, s2, s8
	s_addc_u32 s3, s3, s9
	s_load_dwordx4 s[16:19], s[2:3], 0x0
	v_or_b32_e32 v1, s6, v0
	v_cmp_eq_u32_e32 vcc, 0, v1
	s_and_saveexec_b64 s[2:3], vcc
	s_cbranch_execz .LBB102_2
; %bb.1:
	s_mov_b32 s21, s23
	v_mov_b32_e32 v1, 0
	v_pk_mov_b32 v[2:3], s[20:21], s[20:21] op_sel:[0,1]
	global_store_dwordx2 v1, v[2:3], s[0:1]
.LBB102_2:
	s_or_b64 exec, exec, s[2:3]
	s_load_dword s22, s[4:5], 0x18
	s_load_dwordx2 s[24:25], s[4:5], 0x38
	v_mov_b32_e32 v27, 0
	v_lshrrev_b32_e32 v26, 5, v0
	v_lshlrev_b32_e32 v24, 3, v26
	s_waitcnt lgkmcnt(0)
	s_sub_u32 s26, s16, s22
	s_subb_u32 s27, s17, 0
	s_mul_i32 s2, s26, s25
	s_sub_u32 s28, s18, s22
	s_mul_hi_u32 s3, s26, s24
	s_subb_u32 s29, s19, 0
	s_add_i32 s2, s3, s2
	s_mul_i32 s3, s27, s24
	s_mul_i32 s56, s26, s24
	s_add_i32 s57, s2, s3
	s_mul_i32 s2, s56, s25
	s_mul_hi_u32 s3, s56, s24
	s_add_i32 s2, s3, s2
	s_mul_i32 s3, s57, s24
	s_add_i32 s2, s2, s3
	s_sub_u32 s33, s28, s26
	s_subb_u32 s21, s29, s27
	s_mul_i32 s7, s33, s25
	s_mul_hi_u32 s8, s33, s24
	s_add_i32 s7, s8, s7
	s_mul_i32 s8, s21, s24
	s_mul_i32 s3, s56, s24
	s_add_i32 s30, s7, s8
	s_add_u32 s3, s3, s20
	s_mul_i32 s31, s33, s24
	s_addc_u32 s2, s2, 0
	s_add_u32 s12, s3, s31
	s_addc_u32 s13, s2, s30
	s_mul_i32 s2, s6, s25
	s_mul_hi_u32 s3, s6, s24
	s_add_i32 s3, s3, s2
	s_mul_i32 s2, s6, s24
	s_lshl_b64 s[2:3], s[2:3], 3
	s_add_u32 s0, s0, s2
	s_addc_u32 s1, s1, s3
	v_cmp_gt_i64_e64 s[2:3], s[24:25], v[26:27]
	s_and_saveexec_b64 s[6:7], s[2:3]
	s_cbranch_execz .LBB102_4
; %bb.3:
	v_pk_mov_b32 v[2:3], s[12:13], s[12:13] op_sel:[0,1]
	v_mad_u64_u32 v[2:3], s[8:9], v26, s31, v[2:3]
	v_mov_b32_e32 v4, v3
	v_mad_u64_u32 v[4:5], s[8:9], v26, s30, v[4:5]
	v_mov_b32_e32 v3, v4
	global_store_dwordx2 v24, v[2:3], s[0:1] offset:8
.LBB102_4:
	s_or_b64 exec, exec, s[6:7]
	s_add_u32 s0, s0, 8
	v_or_b32_e32 v2, 32, v26
	v_mov_b32_e32 v3, v27
	s_addc_u32 s1, s1, 0
	v_cmp_gt_i64_e64 s[6:7], s[24:25], v[2:3]
	s_and_saveexec_b64 s[8:9], s[6:7]
	s_cbranch_execz .LBB102_6
; %bb.5:
	v_pk_mov_b32 v[4:5], s[12:13], s[12:13] op_sel:[0,1]
	v_mad_u64_u32 v[4:5], s[10:11], v2, s31, v[4:5]
	v_mov_b32_e32 v6, v5
	v_mad_u64_u32 v[2:3], s[10:11], v2, s30, v[6:7]
	v_mov_b32_e32 v5, v2
	global_store_dwordx2 v24, v[4:5], s[0:1] offset:256
.LBB102_6:
	s_or_b64 exec, exec, s[8:9]
	v_or_b32_e32 v2, 64, v26
	v_mov_b32_e32 v3, v27
	v_cmp_gt_i64_e64 s[8:9], s[24:25], v[2:3]
	s_and_saveexec_b64 s[10:11], s[8:9]
	s_cbranch_execz .LBB102_8
; %bb.7:
	v_pk_mov_b32 v[4:5], s[12:13], s[12:13] op_sel:[0,1]
	v_mad_u64_u32 v[4:5], s[14:15], v2, s31, v[4:5]
	v_mov_b32_e32 v6, v5
	v_mad_u64_u32 v[2:3], s[14:15], v2, s30, v[6:7]
	v_mov_b32_e32 v5, v2
	global_store_dwordx2 v24, v[4:5], s[0:1] offset:512
.LBB102_8:
	s_or_b64 exec, exec, s[10:11]
	v_or_b32_e32 v2, 0x60, v26
	v_mov_b32_e32 v3, v27
	v_cmp_gt_i64_e64 s[10:11], s[24:25], v[2:3]
	s_and_saveexec_b64 s[14:15], s[10:11]
	s_cbranch_execz .LBB102_10
; %bb.9:
	v_pk_mov_b32 v[4:5], s[12:13], s[12:13] op_sel:[0,1]
	v_mad_u64_u32 v[4:5], s[12:13], v2, s31, v[4:5]
	v_mov_b32_e32 v6, v5
	v_mad_u64_u32 v[2:3], s[12:13], v2, s30, v[6:7]
	v_mov_b32_e32 v5, v2
	global_store_dwordx2 v24, v[4:5], s[0:1] offset:768
.LBB102_10:
	s_or_b64 exec, exec, s[14:15]
	v_pk_mov_b32 v[2:3], s[18:19], s[18:19] op_sel:[0,1]
	v_cmp_lt_i64_e32 vcc, s[16:17], v[2:3]
	s_cbranch_vccz .LBB102_45
; %bb.11:
	s_load_dwordx2 s[54:55], s[4:5], 0x30
	s_load_dwordx2 s[58:59], s[4:5], 0x48
	s_load_dword s0, s[4:5], 0x0
	s_load_dwordx2 s[30:31], s[4:5], 0x20
	s_load_dwordx2 s[60:61], s[4:5], 0x58
	v_and_b32_e32 v0, 31, v0
	v_mov_b32_e32 v1, 0
	s_waitcnt lgkmcnt(0)
	s_cmp_eq_u32 s0, 0
	s_cselect_b64 s[0:1], -1, 0
	v_cmp_gt_i64_e32 vcc, s[24:25], v[0:1]
	v_or_b32_e32 v2, 32, v0
	v_mov_b32_e32 v3, v1
	s_lshl_b64 s[62:63], s[56:57], 3
	s_and_b64 s[34:35], s[2:3], vcc
	v_cmp_gt_i64_e64 s[4:5], s[24:25], v[2:3]
	v_or_b32_e32 v4, 64, v0
	v_mov_b32_e32 v5, v1
	v_mov_b32_e32 v7, v1
	s_and_b64 s[40:41], s[6:7], vcc
	s_and_b64 s[46:47], s[8:9], vcc
	;; [unrolled: 1-line block ×3, first 2 shown]
	v_mov_b32_e32 v25, v1
	v_mov_b32_e32 v1, s63
	v_add_co_u32_e32 v3, vcc, s62, v24
	v_cmp_gt_i64_e64 s[12:13], s[24:25], v[4:5]
	v_or_b32_e32 v6, 0x60, v0
	v_addc_co_u32_e32 v5, vcc, 0, v1, vcc
	s_movk_i32 s66, 0x300
	v_cmp_gt_i64_e64 s[14:15], s[24:25], v[6:7]
	v_add_co_u32_e32 v7, vcc, s66, v3
	v_addc_co_u32_e32 v9, vcc, 0, v5, vcc
	v_pk_mov_b32 v[16:17], s[30:31], s[30:31] op_sel:[0,1]
	s_movk_i32 s67, 0x200
	s_and_b64 s[36:37], s[2:3], s[4:5]
	s_and_b64 s[38:39], s[2:3], s[12:13]
	;; [unrolled: 1-line block ×12, first 2 shown]
	v_mul_lo_u32 v9, s24, v9
	v_mul_lo_u32 v12, s25, v7
	v_mad_u64_u32 v[10:11], s[14:15], s24, v7, v[16:17]
	v_add_co_u32_e32 v7, vcc, s67, v3
	v_add3_u32 v11, v12, v11, v9
	v_addc_co_u32_e32 v9, vcc, 0, v5, vcc
	s_movk_i32 s68, 0x100
	v_mul_lo_u32 v9, s24, v9
	v_mul_lo_u32 v14, s25, v7
	v_mad_u64_u32 v[12:13], s[64:65], s24, v7, v[16:17]
	v_add_co_u32_e32 v7, vcc, s68, v3
	v_lshlrev_b32_e32 v8, 3, v0
	v_add3_u32 v13, v14, v13, v9
	v_addc_co_u32_e32 v9, vcc, 0, v5, vcc
	v_mul_lo_u32 v18, s25, v7
	v_mad_u64_u32 v[14:15], s[64:65], s24, v7, v[16:17]
	v_mul_lo_u32 v7, s25, v3
	v_mad_u64_u32 v[16:17], s[64:65], s24, v3, v[16:17]
	v_add_co_u32_e32 v3, vcc, s62, v8
	v_mul_lo_u32 v9, s24, v9
	v_mul_lo_u32 v5, s24, v5
	v_addc_co_u32_e32 v1, vcc, 0, v1, vcc
	v_add3_u32 v15, v18, v15, v9
	v_add3_u32 v17, v7, v17, v5
	v_mul_lo_u32 v5, s24, v1
	v_mul_lo_u32 v7, s25, v3
	v_mad_u64_u32 v[18:19], s[62:63], s24, v3, v[24:25]
	v_add3_u32 v19, v7, v19, v5
	v_add_co_u32_e32 v5, vcc, s68, v3
	v_addc_co_u32_e32 v7, vcc, 0, v1, vcc
	v_mul_lo_u32 v7, s24, v7
	v_mul_lo_u32 v9, s25, v5
	v_mad_u64_u32 v[20:21], s[62:63], s24, v5, v[24:25]
	v_add_co_u32_e32 v5, vcc, s67, v3
	v_add3_u32 v21, v9, v21, v7
	v_addc_co_u32_e32 v7, vcc, 0, v1, vcc
	v_pk_mov_b32 v[28:29], s[56:57], s[56:57] op_sel:[0,1]
	v_add_co_u32_e32 v3, vcc, s66, v3
	v_mad_u64_u32 v[38:39], s[56:57], v26, s33, v[28:29]
	v_addc_co_u32_e32 v1, vcc, 0, v1, vcc
	v_mov_b32_e32 v28, v39
	s_mul_i32 s14, s24, s25
	s_mul_hi_u32 s15, s24, s24
	v_mul_lo_u32 v9, s25, v5
	v_mad_u64_u32 v[22:23], s[62:63], s24, v5, v[24:25]
	v_mul_lo_u32 v1, s24, v1
	v_mul_lo_u32 v5, s25, v3
	v_mad_u64_u32 v[24:25], s[62:63], s24, v3, v[24:25]
	v_mad_u64_u32 v[26:27], s[56:57], v26, s21, v[28:29]
	s_add_i32 s15, s15, s14
	v_add3_u32 v25, v5, v25, v1
	v_mov_b32_e32 v39, v26
	v_mul_lo_u32 v1, s25, v38
	v_mul_lo_u32 v3, s24, v26
	v_mad_u64_u32 v[26:27], s[56:57], s24, v38, 0
	s_add_i32 s15, s15, s14
	s_mul_i32 s14, s24, s24
	v_add3_u32 v27, v27, v3, v1
	s_lshl_b64 s[14:15], s[14:15], 3
	s_lshl_b64 s[62:63], s[16:17], 3
	;; [unrolled: 1-line block ×3, first 2 shown]
	v_lshlrev_b64 v[28:29], 3, v[26:27]
	s_sub_u32 s23, s62, s64
	v_mov_b32_e32 v42, s61
	v_add_co_u32_e32 v26, vcc, s60, v28
	s_subb_u32 s62, s63, s65
	v_addc_co_u32_e32 v1, vcc, v42, v29, vcc
	s_add_u32 s54, s54, s23
	v_mov_b32_e32 v43, s59
	v_add_co_u32_e32 v28, vcc, s58, v28
	v_mul_lo_u32 v7, s24, v7
	s_addc_u32 s55, s55, s62
	v_addc_co_u32_e32 v3, vcc, v43, v29, vcc
	s_lshl_b64 s[62:63], s[18:19], 5
	v_add3_u32 v23, v9, v23, v7
	v_mov_b32_e32 v5, s63
	v_add_co_u32_e32 v7, vcc, s62, v38
	v_addc_co_u32_e32 v5, vcc, v39, v5, vcc
	s_lshl_b64 s[62:63], s[16:17], 5
	v_mov_b32_e32 v9, s63
	v_subrev_co_u32_e32 v7, vcc, s62, v7
	v_subb_co_u32_e32 v5, vcc, v5, v9, vcc
	v_mul_lo_u32 v9, s25, v7
	v_mul_lo_u32 v5, s24, v5
	v_mad_u64_u32 v[30:31], s[62:63], s24, v7, 0
	v_add3_u32 v31, v31, v5, v9
	v_lshlrev_b64 v[32:33], 3, v[30:31]
	v_add_co_u32_e32 v30, vcc, s58, v32
	v_mov_b32_e32 v9, 0x60
	v_addc_co_u32_e32 v5, vcc, v43, v33, vcc
	v_mad_u64_u32 v[34:35], s[62:63], s18, v9, v[38:39]
	s_mul_i32 s21, s19, 0x60
	v_add_co_u32_e32 v32, vcc, s60, v32
	v_add_u32_e32 v9, s21, v35
	s_mul_i32 s21, s17, 0x60
	s_mul_hi_u32 s23, s16, 0x60
	v_addc_co_u32_e32 v7, vcc, v42, v33, vcc
	s_add_i32 s21, s23, s21
	s_mul_i32 s23, s16, 0x60
	v_mov_b32_e32 v27, s21
	v_subrev_co_u32_e32 v29, vcc, s23, v34
	v_subb_co_u32_e32 v9, vcc, v9, v27, vcc
	v_mul_lo_u32 v27, s25, v29
	v_mul_lo_u32 v9, s24, v9
	v_mad_u64_u32 v[34:35], s[62:63], s24, v29, 0
	v_add3_u32 v35, v35, v9, v27
	v_lshlrev_b64 v[36:37], 3, v[34:35]
	v_add_co_u32_e32 v34, vcc, s60, v36
	v_addc_co_u32_e32 v9, vcc, v42, v37, vcc
	v_add_co_u32_e32 v36, vcc, s58, v36
	v_addc_co_u32_e32 v27, vcc, v43, v37, vcc
	s_lshl_b64 s[18:19], s[18:19], 6
	v_mov_b32_e32 v29, s19
	v_add_co_u32_e32 v31, vcc, s18, v38
	v_addc_co_u32_e32 v29, vcc, v39, v29, vcc
	s_lshl_b64 s[16:17], s[16:17], 6
	v_mov_b32_e32 v33, s17
	v_subrev_co_u32_e32 v31, vcc, s16, v31
	v_subb_co_u32_e32 v29, vcc, v29, v33, vcc
	v_mul_lo_u32 v33, s25, v31
	v_mul_lo_u32 v29, s24, v29
	v_mad_u64_u32 v[38:39], s[16:17], s24, v31, 0
	v_add3_u32 v39, v39, v29, v33
	v_lshlrev_b64 v[40:41], 3, v[38:39]
	v_add_co_u32_e32 v38, vcc, s58, v40
	v_addc_co_u32_e32 v29, vcc, v43, v41, vcc
	v_add_co_u32_e32 v40, vcc, s60, v40
	s_lshl_b64 s[56:57], s[24:25], 3
	v_addc_co_u32_e32 v31, vcc, v42, v41, vcc
	s_branch .LBB102_13
.LBB102_12:                             ;   in Loop: Header=BB102_13 Depth=1
	s_or_b64 exec, exec, s[16:17]
	v_mov_b32_e32 v33, s15
	v_add_co_u32_e32 v10, vcc, s14, v10
	v_addc_co_u32_e32 v11, vcc, v11, v33, vcc
	v_add_co_u32_e32 v12, vcc, s14, v12
	v_addc_co_u32_e32 v13, vcc, v13, v33, vcc
	;; [unrolled: 2-line block ×4, first 2 shown]
	v_mov_b32_e32 v33, s57
	v_add_co_u32_e32 v26, vcc, s56, v26
	v_addc_co_u32_e32 v1, vcc, v1, v33, vcc
	v_add_co_u32_e32 v28, vcc, s56, v28
	v_addc_co_u32_e32 v3, vcc, v3, v33, vcc
	;; [unrolled: 2-line block ×6, first 2 shown]
	s_add_u32 s26, s26, 1
	v_add_co_u32_e32 v38, vcc, s56, v38
	s_addc_u32 s27, s27, 0
	v_addc_co_u32_e32 v29, vcc, v29, v33, vcc
	s_add_u32 s30, s30, s14
	v_add_co_u32_e32 v40, vcc, s56, v40
	s_addc_u32 s31, s31, s15
	v_addc_co_u32_e32 v31, vcc, v31, v33, vcc
	v_pk_mov_b32 v[42:43], s[28:29], s[28:29] op_sel:[0,1]
	s_add_u32 s54, s54, 8
	v_cmp_ge_i64_e32 vcc, s[26:27], v[42:43]
	s_addc_u32 s55, s55, 0
	s_cbranch_vccnz .LBB102_45
.LBB102_13:                             ; =>This Inner Loop Header: Depth=1
	s_load_dwordx2 s[16:17], s[54:55], 0x0
	s_waitcnt lgkmcnt(0)
	s_sub_u32 s16, s16, s22
	s_subb_u32 s17, s17, 0
	s_mul_i32 s18, s16, s25
	s_mul_hi_u32 s19, s16, s24
	s_add_i32 s18, s19, s18
	s_mul_i32 s17, s17, s24
	s_add_i32 s17, s18, s17
	s_mul_i32 s16, s16, s24
	s_add_u32 s18, s16, s20
	s_addc_u32 s19, s17, 0
	s_and_saveexec_b64 s[16:17], s[34:35]
	s_cbranch_execnz .LBB102_29
; %bb.14:                               ;   in Loop: Header=BB102_13 Depth=1
	s_or_b64 exec, exec, s[16:17]
	s_and_saveexec_b64 s[16:17], s[36:37]
	s_cbranch_execnz .LBB102_30
.LBB102_15:                             ;   in Loop: Header=BB102_13 Depth=1
	s_or_b64 exec, exec, s[16:17]
	s_and_saveexec_b64 s[16:17], s[38:39]
	s_cbranch_execnz .LBB102_31
.LBB102_16:                             ;   in Loop: Header=BB102_13 Depth=1
	s_or_b64 exec, exec, s[16:17]
	s_and_saveexec_b64 s[16:17], s[2:3]
	s_cbranch_execnz .LBB102_32
.LBB102_17:                             ;   in Loop: Header=BB102_13 Depth=1
	s_or_b64 exec, exec, s[16:17]
	s_and_saveexec_b64 s[16:17], s[40:41]
	s_cbranch_execnz .LBB102_33
.LBB102_18:                             ;   in Loop: Header=BB102_13 Depth=1
	s_or_b64 exec, exec, s[16:17]
	s_and_saveexec_b64 s[16:17], s[42:43]
	s_cbranch_execnz .LBB102_34
.LBB102_19:                             ;   in Loop: Header=BB102_13 Depth=1
	s_or_b64 exec, exec, s[16:17]
	s_and_saveexec_b64 s[16:17], s[44:45]
	s_cbranch_execnz .LBB102_35
.LBB102_20:                             ;   in Loop: Header=BB102_13 Depth=1
	s_or_b64 exec, exec, s[16:17]
	s_and_saveexec_b64 s[16:17], s[6:7]
	s_cbranch_execnz .LBB102_36
.LBB102_21:                             ;   in Loop: Header=BB102_13 Depth=1
	s_or_b64 exec, exec, s[16:17]
	s_and_saveexec_b64 s[16:17], s[46:47]
	s_cbranch_execnz .LBB102_37
.LBB102_22:                             ;   in Loop: Header=BB102_13 Depth=1
	s_or_b64 exec, exec, s[16:17]
	s_and_saveexec_b64 s[16:17], s[48:49]
	s_cbranch_execnz .LBB102_38
.LBB102_23:                             ;   in Loop: Header=BB102_13 Depth=1
	s_or_b64 exec, exec, s[16:17]
	s_and_saveexec_b64 s[16:17], s[50:51]
	s_cbranch_execnz .LBB102_39
.LBB102_24:                             ;   in Loop: Header=BB102_13 Depth=1
	s_or_b64 exec, exec, s[16:17]
	s_and_saveexec_b64 s[16:17], s[8:9]
	s_cbranch_execnz .LBB102_40
.LBB102_25:                             ;   in Loop: Header=BB102_13 Depth=1
	s_or_b64 exec, exec, s[16:17]
	s_and_saveexec_b64 s[16:17], s[52:53]
	s_cbranch_execnz .LBB102_41
.LBB102_26:                             ;   in Loop: Header=BB102_13 Depth=1
	s_or_b64 exec, exec, s[16:17]
	s_and_saveexec_b64 s[16:17], s[4:5]
	s_cbranch_execnz .LBB102_42
.LBB102_27:                             ;   in Loop: Header=BB102_13 Depth=1
	s_or_b64 exec, exec, s[16:17]
	s_and_saveexec_b64 s[16:17], s[12:13]
	s_cbranch_execnz .LBB102_43
.LBB102_28:                             ;   in Loop: Header=BB102_13 Depth=1
	s_or_b64 exec, exec, s[16:17]
	s_and_saveexec_b64 s[16:17], s[10:11]
	s_cbranch_execz .LBB102_12
	s_branch .LBB102_44
.LBB102_29:                             ;   in Loop: Header=BB102_13 Depth=1
	v_add_co_u32_e32 v33, vcc, v16, v8
	v_addc_co_u32_e32 v35, vcc, 0, v17, vcc
	v_mov_b32_e32 v37, s31
	v_add_co_u32_e32 v39, vcc, s30, v18
	v_addc_co_u32_e32 v37, vcc, v37, v19, vcc
	v_cndmask_b32_e64 v43, v37, v35, s[0:1]
	v_cndmask_b32_e64 v42, v39, v33, s[0:1]
	global_load_dwordx2 v[42:43], v[42:43], off
	v_mov_b32_e32 v33, s19
	v_add_co_u32_e32 v44, vcc, s18, v0
	v_addc_co_u32_e32 v45, vcc, 0, v33, vcc
	v_add_co_u32_e32 v46, vcc, v26, v8
	v_addc_co_u32_e32 v47, vcc, 0, v1, vcc
	global_store_dwordx2 v[46:47], v[44:45], off
	v_add_co_u32_e32 v44, vcc, v28, v8
	v_addc_co_u32_e32 v45, vcc, 0, v3, vcc
	s_waitcnt vmcnt(1)
	global_store_dwordx2 v[44:45], v[42:43], off
	s_or_b64 exec, exec, s[16:17]
	s_and_saveexec_b64 s[16:17], s[36:37]
	s_cbranch_execz .LBB102_15
.LBB102_30:                             ;   in Loop: Header=BB102_13 Depth=1
	v_add_co_u32_e32 v33, vcc, v16, v8
	v_addc_co_u32_e32 v35, vcc, 0, v17, vcc
	v_add_co_u32_e32 v33, vcc, 0x100, v33
	v_addc_co_u32_e32 v35, vcc, 0, v35, vcc
	v_mov_b32_e32 v37, s31
	v_add_co_u32_e32 v39, vcc, s30, v20
	v_addc_co_u32_e32 v37, vcc, v37, v21, vcc
	v_cndmask_b32_e64 v43, v37, v35, s[0:1]
	v_cndmask_b32_e64 v42, v39, v33, s[0:1]
	global_load_dwordx2 v[42:43], v[42:43], off
	v_mov_b32_e32 v33, s19
	v_add_co_u32_e32 v44, vcc, s18, v2
	v_addc_co_u32_e32 v45, vcc, 0, v33, vcc
	v_add_co_u32_e32 v46, vcc, v26, v8
	v_addc_co_u32_e32 v47, vcc, 0, v1, vcc
	global_store_dwordx2 v[46:47], v[44:45], off offset:256
	v_add_co_u32_e32 v44, vcc, v28, v8
	v_addc_co_u32_e32 v45, vcc, 0, v3, vcc
	s_waitcnt vmcnt(1)
	global_store_dwordx2 v[44:45], v[42:43], off offset:256
	s_or_b64 exec, exec, s[16:17]
	s_and_saveexec_b64 s[16:17], s[38:39]
	s_cbranch_execz .LBB102_16
.LBB102_31:                             ;   in Loop: Header=BB102_13 Depth=1
	v_add_co_u32_e32 v33, vcc, v16, v8
	v_addc_co_u32_e32 v35, vcc, 0, v17, vcc
	v_add_co_u32_e32 v33, vcc, 0x200, v33
	v_addc_co_u32_e32 v35, vcc, 0, v35, vcc
	v_mov_b32_e32 v37, s31
	v_add_co_u32_e32 v39, vcc, s30, v22
	v_addc_co_u32_e32 v37, vcc, v37, v23, vcc
	v_cndmask_b32_e64 v43, v37, v35, s[0:1]
	v_cndmask_b32_e64 v42, v39, v33, s[0:1]
	global_load_dwordx2 v[42:43], v[42:43], off
	v_mov_b32_e32 v33, s19
	v_add_co_u32_e32 v44, vcc, s18, v4
	v_addc_co_u32_e32 v45, vcc, 0, v33, vcc
	v_add_co_u32_e32 v46, vcc, v26, v8
	v_addc_co_u32_e32 v47, vcc, 0, v1, vcc
	global_store_dwordx2 v[46:47], v[44:45], off offset:512
	v_add_co_u32_e32 v44, vcc, v28, v8
	v_addc_co_u32_e32 v45, vcc, 0, v3, vcc
	s_waitcnt vmcnt(1)
	global_store_dwordx2 v[44:45], v[42:43], off offset:512
	s_or_b64 exec, exec, s[16:17]
	s_and_saveexec_b64 s[16:17], s[2:3]
	s_cbranch_execz .LBB102_17
.LBB102_32:                             ;   in Loop: Header=BB102_13 Depth=1
	v_add_co_u32_e32 v33, vcc, v16, v8
	v_addc_co_u32_e32 v35, vcc, 0, v17, vcc
	v_add_co_u32_e32 v33, vcc, 0x300, v33
	v_addc_co_u32_e32 v35, vcc, 0, v35, vcc
	v_mov_b32_e32 v37, s31
	v_add_co_u32_e32 v39, vcc, s30, v24
	v_addc_co_u32_e32 v37, vcc, v37, v25, vcc
	v_cndmask_b32_e64 v43, v37, v35, s[0:1]
	v_cndmask_b32_e64 v42, v39, v33, s[0:1]
	global_load_dwordx2 v[42:43], v[42:43], off
	v_mov_b32_e32 v33, s19
	v_add_co_u32_e32 v44, vcc, s18, v6
	v_addc_co_u32_e32 v45, vcc, 0, v33, vcc
	v_add_co_u32_e32 v46, vcc, v26, v8
	v_addc_co_u32_e32 v47, vcc, 0, v1, vcc
	global_store_dwordx2 v[46:47], v[44:45], off offset:768
	v_add_co_u32_e32 v44, vcc, v28, v8
	v_addc_co_u32_e32 v45, vcc, 0, v3, vcc
	s_waitcnt vmcnt(1)
	global_store_dwordx2 v[44:45], v[42:43], off offset:768
	s_or_b64 exec, exec, s[16:17]
	s_and_saveexec_b64 s[16:17], s[40:41]
	s_cbranch_execz .LBB102_18
.LBB102_33:                             ;   in Loop: Header=BB102_13 Depth=1
	v_add_co_u32_e32 v33, vcc, v14, v8
	v_addc_co_u32_e32 v35, vcc, 0, v15, vcc
	v_mov_b32_e32 v37, s31
	v_add_co_u32_e32 v39, vcc, s30, v18
	v_addc_co_u32_e32 v37, vcc, v37, v19, vcc
	v_add_co_u32_e32 v39, vcc, 0x100, v39
	v_addc_co_u32_e32 v37, vcc, 0, v37, vcc
	v_cndmask_b32_e64 v43, v37, v35, s[0:1]
	v_cndmask_b32_e64 v42, v39, v33, s[0:1]
	global_load_dwordx2 v[42:43], v[42:43], off
	v_mov_b32_e32 v33, s19
	v_add_co_u32_e32 v44, vcc, s18, v0
	v_addc_co_u32_e32 v45, vcc, 0, v33, vcc
	v_add_co_u32_e32 v46, vcc, v32, v8
	v_addc_co_u32_e32 v47, vcc, 0, v7, vcc
	global_store_dwordx2 v[46:47], v[44:45], off
	v_add_co_u32_e32 v44, vcc, v30, v8
	v_addc_co_u32_e32 v45, vcc, 0, v5, vcc
	s_waitcnt vmcnt(1)
	global_store_dwordx2 v[44:45], v[42:43], off
	s_or_b64 exec, exec, s[16:17]
	s_and_saveexec_b64 s[16:17], s[42:43]
	s_cbranch_execz .LBB102_19
.LBB102_34:                             ;   in Loop: Header=BB102_13 Depth=1
	v_add_co_u32_e32 v33, vcc, v14, v8
	v_addc_co_u32_e32 v35, vcc, 0, v15, vcc
	v_mov_b32_e32 v37, s31
	v_add_co_u32_e32 v39, vcc, s30, v20
	v_addc_co_u32_e32 v37, vcc, v37, v21, vcc
	v_cndmask_b32_e64 v43, v37, v35, s[0:1]
	v_cndmask_b32_e64 v42, v39, v33, s[0:1]
	global_load_dwordx2 v[42:43], v[42:43], off offset:256
	v_mov_b32_e32 v33, s19
	v_add_co_u32_e32 v44, vcc, s18, v2
	v_addc_co_u32_e32 v45, vcc, 0, v33, vcc
	v_add_co_u32_e32 v46, vcc, v32, v8
	v_addc_co_u32_e32 v47, vcc, 0, v7, vcc
	global_store_dwordx2 v[46:47], v[44:45], off offset:256
	v_add_co_u32_e32 v44, vcc, v30, v8
	v_addc_co_u32_e32 v45, vcc, 0, v5, vcc
	s_waitcnt vmcnt(1)
	global_store_dwordx2 v[44:45], v[42:43], off offset:256
	s_or_b64 exec, exec, s[16:17]
	s_and_saveexec_b64 s[16:17], s[44:45]
	s_cbranch_execz .LBB102_20
.LBB102_35:                             ;   in Loop: Header=BB102_13 Depth=1
	v_add_co_u32_e32 v33, vcc, v14, v8
	v_addc_co_u32_e32 v35, vcc, 0, v15, vcc
	v_add_co_u32_e32 v33, vcc, 0x200, v33
	v_addc_co_u32_e32 v35, vcc, 0, v35, vcc
	v_mov_b32_e32 v37, s31
	v_add_co_u32_e32 v39, vcc, s30, v22
	v_addc_co_u32_e32 v37, vcc, v37, v23, vcc
	v_add_co_u32_e32 v39, vcc, 0x100, v39
	v_addc_co_u32_e32 v37, vcc, 0, v37, vcc
	v_cndmask_b32_e64 v43, v37, v35, s[0:1]
	v_cndmask_b32_e64 v42, v39, v33, s[0:1]
	global_load_dwordx2 v[42:43], v[42:43], off
	v_mov_b32_e32 v33, s19
	v_add_co_u32_e32 v44, vcc, s18, v4
	v_addc_co_u32_e32 v45, vcc, 0, v33, vcc
	v_add_co_u32_e32 v46, vcc, v32, v8
	v_addc_co_u32_e32 v47, vcc, 0, v7, vcc
	global_store_dwordx2 v[46:47], v[44:45], off offset:512
	v_add_co_u32_e32 v44, vcc, v30, v8
	v_addc_co_u32_e32 v45, vcc, 0, v5, vcc
	s_waitcnt vmcnt(1)
	global_store_dwordx2 v[44:45], v[42:43], off offset:512
	s_or_b64 exec, exec, s[16:17]
	s_and_saveexec_b64 s[16:17], s[6:7]
	s_cbranch_execz .LBB102_21
.LBB102_36:                             ;   in Loop: Header=BB102_13 Depth=1
	v_add_co_u32_e32 v33, vcc, v14, v8
	v_addc_co_u32_e32 v35, vcc, 0, v15, vcc
	v_add_co_u32_e32 v33, vcc, 0x300, v33
	v_addc_co_u32_e32 v35, vcc, 0, v35, vcc
	v_mov_b32_e32 v37, s31
	v_add_co_u32_e32 v39, vcc, s30, v24
	v_addc_co_u32_e32 v37, vcc, v37, v25, vcc
	v_add_co_u32_e32 v39, vcc, 0x100, v39
	v_addc_co_u32_e32 v37, vcc, 0, v37, vcc
	v_cndmask_b32_e64 v43, v37, v35, s[0:1]
	v_cndmask_b32_e64 v42, v39, v33, s[0:1]
	global_load_dwordx2 v[42:43], v[42:43], off
	v_mov_b32_e32 v33, s19
	v_add_co_u32_e32 v44, vcc, s18, v6
	v_addc_co_u32_e32 v45, vcc, 0, v33, vcc
	v_add_co_u32_e32 v46, vcc, v32, v8
	v_addc_co_u32_e32 v47, vcc, 0, v7, vcc
	global_store_dwordx2 v[46:47], v[44:45], off offset:768
	v_add_co_u32_e32 v44, vcc, v30, v8
	v_addc_co_u32_e32 v45, vcc, 0, v5, vcc
	s_waitcnt vmcnt(1)
	global_store_dwordx2 v[44:45], v[42:43], off offset:768
	s_or_b64 exec, exec, s[16:17]
	s_and_saveexec_b64 s[16:17], s[46:47]
	s_cbranch_execz .LBB102_22
.LBB102_37:                             ;   in Loop: Header=BB102_13 Depth=1
	v_add_co_u32_e32 v33, vcc, v12, v8
	v_addc_co_u32_e32 v35, vcc, 0, v13, vcc
	v_mov_b32_e32 v37, s31
	v_add_co_u32_e32 v39, vcc, s30, v18
	v_addc_co_u32_e32 v37, vcc, v37, v19, vcc
	v_add_co_u32_e32 v39, vcc, 0x200, v39
	v_addc_co_u32_e32 v37, vcc, 0, v37, vcc
	v_cndmask_b32_e64 v43, v37, v35, s[0:1]
	v_cndmask_b32_e64 v42, v39, v33, s[0:1]
	global_load_dwordx2 v[42:43], v[42:43], off
	v_mov_b32_e32 v33, s19
	v_add_co_u32_e32 v44, vcc, s18, v0
	v_addc_co_u32_e32 v45, vcc, 0, v33, vcc
	v_add_co_u32_e32 v46, vcc, v40, v8
	v_addc_co_u32_e32 v47, vcc, 0, v31, vcc
	global_store_dwordx2 v[46:47], v[44:45], off
	v_add_co_u32_e32 v44, vcc, v38, v8
	v_addc_co_u32_e32 v45, vcc, 0, v29, vcc
	s_waitcnt vmcnt(1)
	global_store_dwordx2 v[44:45], v[42:43], off
	s_or_b64 exec, exec, s[16:17]
	s_and_saveexec_b64 s[16:17], s[48:49]
	s_cbranch_execz .LBB102_23
.LBB102_38:                             ;   in Loop: Header=BB102_13 Depth=1
	v_add_co_u32_e32 v33, vcc, v12, v8
	v_addc_co_u32_e32 v35, vcc, 0, v13, vcc
	v_add_co_u32_e32 v33, vcc, 0x100, v33
	v_addc_co_u32_e32 v35, vcc, 0, v35, vcc
	v_mov_b32_e32 v37, s31
	v_add_co_u32_e32 v39, vcc, s30, v20
	v_addc_co_u32_e32 v37, vcc, v37, v21, vcc
	v_add_co_u32_e32 v39, vcc, 0x200, v39
	v_addc_co_u32_e32 v37, vcc, 0, v37, vcc
	v_cndmask_b32_e64 v43, v37, v35, s[0:1]
	v_cndmask_b32_e64 v42, v39, v33, s[0:1]
	global_load_dwordx2 v[42:43], v[42:43], off
	v_mov_b32_e32 v33, s19
	v_add_co_u32_e32 v44, vcc, s18, v2
	v_addc_co_u32_e32 v45, vcc, 0, v33, vcc
	v_add_co_u32_e32 v46, vcc, v40, v8
	v_addc_co_u32_e32 v47, vcc, 0, v31, vcc
	global_store_dwordx2 v[46:47], v[44:45], off offset:256
	v_add_co_u32_e32 v44, vcc, v38, v8
	v_addc_co_u32_e32 v45, vcc, 0, v29, vcc
	s_waitcnt vmcnt(1)
	global_store_dwordx2 v[44:45], v[42:43], off offset:256
	s_or_b64 exec, exec, s[16:17]
	s_and_saveexec_b64 s[16:17], s[50:51]
	s_cbranch_execz .LBB102_24
.LBB102_39:                             ;   in Loop: Header=BB102_13 Depth=1
	v_add_co_u32_e32 v33, vcc, v12, v8
	v_addc_co_u32_e32 v35, vcc, 0, v13, vcc
	v_mov_b32_e32 v37, s31
	v_add_co_u32_e32 v39, vcc, s30, v22
	v_addc_co_u32_e32 v37, vcc, v37, v23, vcc
	v_cndmask_b32_e64 v43, v37, v35, s[0:1]
	v_cndmask_b32_e64 v42, v39, v33, s[0:1]
	global_load_dwordx2 v[42:43], v[42:43], off offset:512
	v_mov_b32_e32 v33, s19
	v_add_co_u32_e32 v44, vcc, s18, v4
	v_addc_co_u32_e32 v45, vcc, 0, v33, vcc
	v_add_co_u32_e32 v46, vcc, v40, v8
	v_addc_co_u32_e32 v47, vcc, 0, v31, vcc
	global_store_dwordx2 v[46:47], v[44:45], off offset:512
	v_add_co_u32_e32 v44, vcc, v38, v8
	v_addc_co_u32_e32 v45, vcc, 0, v29, vcc
	s_waitcnt vmcnt(1)
	global_store_dwordx2 v[44:45], v[42:43], off offset:512
	s_or_b64 exec, exec, s[16:17]
	s_and_saveexec_b64 s[16:17], s[8:9]
	s_cbranch_execz .LBB102_25
.LBB102_40:                             ;   in Loop: Header=BB102_13 Depth=1
	v_add_co_u32_e32 v33, vcc, v12, v8
	v_addc_co_u32_e32 v35, vcc, 0, v13, vcc
	v_add_co_u32_e32 v33, vcc, 0x300, v33
	v_addc_co_u32_e32 v35, vcc, 0, v35, vcc
	v_mov_b32_e32 v37, s31
	v_add_co_u32_e32 v39, vcc, s30, v24
	v_addc_co_u32_e32 v37, vcc, v37, v25, vcc
	v_add_co_u32_e32 v39, vcc, 0x200, v39
	v_addc_co_u32_e32 v37, vcc, 0, v37, vcc
	v_cndmask_b32_e64 v43, v37, v35, s[0:1]
	v_cndmask_b32_e64 v42, v39, v33, s[0:1]
	global_load_dwordx2 v[42:43], v[42:43], off
	v_mov_b32_e32 v33, s19
	v_add_co_u32_e32 v44, vcc, s18, v6
	v_addc_co_u32_e32 v45, vcc, 0, v33, vcc
	v_add_co_u32_e32 v46, vcc, v40, v8
	v_addc_co_u32_e32 v47, vcc, 0, v31, vcc
	global_store_dwordx2 v[46:47], v[44:45], off offset:768
	v_add_co_u32_e32 v44, vcc, v38, v8
	v_addc_co_u32_e32 v45, vcc, 0, v29, vcc
	s_waitcnt vmcnt(1)
	global_store_dwordx2 v[44:45], v[42:43], off offset:768
	s_or_b64 exec, exec, s[16:17]
	s_and_saveexec_b64 s[16:17], s[52:53]
	s_cbranch_execz .LBB102_26
.LBB102_41:                             ;   in Loop: Header=BB102_13 Depth=1
	v_add_co_u32_e32 v33, vcc, v10, v8
	v_addc_co_u32_e32 v35, vcc, 0, v11, vcc
	v_mov_b32_e32 v37, s31
	v_add_co_u32_e32 v39, vcc, s30, v18
	v_addc_co_u32_e32 v37, vcc, v37, v19, vcc
	v_add_co_u32_e32 v39, vcc, 0x300, v39
	v_addc_co_u32_e32 v37, vcc, 0, v37, vcc
	v_cndmask_b32_e64 v43, v37, v35, s[0:1]
	v_cndmask_b32_e64 v42, v39, v33, s[0:1]
	global_load_dwordx2 v[42:43], v[42:43], off
	v_mov_b32_e32 v33, s19
	v_add_co_u32_e32 v44, vcc, s18, v0
	v_addc_co_u32_e32 v45, vcc, 0, v33, vcc
	v_add_co_u32_e32 v46, vcc, v34, v8
	v_addc_co_u32_e32 v47, vcc, 0, v9, vcc
	global_store_dwordx2 v[46:47], v[44:45], off
	v_add_co_u32_e32 v44, vcc, v36, v8
	v_addc_co_u32_e32 v45, vcc, 0, v27, vcc
	s_waitcnt vmcnt(1)
	global_store_dwordx2 v[44:45], v[42:43], off
	s_or_b64 exec, exec, s[16:17]
	s_and_saveexec_b64 s[16:17], s[4:5]
	s_cbranch_execz .LBB102_27
.LBB102_42:                             ;   in Loop: Header=BB102_13 Depth=1
	v_add_co_u32_e32 v33, vcc, v10, v8
	v_addc_co_u32_e32 v35, vcc, 0, v11, vcc
	v_add_co_u32_e32 v33, vcc, 0x100, v33
	v_addc_co_u32_e32 v35, vcc, 0, v35, vcc
	v_mov_b32_e32 v37, s31
	v_add_co_u32_e32 v39, vcc, s30, v20
	v_addc_co_u32_e32 v37, vcc, v37, v21, vcc
	v_add_co_u32_e32 v39, vcc, 0x300, v39
	v_addc_co_u32_e32 v37, vcc, 0, v37, vcc
	v_cndmask_b32_e64 v43, v37, v35, s[0:1]
	v_cndmask_b32_e64 v42, v39, v33, s[0:1]
	global_load_dwordx2 v[42:43], v[42:43], off
	v_mov_b32_e32 v33, s19
	v_add_co_u32_e32 v44, vcc, s18, v2
	v_addc_co_u32_e32 v45, vcc, 0, v33, vcc
	v_add_co_u32_e32 v46, vcc, v34, v8
	v_addc_co_u32_e32 v47, vcc, 0, v9, vcc
	global_store_dwordx2 v[46:47], v[44:45], off offset:256
	v_add_co_u32_e32 v44, vcc, v36, v8
	v_addc_co_u32_e32 v45, vcc, 0, v27, vcc
	s_waitcnt vmcnt(1)
	global_store_dwordx2 v[44:45], v[42:43], off offset:256
	s_or_b64 exec, exec, s[16:17]
	s_and_saveexec_b64 s[16:17], s[12:13]
	s_cbranch_execz .LBB102_28
.LBB102_43:                             ;   in Loop: Header=BB102_13 Depth=1
	v_add_co_u32_e32 v33, vcc, v10, v8
	v_addc_co_u32_e32 v35, vcc, 0, v11, vcc
	v_add_co_u32_e32 v33, vcc, 0x200, v33
	v_addc_co_u32_e32 v35, vcc, 0, v35, vcc
	v_mov_b32_e32 v37, s31
	v_add_co_u32_e32 v39, vcc, s30, v22
	v_addc_co_u32_e32 v37, vcc, v37, v23, vcc
	v_add_co_u32_e32 v39, vcc, 0x300, v39
	v_addc_co_u32_e32 v37, vcc, 0, v37, vcc
	v_cndmask_b32_e64 v43, v37, v35, s[0:1]
	v_cndmask_b32_e64 v42, v39, v33, s[0:1]
	global_load_dwordx2 v[42:43], v[42:43], off
	v_mov_b32_e32 v33, s19
	v_add_co_u32_e32 v44, vcc, s18, v4
	v_addc_co_u32_e32 v45, vcc, 0, v33, vcc
	v_add_co_u32_e32 v46, vcc, v34, v8
	v_addc_co_u32_e32 v47, vcc, 0, v9, vcc
	global_store_dwordx2 v[46:47], v[44:45], off offset:512
	v_add_co_u32_e32 v44, vcc, v36, v8
	v_addc_co_u32_e32 v45, vcc, 0, v27, vcc
	s_waitcnt vmcnt(1)
	global_store_dwordx2 v[44:45], v[42:43], off offset:512
	s_or_b64 exec, exec, s[16:17]
	s_and_saveexec_b64 s[16:17], s[10:11]
	s_cbranch_execz .LBB102_12
.LBB102_44:                             ;   in Loop: Header=BB102_13 Depth=1
	v_add_co_u32_e32 v33, vcc, v10, v8
	v_addc_co_u32_e32 v35, vcc, 0, v11, vcc
	v_mov_b32_e32 v37, s31
	v_add_co_u32_e32 v39, vcc, s30, v24
	v_addc_co_u32_e32 v37, vcc, v37, v25, vcc
	v_cndmask_b32_e64 v43, v37, v35, s[0:1]
	v_cndmask_b32_e64 v42, v39, v33, s[0:1]
	global_load_dwordx2 v[42:43], v[42:43], off offset:768
	v_mov_b32_e32 v33, s19
	v_add_co_u32_e32 v44, vcc, s18, v6
	v_addc_co_u32_e32 v45, vcc, 0, v33, vcc
	v_add_co_u32_e32 v46, vcc, v34, v8
	v_addc_co_u32_e32 v47, vcc, 0, v9, vcc
	global_store_dwordx2 v[46:47], v[44:45], off offset:768
	v_add_co_u32_e32 v44, vcc, v36, v8
	v_addc_co_u32_e32 v45, vcc, 0, v27, vcc
	s_waitcnt vmcnt(1)
	global_store_dwordx2 v[44:45], v[42:43], off offset:768
	s_branch .LBB102_12
.LBB102_45:
	s_endpgm
	.section	.rodata,"a",@progbits
	.p2align	6, 0x0
	.amdhsa_kernel _ZN9rocsparseL35bsr2csr_block_per_row_33_256_kernelILj1024ELj128ELj32ElllEEv20rocsparse_direction_T4_S2_21rocsparse_index_base_PKT2_PKT3_PKS2_S2_S3_PS4_PS7_PS2_
		.amdhsa_group_segment_fixed_size 0
		.amdhsa_private_segment_fixed_size 0
		.amdhsa_kernarg_size 96
		.amdhsa_user_sgpr_count 6
		.amdhsa_user_sgpr_private_segment_buffer 1
		.amdhsa_user_sgpr_dispatch_ptr 0
		.amdhsa_user_sgpr_queue_ptr 0
		.amdhsa_user_sgpr_kernarg_segment_ptr 1
		.amdhsa_user_sgpr_dispatch_id 0
		.amdhsa_user_sgpr_flat_scratch_init 0
		.amdhsa_user_sgpr_kernarg_preload_length 0
		.amdhsa_user_sgpr_kernarg_preload_offset 0
		.amdhsa_user_sgpr_private_segment_size 0
		.amdhsa_uses_dynamic_stack 0
		.amdhsa_system_sgpr_private_segment_wavefront_offset 0
		.amdhsa_system_sgpr_workgroup_id_x 1
		.amdhsa_system_sgpr_workgroup_id_y 0
		.amdhsa_system_sgpr_workgroup_id_z 0
		.amdhsa_system_sgpr_workgroup_info 0
		.amdhsa_system_vgpr_workitem_id 0
		.amdhsa_next_free_vgpr 48
		.amdhsa_next_free_sgpr 69
		.amdhsa_accum_offset 48
		.amdhsa_reserve_vcc 1
		.amdhsa_reserve_flat_scratch 0
		.amdhsa_float_round_mode_32 0
		.amdhsa_float_round_mode_16_64 0
		.amdhsa_float_denorm_mode_32 3
		.amdhsa_float_denorm_mode_16_64 3
		.amdhsa_dx10_clamp 1
		.amdhsa_ieee_mode 1
		.amdhsa_fp16_overflow 0
		.amdhsa_tg_split 0
		.amdhsa_exception_fp_ieee_invalid_op 0
		.amdhsa_exception_fp_denorm_src 0
		.amdhsa_exception_fp_ieee_div_zero 0
		.amdhsa_exception_fp_ieee_overflow 0
		.amdhsa_exception_fp_ieee_underflow 0
		.amdhsa_exception_fp_ieee_inexact 0
		.amdhsa_exception_int_div_zero 0
	.end_amdhsa_kernel
	.section	.text._ZN9rocsparseL35bsr2csr_block_per_row_33_256_kernelILj1024ELj128ELj32ElllEEv20rocsparse_direction_T4_S2_21rocsparse_index_base_PKT2_PKT3_PKS2_S2_S3_PS4_PS7_PS2_,"axG",@progbits,_ZN9rocsparseL35bsr2csr_block_per_row_33_256_kernelILj1024ELj128ELj32ElllEEv20rocsparse_direction_T4_S2_21rocsparse_index_base_PKT2_PKT3_PKS2_S2_S3_PS4_PS7_PS2_,comdat
.Lfunc_end102:
	.size	_ZN9rocsparseL35bsr2csr_block_per_row_33_256_kernelILj1024ELj128ELj32ElllEEv20rocsparse_direction_T4_S2_21rocsparse_index_base_PKT2_PKT3_PKS2_S2_S3_PS4_PS7_PS2_, .Lfunc_end102-_ZN9rocsparseL35bsr2csr_block_per_row_33_256_kernelILj1024ELj128ELj32ElllEEv20rocsparse_direction_T4_S2_21rocsparse_index_base_PKT2_PKT3_PKS2_S2_S3_PS4_PS7_PS2_
                                        ; -- End function
	.section	.AMDGPU.csdata,"",@progbits
; Kernel info:
; codeLenInByte = 3820
; NumSgprs: 73
; NumVgprs: 48
; NumAgprs: 0
; TotalNumVgprs: 48
; ScratchSize: 0
; MemoryBound: 0
; FloatMode: 240
; IeeeMode: 1
; LDSByteSize: 0 bytes/workgroup (compile time only)
; SGPRBlocks: 9
; VGPRBlocks: 5
; NumSGPRsForWavesPerEU: 73
; NumVGPRsForWavesPerEU: 48
; AccumOffset: 48
; Occupancy: 8
; WaveLimiterHint : 1
; COMPUTE_PGM_RSRC2:SCRATCH_EN: 0
; COMPUTE_PGM_RSRC2:USER_SGPR: 6
; COMPUTE_PGM_RSRC2:TRAP_HANDLER: 0
; COMPUTE_PGM_RSRC2:TGID_X_EN: 1
; COMPUTE_PGM_RSRC2:TGID_Y_EN: 0
; COMPUTE_PGM_RSRC2:TGID_Z_EN: 0
; COMPUTE_PGM_RSRC2:TIDIG_COMP_CNT: 0
; COMPUTE_PGM_RSRC3_GFX90A:ACCUM_OFFSET: 11
; COMPUTE_PGM_RSRC3_GFX90A:TG_SPLIT: 0
	.section	.text._ZN9rocsparseL35bsr2csr_block_per_row_33_256_kernelILj1024ELj256ELj32ElllEEv20rocsparse_direction_T4_S2_21rocsparse_index_base_PKT2_PKT3_PKS2_S2_S3_PS4_PS7_PS2_,"axG",@progbits,_ZN9rocsparseL35bsr2csr_block_per_row_33_256_kernelILj1024ELj256ELj32ElllEEv20rocsparse_direction_T4_S2_21rocsparse_index_base_PKT2_PKT3_PKS2_S2_S3_PS4_PS7_PS2_,comdat
	.globl	_ZN9rocsparseL35bsr2csr_block_per_row_33_256_kernelILj1024ELj256ELj32ElllEEv20rocsparse_direction_T4_S2_21rocsparse_index_base_PKT2_PKT3_PKS2_S2_S3_PS4_PS7_PS2_ ; -- Begin function _ZN9rocsparseL35bsr2csr_block_per_row_33_256_kernelILj1024ELj256ELj32ElllEEv20rocsparse_direction_T4_S2_21rocsparse_index_base_PKT2_PKT3_PKS2_S2_S3_PS4_PS7_PS2_
	.p2align	8
	.type	_ZN9rocsparseL35bsr2csr_block_per_row_33_256_kernelILj1024ELj256ELj32ElllEEv20rocsparse_direction_T4_S2_21rocsparse_index_base_PKT2_PKT3_PKS2_S2_S3_PS4_PS7_PS2_,@function
_ZN9rocsparseL35bsr2csr_block_per_row_33_256_kernelILj1024ELj256ELj32ElllEEv20rocsparse_direction_T4_S2_21rocsparse_index_base_PKT2_PKT3_PKS2_S2_S3_PS4_PS7_PS2_: ; @_ZN9rocsparseL35bsr2csr_block_per_row_33_256_kernelILj1024ELj256ELj32ElllEEv20rocsparse_direction_T4_S2_21rocsparse_index_base_PKT2_PKT3_PKS2_S2_S3_PS4_PS7_PS2_
; %bb.0:
	s_load_dwordx2 s[0:1], s[4:5], 0x28
	s_load_dword s10, s[4:5], 0x40
	s_load_dwordx2 s[2:3], s[4:5], 0x50
	s_mov_b32 s11, 0
	s_mov_b32 s7, s11
	s_lshl_b64 s[8:9], s[6:7], 3
	s_waitcnt lgkmcnt(0)
	s_add_u32 s0, s0, s8
	s_addc_u32 s1, s1, s9
	s_load_dwordx4 s[20:23], s[0:1], 0x0
	v_or_b32_e32 v1, s6, v0
	v_cmp_eq_u32_e32 vcc, 0, v1
	s_and_saveexec_b64 s[0:1], vcc
	s_cbranch_execz .LBB103_2
; %bb.1:
	v_mov_b32_e32 v1, 0
	v_pk_mov_b32 v[2:3], s[10:11], s[10:11] op_sel:[0,1]
	global_store_dwordx2 v1, v[2:3], s[2:3]
.LBB103_2:
	s_or_b64 exec, exec, s[0:1]
	s_load_dword s1, s[4:5], 0x18
	s_load_dwordx2 s[40:41], s[4:5], 0x38
                                        ; implicit-def: $vgpr77 : SGPR spill to VGPR lane
	v_mov_b32_e32 v23, 0
	v_lshrrev_b32_e32 v22, 5, v0
	v_lshlrev_b32_e32 v58, 3, v22
	s_waitcnt lgkmcnt(0)
	s_sub_u32 s50, s20, s1
	s_subb_u32 s51, s21, 0
	s_mul_i32 s0, s50, s41
	v_writelane_b32 v77, s1, 0
	s_sub_u32 s44, s22, s1
	s_mul_hi_u32 s1, s50, s40
	s_subb_u32 s45, s23, 0
	s_add_i32 s0, s1, s0
	s_mul_i32 s1, s51, s40
	s_add_i32 s0, s0, s1
	s_mul_i32 s1, s50, s40
	s_mul_i32 s7, s1, s41
	s_mul_hi_u32 s8, s1, s40
	s_add_i32 s7, s8, s7
	s_mul_i32 s0, s0, s40
	s_add_i32 s7, s7, s0
	s_sub_u32 s38, s44, s50
	s_subb_u32 s39, s45, s51
	s_mul_i32 s0, s38, s41
	s_mul_hi_u32 s8, s38, s40
	s_add_i32 s0, s8, s0
	s_mul_i32 s8, s39, s40
	s_mul_i32 s1, s1, s40
	s_add_i32 s28, s0, s8
	s_mov_b32 s0, s10
	v_writelane_b32 v77, s0, 1
	v_writelane_b32 v77, s1, 2
	s_add_u32 s0, s1, s10
	s_mul_i32 s29, s38, s40
	s_addc_u32 s1, s7, 0
	s_add_u32 s0, s0, s29
	s_mul_i32 s7, s6, s41
	s_mul_hi_u32 s8, s6, s40
	s_addc_u32 s1, s1, s28
	s_add_i32 s7, s8, s7
	s_mul_i32 s6, s6, s40
	s_lshl_b64 s[6:7], s[6:7], 3
	s_add_u32 s2, s2, s6
	s_addc_u32 s3, s3, s7
	v_cmp_gt_i64_e64 s[6:7], s[40:41], v[22:23]
	s_and_saveexec_b64 s[8:9], s[6:7]
	s_cbranch_execz .LBB103_4
; %bb.3:
	v_pk_mov_b32 v[2:3], s[0:1], s[0:1] op_sel:[0,1]
	v_mad_u64_u32 v[2:3], s[10:11], v22, s29, v[2:3]
	v_mov_b32_e32 v4, v3
	v_mad_u64_u32 v[4:5], s[10:11], v22, s28, v[4:5]
	v_mov_b32_e32 v3, v4
	global_store_dwordx2 v58, v[2:3], s[2:3] offset:8
.LBB103_4:
	s_or_b64 exec, exec, s[8:9]
	s_add_u32 s24, s2, 8
	v_or_b32_e32 v2, 32, v22
	v_mov_b32_e32 v3, v23
	s_addc_u32 s25, s3, 0
	v_cmp_gt_i64_e64 s[2:3], s[40:41], v[2:3]
	s_and_saveexec_b64 s[8:9], s[2:3]
	s_cbranch_execz .LBB103_6
; %bb.5:
	v_pk_mov_b32 v[4:5], s[0:1], s[0:1] op_sel:[0,1]
	v_mad_u64_u32 v[4:5], s[10:11], v2, s29, v[4:5]
	v_mov_b32_e32 v6, v5
	v_mad_u64_u32 v[2:3], s[10:11], v2, s28, v[6:7]
	v_mov_b32_e32 v5, v2
	global_store_dwordx2 v58, v[4:5], s[24:25] offset:256
.LBB103_6:
	s_or_b64 exec, exec, s[8:9]
	v_or_b32_e32 v2, 64, v22
	v_mov_b32_e32 v3, v23
	v_cmp_gt_i64_e64 s[8:9], s[40:41], v[2:3]
	s_and_saveexec_b64 s[10:11], s[8:9]
	s_cbranch_execz .LBB103_8
; %bb.7:
	v_pk_mov_b32 v[4:5], s[0:1], s[0:1] op_sel:[0,1]
	v_mad_u64_u32 v[4:5], s[12:13], v2, s29, v[4:5]
	v_mov_b32_e32 v6, v5
	v_mad_u64_u32 v[2:3], s[12:13], v2, s28, v[6:7]
	v_mov_b32_e32 v5, v2
	global_store_dwordx2 v58, v[4:5], s[24:25] offset:512
.LBB103_8:
	s_or_b64 exec, exec, s[10:11]
	v_or_b32_e32 v2, 0x60, v22
	v_mov_b32_e32 v3, v23
	;; [unrolled: 14-line block ×6, first 2 shown]
	v_cmp_gt_i64_e64 s[18:19], s[40:41], v[2:3]
	s_and_saveexec_b64 s[26:27], s[18:19]
	s_cbranch_execz .LBB103_18
; %bb.17:
	v_pk_mov_b32 v[4:5], s[0:1], s[0:1] op_sel:[0,1]
	v_mad_u64_u32 v[4:5], s[0:1], v2, s29, v[4:5]
	v_mov_b32_e32 v6, v5
	v_mad_u64_u32 v[2:3], s[0:1], v2, s28, v[6:7]
	v_mov_b32_e32 v5, v2
	global_store_dwordx2 v58, v[4:5], s[24:25] offset:1792
.LBB103_18:
	s_or_b64 exec, exec, s[26:27]
	v_pk_mov_b32 v[2:3], s[22:23], s[22:23] op_sel:[0,1]
	v_cmp_lt_i64_e32 vcc, s[20:21], v[2:3]
	s_cbranch_vccz .LBB103_149
; %bb.19:
	s_mul_i32 s1, s40, s41
	s_mul_hi_u32 s20, s40, s40
	s_add_i32 s20, s20, s1
	s_load_dword s0, s[4:5], 0x0
	s_add_i32 s1, s20, s1
	s_mul_i32 s33, s40, s40
	v_writelane_b32 v77, s1, 3
	s_mul_i32 s1, s50, s1
	s_mul_hi_u32 s20, s50, s33
	s_add_i32 s1, s20, s1
	s_mul_i32 s20, s51, s33
	s_add_i32 s47, s1, s20
	s_load_dwordx2 s[48:49], s[4:5], 0x48
	s_load_dwordx2 s[20:21], s[4:5], 0x20
	s_waitcnt lgkmcnt(0)
	s_cmp_eq_u32 s0, 0
	s_cselect_b64 s[0:1], -1, 0
	s_lshl_b64 s[52:53], s[40:41], 5
	v_and_b32_e32 v0, 31, v0
	v_mov_b32_e32 v1, 0
	v_pk_mov_b32 v[4:5], s[52:53], s[52:53] op_sel:[0,1]
	v_writelane_b32 v77, s20, 4
	v_mul_lo_u32 v23, v0, s41
	v_or_b32_e32 v2, 32, v0
	v_mov_b32_e32 v3, v1
	v_mad_u64_u32 v[4:5], s[22:23], v0, s40, v[4:5]
	v_writelane_b32 v77, s21, 5
	v_cmp_gt_i64_e64 s[20:21], s[40:41], v[2:3]
	v_add_u32_e32 v5, v23, v5
	v_mov_b32_e32 v3, s53
	v_add_co_u32_e64 v26, s[24:25], s52, v4
	v_addc_co_u32_e64 v27, s[24:25], v5, v3, s[24:25]
	v_add_co_u32_e64 v28, s[26:27], s52, v26
	v_addc_co_u32_e64 v29, s[26:27], v27, v3, s[26:27]
	;; [unrolled: 2-line block ×5, first 2 shown]
	v_add_co_u32_e64 v36, s[36:37], s52, v34
	v_cmp_gt_i64_e32 vcc, s[40:41], v[0:1]
	v_addc_co_u32_e64 v37, s[36:37], v35, v3, s[36:37]
	v_mad_u64_u32 v[18:19], s[36:37], v22, s38, 0
	s_and_b64 s[36:37], s[6:7], vcc
	v_writelane_b32 v77, s36, 6
	v_or_b32_e32 v6, 64, v0
	v_mov_b32_e32 v7, v1
	v_writelane_b32 v77, s37, 7
	s_and_b64 s[36:37], s[6:7], s[20:21]
	v_cmp_gt_i64_e64 s[22:23], s[40:41], v[6:7]
	v_writelane_b32 v77, s36, 8
	v_or_b32_e32 v8, 0x60, v0
	v_mov_b32_e32 v9, v1
	v_writelane_b32 v77, s37, 9
	s_and_b64 s[36:37], s[6:7], s[22:23]
	v_cmp_gt_i64_e64 s[24:25], s[40:41], v[8:9]
	;; [unrolled: 6-line block ×6, first 2 shown]
	v_writelane_b32 v77, s36, 18
	v_writelane_b32 v77, s37, 19
	s_and_b64 s[6:7], s[6:7], s[34:35]
	s_lshl_b64 s[36:37], s[38:39], 5
	v_writelane_b32 v77, s6, 20
	v_pk_mov_b32 v[20:21], s[36:37], s[36:37] op_sel:[0,1]
	v_writelane_b32 v77, s7, 21
	v_mad_u64_u32 v[20:21], s[6:7], v22, s38, v[20:21]
	s_and_b64 s[6:7], s[2:3], vcc
	v_writelane_b32 v77, s6, 22
	v_writelane_b32 v77, s7, 23
	s_and_b64 s[6:7], s[2:3], s[20:21]
	v_writelane_b32 v77, s6, 24
	v_writelane_b32 v77, s7, 25
	s_and_b64 s[6:7], s[2:3], s[22:23]
	;; [unrolled: 3-line block ×3, first 2 shown]
	v_mul_lo_u32 v38, v22, s39
	v_writelane_b32 v77, s6, 28
	v_add_u32_e32 v21, v38, v21
	v_writelane_b32 v77, s7, 29
	v_mov_b32_e32 v24, s37
	v_add_co_u32_e64 v1, s[6:7], s36, v20
	v_addc_co_u32_e64 v3, s[6:7], v21, v24, s[6:7]
	v_add_co_u32_e64 v7, s[6:7], s36, v1
	v_addc_co_u32_e64 v9, s[6:7], v3, v24, s[6:7]
	;; [unrolled: 2-line block ×5, first 2 shown]
	s_and_b64 s[6:7], s[2:3], s[26:27]
	v_writelane_b32 v77, s6, 30
	v_writelane_b32 v77, s7, 31
	v_add_co_u32_e64 v61, s[6:7], s36, v59
	v_addc_co_u32_e64 v62, s[6:7], v60, v24, s[6:7]
	s_and_b64 s[6:7], s[2:3], s[28:29]
	v_writelane_b32 v77, s6, 32
	v_writelane_b32 v77, s7, 33
	s_and_b64 s[6:7], s[2:3], s[30:31]
	v_writelane_b32 v77, s6, 34
	v_writelane_b32 v77, s7, 35
	;; [unrolled: 3-line block ×3, first 2 shown]
	s_and_b64 s[2:3], s[8:9], vcc
	v_writelane_b32 v77, s2, 38
	v_writelane_b32 v77, s3, 39
	s_and_b64 s[2:3], s[8:9], s[20:21]
	v_writelane_b32 v77, s2, 40
	v_writelane_b32 v77, s3, 41
	s_and_b64 s[2:3], s[8:9], s[22:23]
	;; [unrolled: 3-line block ×7, first 2 shown]
	v_writelane_b32 v77, s2, 52
	v_writelane_b32 v77, s3, 53
	s_and_b64 s[2:3], s[10:11], vcc
	v_writelane_b32 v77, s2, 54
	v_writelane_b32 v77, s3, 55
	s_and_b64 s[2:3], s[10:11], s[20:21]
	v_writelane_b32 v77, s2, 56
	v_writelane_b32 v77, s3, 57
	s_and_b64 s[2:3], s[10:11], s[22:23]
	;; [unrolled: 3-line block ×5, first 2 shown]
                                        ; implicit-def: $vgpr76 : SGPR spill to VGPR lane
	s_and_b64 s[84:85], s[16:17], vcc
	v_writelane_b32 v76, s2, 0
	v_writelane_b32 v76, s3, 1
	s_and_b64 s[2:3], s[10:11], s[30:31]
	v_writelane_b32 v76, s2, 2
	v_writelane_b32 v76, s3, 3
	s_and_b64 s[2:3], s[10:11], s[34:35]
	v_writelane_b32 v76, s2, 4
	v_writelane_b32 v76, s3, 5
	s_and_b64 s[2:3], s[12:13], vcc
	v_writelane_b32 v76, s2, 6
	v_writelane_b32 v76, s3, 7
	s_and_b64 s[2:3], s[12:13], s[20:21]
	v_writelane_b32 v76, s2, 8
	v_writelane_b32 v76, s3, 9
	s_and_b64 s[2:3], s[12:13], s[22:23]
	v_writelane_b32 v76, s2, 10
	v_writelane_b32 v76, s3, 11
	s_and_b64 s[2:3], s[12:13], s[24:25]
	v_writelane_b32 v76, s2, 12
	v_writelane_b32 v76, s3, 13
	s_and_b64 s[2:3], s[12:13], s[26:27]
	v_writelane_b32 v76, s2, 14
	v_writelane_b32 v76, s3, 15
	s_and_b64 s[2:3], s[12:13], s[28:29]
	v_writelane_b32 v76, s2, 16
	v_writelane_b32 v76, s3, 17
	s_and_b64 s[2:3], s[12:13], s[30:31]
	v_writelane_b32 v76, s2, 18
	v_writelane_b32 v76, s3, 19
	s_and_b64 s[2:3], s[12:13], s[34:35]
	v_writelane_b32 v76, s2, 20
	v_writelane_b32 v76, s3, 21
	s_and_b64 s[2:3], s[14:15], vcc
	v_writelane_b32 v76, s2, 22
	v_writelane_b32 v76, s3, 23
	s_and_b64 s[2:3], s[14:15], s[20:21]
	v_writelane_b32 v76, s2, 24
	v_writelane_b32 v76, s3, 25
	s_and_b64 s[2:3], s[14:15], s[22:23]
	;; [unrolled: 3-line block ×7, first 2 shown]
	v_writelane_b32 v76, s2, 36
	v_writelane_b32 v76, s3, 37
	s_load_dwordx2 s[2:3], s[4:5], 0x30
	s_and_b64 s[86:87], s[16:17], s[20:21]
	s_load_dwordx2 s[4:5], s[4:5], 0x58
	s_and_b64 s[88:89], s[16:17], s[22:23]
	s_and_b64 s[90:91], s[16:17], s[24:25]
	;; [unrolled: 1-line block ×6, first 2 shown]
	s_and_b64 s[38:39], s[18:19], vcc
	s_and_b64 s[20:21], s[18:19], s[20:21]
	s_and_b64 s[22:23], s[18:19], s[22:23]
	;; [unrolled: 1-line block ×7, first 2 shown]
	s_waitcnt lgkmcnt(0)
	s_add_u32 s54, s4, 0x100
	s_addc_u32 s55, s5, 0
	s_add_u32 s56, s48, 0x100
	s_addc_u32 s57, s49, 0
	;; [unrolled: 2-line block ×11, first 2 shown]
	v_writelane_b32 v76, s2, 38
	s_add_u32 s12, s48, 0x600
	v_writelane_b32 v76, s3, 39
	v_add_u32_e32 v19, v19, v38
	v_mad_u64_u32 v[38:39], s[2:3], v22, s40, 0
	s_addc_u32 s13, s49, 0
	v_mad_u64_u32 v[24:25], s[2:3], v0, s40, 0
	v_mov_b32_e32 v40, v39
	s_add_u32 s74, s4, 0x700
	v_add_u32_e32 v25, v25, v23
	v_mad_u64_u32 v[22:23], s[2:3], v22, s41, v[40:41]
	s_addc_u32 s75, s5, 0
	v_mov_b32_e32 v39, v22
	s_add_u32 s76, s48, 0x700
	s_mul_i32 s46, s50, s33
	v_lshlrev_b64 v[22:23], 3, v[38:39]
	v_lshlrev_b64 v[24:25], 3, v[24:25]
	;; [unrolled: 1-line block ×8, first 2 shown]
	s_addc_u32 s77, s49, 0
	s_movk_i32 s6, 0x100
	s_movk_i32 s7, 0x200
	;; [unrolled: 1-line block ×7, first 2 shown]
	s_mov_b64 s[42:43], s[50:51]
	s_branch .LBB103_21
.LBB103_20:                             ;   in Loop: Header=BB103_21 Depth=1
	s_or_b64 exec, exec, s[34:35]
	s_add_u32 s42, s42, 1
	s_addc_u32 s43, s43, 0
	v_pk_mov_b32 v[38:39], s[44:45], s[44:45] op_sel:[0,1]
	v_cmp_ge_i64_e32 vcc, s[42:43], v[38:39]
	s_cbranch_vccnz .LBB103_149
.LBB103_21:                             ; =>This Inner Loop Header: Depth=1
	s_lshl_b64 s[34:35], s[42:43], 3
	v_readlane_b32 s14, v76, 38
	v_readlane_b32 s15, v76, 39
	s_add_u32 s34, s14, s34
	s_addc_u32 s35, s15, s35
	s_load_dwordx2 s[34:35], s[34:35], 0x0
	v_readlane_b32 s14, v77, 0
	v_lshlrev_b32_e32 v65, 3, v0
	s_waitcnt lgkmcnt(0)
	s_sub_u32 s34, s34, s14
	s_subb_u32 s35, s35, 0
	s_mul_i32 s36, s34, s41
	s_mul_hi_u32 s37, s34, s40
	s_sub_u32 s81, s42, s50
	s_mul_i32 s35, s35, s40
	s_subb_u32 s82, s43, s51
	s_add_i32 s36, s37, s36
	s_add_i32 s35, s36, s35
	s_mul_i32 s34, s34, s40
	v_readlane_b32 s14, v77, 1
	s_add_u32 s36, s34, s14
	v_readlane_b32 s14, v77, 3
	s_addc_u32 s37, s35, 0
	s_mul_i32 s34, s42, s14
	s_mul_hi_u32 s35, s42, s33
	s_add_i32 s34, s35, s34
	s_mul_i32 s35, s43, s33
	v_mov_b32_e32 v39, s37
	v_add_co_u32_e32 v38, vcc, s36, v0
	v_readlane_b32 s15, v77, 2
	s_add_i32 s35, s34, s35
	s_mul_i32 s34, s42, s33
	v_addc_co_u32_e32 v39, vcc, 0, v39, vcc
	s_lshl_b64 s[34:35], s[34:35], 3
	v_readlane_b32 s14, v77, 4
	v_mov_b32_e32 v40, s82
	v_add_co_u32_e32 v42, vcc, s81, v18
	v_readlane_b32 s15, v77, 5
	s_add_u32 s83, s14, s34
	v_addc_co_u32_e32 v40, vcc, v19, v40, vcc
	s_addc_u32 s14, s15, s35
	v_mul_lo_u32 v44, v40, s40
	v_pk_mov_b32 v[40:41], s[46:47], s[46:47] op_sel:[0,1]
	v_mad_u64_u32 v[56:57], s[34:35], v42, s40, v[40:41]
	v_mov_b32_e32 v40, s14
	v_add_co_u32_e32 v63, vcc, s83, v58
	v_addc_co_u32_e32 v64, vcc, 0, v40, vcc
	v_mul_lo_u32 v43, v42, s41
	v_add_co_u32_e32 v66, vcc, s83, v22
	v_readlane_b32 s14, v77, 6
	v_add3_u32 v57, v44, v57, v43
	v_addc_co_u32_e32 v67, vcc, v40, v23, vcc
	v_readlane_b32 s15, v77, 7
	s_and_saveexec_b64 s[34:35], s[14:15]
	s_cbranch_execz .LBB103_23
; %bb.22:                               ;   in Loop: Header=BB103_21 Depth=1
	v_add_co_u32_e32 v40, vcc, v66, v65
	v_addc_co_u32_e32 v41, vcc, 0, v67, vcc
	v_add_co_u32_e32 v42, vcc, v63, v24
	v_addc_co_u32_e32 v43, vcc, v64, v25, vcc
	v_cndmask_b32_e64 v41, v43, v41, s[0:1]
	v_cndmask_b32_e64 v40, v42, v40, s[0:1]
	global_load_dwordx2 v[40:41], v[40:41], off
	v_add_co_u32_e32 v42, vcc, v56, v0
	v_addc_co_u32_e32 v43, vcc, 0, v57, vcc
	v_lshlrev_b64 v[42:43], 3, v[42:43]
	v_mov_b32_e32 v45, s5
	v_add_co_u32_e32 v44, vcc, s4, v42
	v_addc_co_u32_e32 v45, vcc, v45, v43, vcc
	global_store_dwordx2 v[44:45], v[38:39], off
	v_mov_b32_e32 v44, s49
	v_add_co_u32_e32 v42, vcc, s48, v42
	v_addc_co_u32_e32 v43, vcc, v44, v43, vcc
	s_waitcnt vmcnt(1)
	global_store_dwordx2 v[42:43], v[40:41], off
.LBB103_23:                             ;   in Loop: Header=BB103_21 Depth=1
	s_or_b64 exec, exec, s[34:35]
	v_mov_b32_e32 v41, s37
	v_add_co_u32_e32 v40, vcc, s36, v2
	v_readlane_b32 s14, v77, 8
	v_addc_co_u32_e32 v41, vcc, 0, v41, vcc
	v_lshlrev_b64 v[50:51], 3, v[4:5]
	v_readlane_b32 s15, v77, 9
	s_and_saveexec_b64 s[34:35], s[14:15]
	s_cbranch_execz .LBB103_25
; %bb.24:                               ;   in Loop: Header=BB103_21 Depth=1
	v_add_co_u32_e32 v42, vcc, v66, v65
	v_addc_co_u32_e32 v43, vcc, 0, v67, vcc
	v_add_co_u32_e32 v42, vcc, s6, v42
	v_addc_co_u32_e32 v43, vcc, 0, v43, vcc
	v_add_co_u32_e32 v44, vcc, v63, v50
	v_addc_co_u32_e32 v45, vcc, v64, v51, vcc
	v_cndmask_b32_e64 v43, v45, v43, s[0:1]
	v_cndmask_b32_e64 v42, v44, v42, s[0:1]
	global_load_dwordx2 v[42:43], v[42:43], off
	v_add_co_u32_e32 v44, vcc, v56, v0
	v_addc_co_u32_e32 v45, vcc, 0, v57, vcc
	v_lshlrev_b64 v[44:45], 3, v[44:45]
	v_mov_b32_e32 v47, s55
	v_add_co_u32_e32 v46, vcc, s54, v44
	v_addc_co_u32_e32 v47, vcc, v47, v45, vcc
	global_store_dwordx2 v[46:47], v[40:41], off
	v_mov_b32_e32 v46, s57
	v_add_co_u32_e32 v44, vcc, s56, v44
	v_addc_co_u32_e32 v45, vcc, v46, v45, vcc
	s_waitcnt vmcnt(1)
	global_store_dwordx2 v[44:45], v[42:43], off
.LBB103_25:                             ;   in Loop: Header=BB103_21 Depth=1
	s_or_b64 exec, exec, s[34:35]
	v_mov_b32_e32 v43, s37
	v_add_co_u32_e32 v42, vcc, s36, v6
	v_readlane_b32 s14, v77, 10
	v_addc_co_u32_e32 v43, vcc, 0, v43, vcc
	v_readlane_b32 s15, v77, 11
	s_and_saveexec_b64 s[34:35], s[14:15]
	s_cbranch_execz .LBB103_27
; %bb.26:                               ;   in Loop: Header=BB103_21 Depth=1
	v_add_co_u32_e32 v44, vcc, v66, v65
	v_addc_co_u32_e32 v45, vcc, 0, v67, vcc
	v_add_co_u32_e32 v44, vcc, s7, v44
	v_addc_co_u32_e32 v45, vcc, 0, v45, vcc
	v_add_co_u32_e32 v46, vcc, v63, v26
	v_addc_co_u32_e32 v47, vcc, v64, v27, vcc
	v_cndmask_b32_e64 v45, v47, v45, s[0:1]
	v_cndmask_b32_e64 v44, v46, v44, s[0:1]
	global_load_dwordx2 v[44:45], v[44:45], off
	v_add_co_u32_e32 v46, vcc, v56, v0
	v_addc_co_u32_e32 v47, vcc, 0, v57, vcc
	v_lshlrev_b64 v[46:47], 3, v[46:47]
	v_mov_b32_e32 v49, s59
	v_add_co_u32_e32 v48, vcc, s58, v46
	v_addc_co_u32_e32 v49, vcc, v49, v47, vcc
	global_store_dwordx2 v[48:49], v[42:43], off
	v_mov_b32_e32 v48, s11
	v_add_co_u32_e32 v46, vcc, s10, v46
	v_addc_co_u32_e32 v47, vcc, v48, v47, vcc
	s_waitcnt vmcnt(1)
	global_store_dwordx2 v[46:47], v[44:45], off
.LBB103_27:                             ;   in Loop: Header=BB103_21 Depth=1
	s_or_b64 exec, exec, s[34:35]
	v_mov_b32_e32 v45, s37
	v_add_co_u32_e32 v44, vcc, s36, v8
	v_readlane_b32 s14, v77, 12
	v_addc_co_u32_e32 v45, vcc, 0, v45, vcc
	v_readlane_b32 s15, v77, 13
	s_and_saveexec_b64 s[34:35], s[14:15]
	s_cbranch_execz .LBB103_29
; %bb.28:                               ;   in Loop: Header=BB103_21 Depth=1
	v_add_co_u32_e32 v46, vcc, v66, v65
	v_addc_co_u32_e32 v47, vcc, 0, v67, vcc
	v_add_co_u32_e32 v46, vcc, s78, v46
	v_addc_co_u32_e32 v47, vcc, 0, v47, vcc
	v_add_co_u32_e32 v48, vcc, v63, v28
	v_addc_co_u32_e32 v49, vcc, v64, v29, vcc
	v_cndmask_b32_e64 v47, v49, v47, s[0:1]
	v_cndmask_b32_e64 v46, v48, v46, s[0:1]
	global_load_dwordx2 v[46:47], v[46:47], off
	v_add_co_u32_e32 v48, vcc, v56, v0
	v_addc_co_u32_e32 v49, vcc, 0, v57, vcc
	v_lshlrev_b64 v[48:49], 3, v[48:49]
	v_mov_b32_e32 v53, s61
	v_add_co_u32_e32 v52, vcc, s60, v48
	v_addc_co_u32_e32 v53, vcc, v53, v49, vcc
	global_store_dwordx2 v[52:53], v[44:45], off
	v_mov_b32_e32 v52, s63
	v_add_co_u32_e32 v48, vcc, s62, v48
	v_addc_co_u32_e32 v49, vcc, v52, v49, vcc
	s_waitcnt vmcnt(1)
	global_store_dwordx2 v[48:49], v[46:47], off
.LBB103_29:                             ;   in Loop: Header=BB103_21 Depth=1
	s_or_b64 exec, exec, s[34:35]
	v_mov_b32_e32 v47, s37
	v_add_co_u32_e32 v46, vcc, s36, v10
	v_readlane_b32 s14, v77, 14
	v_addc_co_u32_e32 v47, vcc, 0, v47, vcc
	v_readlane_b32 s15, v77, 15
	s_and_saveexec_b64 s[34:35], s[14:15]
	s_cbranch_execz .LBB103_31
; %bb.30:                               ;   in Loop: Header=BB103_21 Depth=1
	v_add_co_u32_e32 v48, vcc, v66, v65
	v_addc_co_u32_e32 v49, vcc, 0, v67, vcc
	v_add_co_u32_e32 v48, vcc, s79, v48
	v_addc_co_u32_e32 v49, vcc, 0, v49, vcc
	v_add_co_u32_e32 v52, vcc, v63, v30
	v_addc_co_u32_e32 v53, vcc, v64, v31, vcc
	v_cndmask_b32_e64 v49, v53, v49, s[0:1]
	v_cndmask_b32_e64 v48, v52, v48, s[0:1]
	global_load_dwordx2 v[48:49], v[48:49], off
	v_add_co_u32_e32 v52, vcc, v56, v0
	v_addc_co_u32_e32 v53, vcc, 0, v57, vcc
	v_lshlrev_b64 v[52:53], 3, v[52:53]
	v_mov_b32_e32 v55, s65
	v_add_co_u32_e32 v54, vcc, s64, v52
	v_addc_co_u32_e32 v55, vcc, v55, v53, vcc
	global_store_dwordx2 v[54:55], v[46:47], off
	v_mov_b32_e32 v54, s67
	v_add_co_u32_e32 v52, vcc, s66, v52
	v_addc_co_u32_e32 v53, vcc, v54, v53, vcc
	s_waitcnt vmcnt(1)
	global_store_dwordx2 v[52:53], v[48:49], off
.LBB103_31:                             ;   in Loop: Header=BB103_21 Depth=1
	s_or_b64 exec, exec, s[34:35]
	v_mov_b32_e32 v49, s37
	v_add_co_u32_e32 v48, vcc, s36, v12
	v_readlane_b32 s14, v77, 16
	v_addc_co_u32_e32 v49, vcc, 0, v49, vcc
	v_readlane_b32 s15, v77, 17
	s_and_saveexec_b64 s[34:35], s[14:15]
	s_cbranch_execz .LBB103_33
; %bb.32:                               ;   in Loop: Header=BB103_21 Depth=1
	v_add_co_u32_e32 v52, vcc, v66, v65
	v_addc_co_u32_e32 v53, vcc, 0, v67, vcc
	v_add_co_u32_e32 v52, vcc, s2, v52
	v_addc_co_u32_e32 v53, vcc, 0, v53, vcc
	v_add_co_u32_e32 v54, vcc, v63, v32
	v_addc_co_u32_e32 v55, vcc, v64, v33, vcc
	v_cndmask_b32_e64 v53, v55, v53, s[0:1]
	v_cndmask_b32_e64 v52, v54, v52, s[0:1]
	global_load_dwordx2 v[52:53], v[52:53], off
	v_add_co_u32_e32 v54, vcc, v56, v0
	v_addc_co_u32_e32 v55, vcc, 0, v57, vcc
	v_lshlrev_b64 v[54:55], 3, v[54:55]
	v_mov_b32_e32 v69, s69
	v_add_co_u32_e32 v68, vcc, s68, v54
	v_addc_co_u32_e32 v69, vcc, v69, v55, vcc
	global_store_dwordx2 v[68:69], v[48:49], off
	v_mov_b32_e32 v68, s71
	v_add_co_u32_e32 v54, vcc, s70, v54
	v_addc_co_u32_e32 v55, vcc, v68, v55, vcc
	s_waitcnt vmcnt(1)
	global_store_dwordx2 v[54:55], v[52:53], off
.LBB103_33:                             ;   in Loop: Header=BB103_21 Depth=1
	s_or_b64 exec, exec, s[34:35]
	v_mov_b32_e32 v53, s37
	v_add_co_u32_e32 v52, vcc, s36, v14
	v_readlane_b32 s14, v77, 18
	v_addc_co_u32_e32 v53, vcc, 0, v53, vcc
	v_readlane_b32 s15, v77, 19
	s_and_saveexec_b64 s[34:35], s[14:15]
	s_cbranch_execz .LBB103_35
; %bb.34:                               ;   in Loop: Header=BB103_21 Depth=1
	v_add_co_u32_e32 v54, vcc, v66, v65
	v_addc_co_u32_e32 v55, vcc, 0, v67, vcc
	v_add_co_u32_e32 v54, vcc, s3, v54
	v_addc_co_u32_e32 v55, vcc, 0, v55, vcc
	v_add_co_u32_e32 v68, vcc, v63, v34
	v_addc_co_u32_e32 v69, vcc, v64, v35, vcc
	v_cndmask_b32_e64 v55, v69, v55, s[0:1]
	v_cndmask_b32_e64 v54, v68, v54, s[0:1]
	global_load_dwordx2 v[54:55], v[54:55], off
	v_add_co_u32_e32 v68, vcc, v56, v0
	v_addc_co_u32_e32 v69, vcc, 0, v57, vcc
	v_lshlrev_b64 v[68:69], 3, v[68:69]
	v_mov_b32_e32 v71, s73
	v_add_co_u32_e32 v70, vcc, s72, v68
	v_addc_co_u32_e32 v71, vcc, v71, v69, vcc
	global_store_dwordx2 v[70:71], v[52:53], off
	v_mov_b32_e32 v70, s13
	v_add_co_u32_e32 v68, vcc, s12, v68
	v_addc_co_u32_e32 v69, vcc, v70, v69, vcc
	s_waitcnt vmcnt(1)
	global_store_dwordx2 v[68:69], v[54:55], off
.LBB103_35:                             ;   in Loop: Header=BB103_21 Depth=1
	s_or_b64 exec, exec, s[34:35]
	v_mov_b32_e32 v55, s37
	v_add_co_u32_e32 v54, vcc, s36, v16
	v_readlane_b32 s14, v77, 20
	v_addc_co_u32_e32 v55, vcc, 0, v55, vcc
	v_readlane_b32 s15, v77, 21
	s_and_saveexec_b64 s[34:35], s[14:15]
	s_cbranch_execz .LBB103_37
; %bb.36:                               ;   in Loop: Header=BB103_21 Depth=1
	v_add_co_u32_e32 v68, vcc, v66, v65
	v_addc_co_u32_e32 v69, vcc, 0, v67, vcc
	v_add_co_u32_e32 v68, vcc, s80, v68
	v_addc_co_u32_e32 v69, vcc, 0, v69, vcc
	v_add_co_u32_e32 v70, vcc, v63, v36
	v_addc_co_u32_e32 v71, vcc, v64, v37, vcc
	v_cndmask_b32_e64 v69, v71, v69, s[0:1]
	v_cndmask_b32_e64 v68, v70, v68, s[0:1]
	global_load_dwordx2 v[68:69], v[68:69], off
	v_add_co_u32_e32 v56, vcc, v56, v0
	v_addc_co_u32_e32 v57, vcc, 0, v57, vcc
	v_lshlrev_b64 v[56:57], 3, v[56:57]
	v_mov_b32_e32 v71, s75
	v_add_co_u32_e32 v70, vcc, s74, v56
	v_addc_co_u32_e32 v71, vcc, v71, v57, vcc
	global_store_dwordx2 v[70:71], v[54:55], off
	v_mov_b32_e32 v70, s77
	v_add_co_u32_e32 v56, vcc, s76, v56
	v_addc_co_u32_e32 v57, vcc, v70, v57, vcc
	s_waitcnt vmcnt(1)
	global_store_dwordx2 v[56:57], v[68:69], off
.LBB103_37:                             ;   in Loop: Header=BB103_21 Depth=1
	s_or_b64 exec, exec, s[34:35]
	v_mov_b32_e32 v56, s82
	v_add_co_u32_e32 v68, vcc, s81, v20
	v_addc_co_u32_e32 v56, vcc, v21, v56, vcc
	v_mul_lo_u32 v70, v56, s40
	v_pk_mov_b32 v[56:57], s[46:47], s[46:47] op_sel:[0,1]
	v_mad_u64_u32 v[56:57], s[34:35], v68, s40, v[56:57]
	s_lshl_b64 s[34:35], s[52:53], 3
	v_mul_lo_u32 v69, v68, s41
	v_mov_b32_e32 v68, s35
	v_add_co_u32_e32 v66, vcc, s34, v66
	v_readlane_b32 s14, v77, 22
	v_add3_u32 v57, v70, v57, v69
	v_addc_co_u32_e32 v67, vcc, v67, v68, vcc
	v_readlane_b32 s15, v77, 23
	s_and_saveexec_b64 s[36:37], s[14:15]
	s_cbranch_execz .LBB103_39
; %bb.38:                               ;   in Loop: Header=BB103_21 Depth=1
	v_add_co_u32_e32 v68, vcc, v66, v65
	v_addc_co_u32_e32 v69, vcc, 0, v67, vcc
	v_add_co_u32_e32 v70, vcc, v63, v24
	v_addc_co_u32_e32 v71, vcc, v64, v25, vcc
	;; [unrolled: 2-line block ×3, first 2 shown]
	v_cndmask_b32_e64 v69, v71, v69, s[0:1]
	v_cndmask_b32_e64 v68, v70, v68, s[0:1]
	global_load_dwordx2 v[68:69], v[68:69], off
	v_add_co_u32_e32 v70, vcc, v56, v0
	v_addc_co_u32_e32 v71, vcc, 0, v57, vcc
	v_lshlrev_b64 v[70:71], 3, v[70:71]
	v_mov_b32_e32 v73, s5
	v_add_co_u32_e32 v72, vcc, s4, v70
	v_addc_co_u32_e32 v73, vcc, v73, v71, vcc
	global_store_dwordx2 v[72:73], v[38:39], off
	v_mov_b32_e32 v72, s49
	v_add_co_u32_e32 v70, vcc, s48, v70
	v_addc_co_u32_e32 v71, vcc, v72, v71, vcc
	s_waitcnt vmcnt(1)
	global_store_dwordx2 v[70:71], v[68:69], off
.LBB103_39:                             ;   in Loop: Header=BB103_21 Depth=1
	s_or_b64 exec, exec, s[36:37]
	v_readlane_b32 s14, v77, 24
	v_readlane_b32 s15, v77, 25
	s_and_saveexec_b64 s[36:37], s[14:15]
	s_cbranch_execz .LBB103_41
; %bb.40:                               ;   in Loop: Header=BB103_21 Depth=1
	v_add_co_u32_e32 v68, vcc, v66, v65
	v_addc_co_u32_e32 v69, vcc, 0, v67, vcc
	v_add_co_u32_e32 v70, vcc, v63, v50
	v_addc_co_u32_e32 v71, vcc, v64, v51, vcc
	v_cndmask_b32_e64 v69, v71, v69, s[0:1]
	v_cndmask_b32_e64 v68, v70, v68, s[0:1]
	global_load_dwordx2 v[68:69], v[68:69], off offset:256
	v_add_co_u32_e32 v70, vcc, v56, v0
	v_addc_co_u32_e32 v71, vcc, 0, v57, vcc
	v_lshlrev_b64 v[70:71], 3, v[70:71]
	v_mov_b32_e32 v73, s55
	v_add_co_u32_e32 v72, vcc, s54, v70
	v_addc_co_u32_e32 v73, vcc, v73, v71, vcc
	global_store_dwordx2 v[72:73], v[40:41], off
	v_mov_b32_e32 v72, s57
	v_add_co_u32_e32 v70, vcc, s56, v70
	v_addc_co_u32_e32 v71, vcc, v72, v71, vcc
	s_waitcnt vmcnt(1)
	global_store_dwordx2 v[70:71], v[68:69], off
.LBB103_41:                             ;   in Loop: Header=BB103_21 Depth=1
	s_or_b64 exec, exec, s[36:37]
	v_readlane_b32 s14, v77, 26
	v_readlane_b32 s15, v77, 27
	s_and_saveexec_b64 s[36:37], s[14:15]
	s_cbranch_execz .LBB103_43
; %bb.42:                               ;   in Loop: Header=BB103_21 Depth=1
	v_add_co_u32_e32 v68, vcc, v66, v65
	v_addc_co_u32_e32 v69, vcc, 0, v67, vcc
	v_add_co_u32_e32 v68, vcc, s7, v68
	v_addc_co_u32_e32 v69, vcc, 0, v69, vcc
	v_add_co_u32_e32 v70, vcc, v63, v26
	v_addc_co_u32_e32 v71, vcc, v64, v27, vcc
	v_add_co_u32_e32 v70, vcc, 0x100, v70
	v_addc_co_u32_e32 v71, vcc, 0, v71, vcc
	v_cndmask_b32_e64 v69, v71, v69, s[0:1]
	v_cndmask_b32_e64 v68, v70, v68, s[0:1]
	global_load_dwordx2 v[68:69], v[68:69], off
	v_add_co_u32_e32 v70, vcc, v56, v0
	v_addc_co_u32_e32 v71, vcc, 0, v57, vcc
	v_lshlrev_b64 v[70:71], 3, v[70:71]
	v_mov_b32_e32 v73, s59
	v_add_co_u32_e32 v72, vcc, s58, v70
	v_addc_co_u32_e32 v73, vcc, v73, v71, vcc
	global_store_dwordx2 v[72:73], v[42:43], off
	v_mov_b32_e32 v72, s11
	v_add_co_u32_e32 v70, vcc, s10, v70
	v_addc_co_u32_e32 v71, vcc, v72, v71, vcc
	s_waitcnt vmcnt(1)
	global_store_dwordx2 v[70:71], v[68:69], off
.LBB103_43:                             ;   in Loop: Header=BB103_21 Depth=1
	s_or_b64 exec, exec, s[36:37]
	v_readlane_b32 s14, v77, 28
	v_readlane_b32 s15, v77, 29
	s_and_saveexec_b64 s[36:37], s[14:15]
	s_cbranch_execz .LBB103_45
; %bb.44:                               ;   in Loop: Header=BB103_21 Depth=1
	v_add_co_u32_e32 v68, vcc, v66, v65
	v_addc_co_u32_e32 v69, vcc, 0, v67, vcc
	v_add_co_u32_e32 v68, vcc, s78, v68
	v_addc_co_u32_e32 v69, vcc, 0, v69, vcc
	v_add_co_u32_e32 v70, vcc, v63, v28
	v_addc_co_u32_e32 v71, vcc, v64, v29, vcc
	v_add_co_u32_e32 v70, vcc, 0x100, v70
	v_addc_co_u32_e32 v71, vcc, 0, v71, vcc
	v_cndmask_b32_e64 v69, v71, v69, s[0:1]
	v_cndmask_b32_e64 v68, v70, v68, s[0:1]
	global_load_dwordx2 v[68:69], v[68:69], off
	v_add_co_u32_e32 v70, vcc, v56, v0
	v_addc_co_u32_e32 v71, vcc, 0, v57, vcc
	v_lshlrev_b64 v[70:71], 3, v[70:71]
	v_mov_b32_e32 v73, s61
	v_add_co_u32_e32 v72, vcc, s60, v70
	v_addc_co_u32_e32 v73, vcc, v73, v71, vcc
	global_store_dwordx2 v[72:73], v[44:45], off
	v_mov_b32_e32 v72, s63
	v_add_co_u32_e32 v70, vcc, s62, v70
	v_addc_co_u32_e32 v71, vcc, v72, v71, vcc
	s_waitcnt vmcnt(1)
	global_store_dwordx2 v[70:71], v[68:69], off
.LBB103_45:                             ;   in Loop: Header=BB103_21 Depth=1
	;; [unrolled: 30-line block ×6, first 2 shown]
	s_or_b64 exec, exec, s[36:37]
	v_mov_b32_e32 v56, s82
	v_add_co_u32_e32 v68, vcc, s81, v1
	v_addc_co_u32_e32 v56, vcc, v3, v56, vcc
	v_mul_lo_u32 v70, v56, s40
	v_pk_mov_b32 v[56:57], s[46:47], s[46:47] op_sel:[0,1]
	v_mul_lo_u32 v69, v68, s41
	v_mad_u64_u32 v[56:57], s[36:37], v68, s40, v[56:57]
	v_mov_b32_e32 v68, s35
	v_add_co_u32_e32 v66, vcc, s34, v66
	v_readlane_b32 s14, v77, 38
	v_add3_u32 v57, v70, v57, v69
	v_addc_co_u32_e32 v67, vcc, v67, v68, vcc
	v_readlane_b32 s15, v77, 39
	s_and_saveexec_b64 s[36:37], s[14:15]
	s_cbranch_execz .LBB103_55
; %bb.54:                               ;   in Loop: Header=BB103_21 Depth=1
	v_add_co_u32_e32 v68, vcc, v66, v65
	v_addc_co_u32_e32 v69, vcc, 0, v67, vcc
	v_add_co_u32_e32 v70, vcc, v63, v24
	v_addc_co_u32_e32 v71, vcc, v64, v25, vcc
	;; [unrolled: 2-line block ×3, first 2 shown]
	v_cndmask_b32_e64 v69, v71, v69, s[0:1]
	v_cndmask_b32_e64 v68, v70, v68, s[0:1]
	global_load_dwordx2 v[68:69], v[68:69], off
	v_add_co_u32_e32 v70, vcc, v56, v0
	v_addc_co_u32_e32 v71, vcc, 0, v57, vcc
	v_lshlrev_b64 v[70:71], 3, v[70:71]
	v_mov_b32_e32 v73, s5
	v_add_co_u32_e32 v72, vcc, s4, v70
	v_addc_co_u32_e32 v73, vcc, v73, v71, vcc
	global_store_dwordx2 v[72:73], v[38:39], off
	v_mov_b32_e32 v72, s49
	v_add_co_u32_e32 v70, vcc, s48, v70
	v_addc_co_u32_e32 v71, vcc, v72, v71, vcc
	s_waitcnt vmcnt(1)
	global_store_dwordx2 v[70:71], v[68:69], off
.LBB103_55:                             ;   in Loop: Header=BB103_21 Depth=1
	s_or_b64 exec, exec, s[36:37]
	v_readlane_b32 s14, v77, 40
	v_readlane_b32 s15, v77, 41
	s_and_saveexec_b64 s[36:37], s[14:15]
	s_cbranch_execz .LBB103_57
; %bb.56:                               ;   in Loop: Header=BB103_21 Depth=1
	v_add_co_u32_e32 v68, vcc, v66, v65
	v_addc_co_u32_e32 v69, vcc, 0, v67, vcc
	v_add_co_u32_e32 v68, vcc, s6, v68
	v_addc_co_u32_e32 v69, vcc, 0, v69, vcc
	;; [unrolled: 2-line block ×4, first 2 shown]
	v_cndmask_b32_e64 v69, v71, v69, s[0:1]
	v_cndmask_b32_e64 v68, v70, v68, s[0:1]
	global_load_dwordx2 v[68:69], v[68:69], off
	v_add_co_u32_e32 v70, vcc, v56, v0
	v_addc_co_u32_e32 v71, vcc, 0, v57, vcc
	v_lshlrev_b64 v[70:71], 3, v[70:71]
	v_mov_b32_e32 v73, s55
	v_add_co_u32_e32 v72, vcc, s54, v70
	v_addc_co_u32_e32 v73, vcc, v73, v71, vcc
	global_store_dwordx2 v[72:73], v[40:41], off
	v_mov_b32_e32 v72, s57
	v_add_co_u32_e32 v70, vcc, s56, v70
	v_addc_co_u32_e32 v71, vcc, v72, v71, vcc
	s_waitcnt vmcnt(1)
	global_store_dwordx2 v[70:71], v[68:69], off
.LBB103_57:                             ;   in Loop: Header=BB103_21 Depth=1
	s_or_b64 exec, exec, s[36:37]
	v_readlane_b32 s14, v77, 42
	v_readlane_b32 s15, v77, 43
	s_and_saveexec_b64 s[36:37], s[14:15]
	s_cbranch_execz .LBB103_59
; %bb.58:                               ;   in Loop: Header=BB103_21 Depth=1
	v_add_co_u32_e32 v68, vcc, v66, v65
	v_addc_co_u32_e32 v69, vcc, 0, v67, vcc
	v_add_co_u32_e32 v70, vcc, v63, v26
	v_addc_co_u32_e32 v71, vcc, v64, v27, vcc
	v_cndmask_b32_e64 v69, v71, v69, s[0:1]
	v_cndmask_b32_e64 v68, v70, v68, s[0:1]
	global_load_dwordx2 v[68:69], v[68:69], off offset:512
	v_add_co_u32_e32 v70, vcc, v56, v0
	v_addc_co_u32_e32 v71, vcc, 0, v57, vcc
	v_lshlrev_b64 v[70:71], 3, v[70:71]
	v_mov_b32_e32 v73, s59
	v_add_co_u32_e32 v72, vcc, s58, v70
	v_addc_co_u32_e32 v73, vcc, v73, v71, vcc
	global_store_dwordx2 v[72:73], v[42:43], off
	v_mov_b32_e32 v72, s11
	v_add_co_u32_e32 v70, vcc, s10, v70
	v_addc_co_u32_e32 v71, vcc, v72, v71, vcc
	s_waitcnt vmcnt(1)
	global_store_dwordx2 v[70:71], v[68:69], off
.LBB103_59:                             ;   in Loop: Header=BB103_21 Depth=1
	s_or_b64 exec, exec, s[36:37]
	v_readlane_b32 s14, v77, 44
	v_readlane_b32 s15, v77, 45
	s_and_saveexec_b64 s[36:37], s[14:15]
	s_cbranch_execz .LBB103_61
; %bb.60:                               ;   in Loop: Header=BB103_21 Depth=1
	v_add_co_u32_e32 v68, vcc, v66, v65
	v_addc_co_u32_e32 v69, vcc, 0, v67, vcc
	v_add_co_u32_e32 v68, vcc, s78, v68
	v_addc_co_u32_e32 v69, vcc, 0, v69, vcc
	v_add_co_u32_e32 v70, vcc, v63, v28
	v_addc_co_u32_e32 v71, vcc, v64, v29, vcc
	v_add_co_u32_e32 v70, vcc, 0x200, v70
	v_addc_co_u32_e32 v71, vcc, 0, v71, vcc
	v_cndmask_b32_e64 v69, v71, v69, s[0:1]
	v_cndmask_b32_e64 v68, v70, v68, s[0:1]
	global_load_dwordx2 v[68:69], v[68:69], off
	v_add_co_u32_e32 v70, vcc, v56, v0
	v_addc_co_u32_e32 v71, vcc, 0, v57, vcc
	v_lshlrev_b64 v[70:71], 3, v[70:71]
	v_mov_b32_e32 v73, s61
	v_add_co_u32_e32 v72, vcc, s60, v70
	v_addc_co_u32_e32 v73, vcc, v73, v71, vcc
	global_store_dwordx2 v[72:73], v[44:45], off
	v_mov_b32_e32 v72, s63
	v_add_co_u32_e32 v70, vcc, s62, v70
	v_addc_co_u32_e32 v71, vcc, v72, v71, vcc
	s_waitcnt vmcnt(1)
	global_store_dwordx2 v[70:71], v[68:69], off
.LBB103_61:                             ;   in Loop: Header=BB103_21 Depth=1
	s_or_b64 exec, exec, s[36:37]
	v_readlane_b32 s14, v77, 46
	v_readlane_b32 s15, v77, 47
	s_and_saveexec_b64 s[36:37], s[14:15]
	s_cbranch_execz .LBB103_63
; %bb.62:                               ;   in Loop: Header=BB103_21 Depth=1
	v_add_co_u32_e32 v68, vcc, v66, v65
	v_addc_co_u32_e32 v69, vcc, 0, v67, vcc
	v_add_co_u32_e32 v68, vcc, s79, v68
	v_addc_co_u32_e32 v69, vcc, 0, v69, vcc
	v_add_co_u32_e32 v70, vcc, v63, v30
	v_addc_co_u32_e32 v71, vcc, v64, v31, vcc
	v_add_co_u32_e32 v70, vcc, 0x200, v70
	v_addc_co_u32_e32 v71, vcc, 0, v71, vcc
	v_cndmask_b32_e64 v69, v71, v69, s[0:1]
	v_cndmask_b32_e64 v68, v70, v68, s[0:1]
	global_load_dwordx2 v[68:69], v[68:69], off
	v_add_co_u32_e32 v70, vcc, v56, v0
	v_addc_co_u32_e32 v71, vcc, 0, v57, vcc
	v_lshlrev_b64 v[70:71], 3, v[70:71]
	v_mov_b32_e32 v73, s65
	v_add_co_u32_e32 v72, vcc, s64, v70
	v_addc_co_u32_e32 v73, vcc, v73, v71, vcc
	global_store_dwordx2 v[72:73], v[46:47], off
	v_mov_b32_e32 v72, s67
	v_add_co_u32_e32 v70, vcc, s66, v70
	v_addc_co_u32_e32 v71, vcc, v72, v71, vcc
	s_waitcnt vmcnt(1)
	global_store_dwordx2 v[70:71], v[68:69], off
.LBB103_63:                             ;   in Loop: Header=BB103_21 Depth=1
	;; [unrolled: 30-line block ×5, first 2 shown]
	s_or_b64 exec, exec, s[36:37]
	v_mov_b32_e32 v56, s82
	v_add_co_u32_e32 v68, vcc, s81, v7
	v_addc_co_u32_e32 v56, vcc, v9, v56, vcc
	v_mul_lo_u32 v70, v56, s40
	v_pk_mov_b32 v[56:57], s[46:47], s[46:47] op_sel:[0,1]
	v_mul_lo_u32 v69, v68, s41
	v_mad_u64_u32 v[56:57], s[36:37], v68, s40, v[56:57]
	v_mov_b32_e32 v68, s35
	v_add_co_u32_e32 v66, vcc, s34, v66
	v_readlane_b32 s14, v77, 54
	v_add3_u32 v57, v70, v57, v69
	v_addc_co_u32_e32 v67, vcc, v67, v68, vcc
	v_readlane_b32 s15, v77, 55
	s_and_saveexec_b64 s[36:37], s[14:15]
	s_cbranch_execz .LBB103_71
; %bb.70:                               ;   in Loop: Header=BB103_21 Depth=1
	v_add_co_u32_e32 v68, vcc, v66, v65
	v_addc_co_u32_e32 v69, vcc, 0, v67, vcc
	v_add_co_u32_e32 v70, vcc, v63, v24
	v_addc_co_u32_e32 v71, vcc, v64, v25, vcc
	;; [unrolled: 2-line block ×3, first 2 shown]
	v_cndmask_b32_e64 v69, v71, v69, s[0:1]
	v_cndmask_b32_e64 v68, v70, v68, s[0:1]
	global_load_dwordx2 v[68:69], v[68:69], off
	v_add_co_u32_e32 v70, vcc, v56, v0
	v_addc_co_u32_e32 v71, vcc, 0, v57, vcc
	v_lshlrev_b64 v[70:71], 3, v[70:71]
	v_mov_b32_e32 v73, s5
	v_add_co_u32_e32 v72, vcc, s4, v70
	v_addc_co_u32_e32 v73, vcc, v73, v71, vcc
	global_store_dwordx2 v[72:73], v[38:39], off
	v_mov_b32_e32 v72, s49
	v_add_co_u32_e32 v70, vcc, s48, v70
	v_addc_co_u32_e32 v71, vcc, v72, v71, vcc
	s_waitcnt vmcnt(1)
	global_store_dwordx2 v[70:71], v[68:69], off
.LBB103_71:                             ;   in Loop: Header=BB103_21 Depth=1
	s_or_b64 exec, exec, s[36:37]
	v_readlane_b32 s14, v77, 56
	v_readlane_b32 s15, v77, 57
	s_and_saveexec_b64 s[36:37], s[14:15]
	s_cbranch_execz .LBB103_73
; %bb.72:                               ;   in Loop: Header=BB103_21 Depth=1
	v_add_co_u32_e32 v68, vcc, v66, v65
	v_addc_co_u32_e32 v69, vcc, 0, v67, vcc
	v_add_co_u32_e32 v68, vcc, s6, v68
	v_addc_co_u32_e32 v69, vcc, 0, v69, vcc
	;; [unrolled: 2-line block ×4, first 2 shown]
	v_cndmask_b32_e64 v69, v71, v69, s[0:1]
	v_cndmask_b32_e64 v68, v70, v68, s[0:1]
	global_load_dwordx2 v[68:69], v[68:69], off
	v_add_co_u32_e32 v70, vcc, v56, v0
	v_addc_co_u32_e32 v71, vcc, 0, v57, vcc
	v_lshlrev_b64 v[70:71], 3, v[70:71]
	v_mov_b32_e32 v73, s55
	v_add_co_u32_e32 v72, vcc, s54, v70
	v_addc_co_u32_e32 v73, vcc, v73, v71, vcc
	global_store_dwordx2 v[72:73], v[40:41], off
	v_mov_b32_e32 v72, s57
	v_add_co_u32_e32 v70, vcc, s56, v70
	v_addc_co_u32_e32 v71, vcc, v72, v71, vcc
	s_waitcnt vmcnt(1)
	global_store_dwordx2 v[70:71], v[68:69], off
.LBB103_73:                             ;   in Loop: Header=BB103_21 Depth=1
	s_or_b64 exec, exec, s[36:37]
	v_readlane_b32 s14, v77, 58
	v_readlane_b32 s15, v77, 59
	s_and_saveexec_b64 s[36:37], s[14:15]
	s_cbranch_execz .LBB103_75
; %bb.74:                               ;   in Loop: Header=BB103_21 Depth=1
	v_add_co_u32_e32 v68, vcc, v66, v65
	v_addc_co_u32_e32 v69, vcc, 0, v67, vcc
	v_add_co_u32_e32 v68, vcc, s7, v68
	v_addc_co_u32_e32 v69, vcc, 0, v69, vcc
	;; [unrolled: 2-line block ×4, first 2 shown]
	v_cndmask_b32_e64 v69, v71, v69, s[0:1]
	v_cndmask_b32_e64 v68, v70, v68, s[0:1]
	global_load_dwordx2 v[68:69], v[68:69], off
	v_add_co_u32_e32 v70, vcc, v56, v0
	v_addc_co_u32_e32 v71, vcc, 0, v57, vcc
	v_lshlrev_b64 v[70:71], 3, v[70:71]
	v_mov_b32_e32 v73, s59
	v_add_co_u32_e32 v72, vcc, s58, v70
	v_addc_co_u32_e32 v73, vcc, v73, v71, vcc
	global_store_dwordx2 v[72:73], v[42:43], off
	v_mov_b32_e32 v72, s11
	v_add_co_u32_e32 v70, vcc, s10, v70
	v_addc_co_u32_e32 v71, vcc, v72, v71, vcc
	s_waitcnt vmcnt(1)
	global_store_dwordx2 v[70:71], v[68:69], off
.LBB103_75:                             ;   in Loop: Header=BB103_21 Depth=1
	s_or_b64 exec, exec, s[36:37]
	v_readlane_b32 s14, v77, 60
	v_readlane_b32 s15, v77, 61
	s_and_saveexec_b64 s[36:37], s[14:15]
	s_cbranch_execz .LBB103_77
; %bb.76:                               ;   in Loop: Header=BB103_21 Depth=1
	v_add_co_u32_e32 v68, vcc, v66, v65
	v_addc_co_u32_e32 v69, vcc, 0, v67, vcc
	v_add_co_u32_e32 v70, vcc, v63, v28
	v_addc_co_u32_e32 v71, vcc, v64, v29, vcc
	v_cndmask_b32_e64 v69, v71, v69, s[0:1]
	v_cndmask_b32_e64 v68, v70, v68, s[0:1]
	global_load_dwordx2 v[68:69], v[68:69], off offset:768
	v_add_co_u32_e32 v70, vcc, v56, v0
	v_addc_co_u32_e32 v71, vcc, 0, v57, vcc
	v_lshlrev_b64 v[70:71], 3, v[70:71]
	v_mov_b32_e32 v73, s61
	v_add_co_u32_e32 v72, vcc, s60, v70
	v_addc_co_u32_e32 v73, vcc, v73, v71, vcc
	global_store_dwordx2 v[72:73], v[44:45], off
	v_mov_b32_e32 v72, s63
	v_add_co_u32_e32 v70, vcc, s62, v70
	v_addc_co_u32_e32 v71, vcc, v72, v71, vcc
	s_waitcnt vmcnt(1)
	global_store_dwordx2 v[70:71], v[68:69], off
.LBB103_77:                             ;   in Loop: Header=BB103_21 Depth=1
	s_or_b64 exec, exec, s[36:37]
	v_readlane_b32 s14, v77, 62
	v_readlane_b32 s15, v77, 63
	s_and_saveexec_b64 s[36:37], s[14:15]
	s_cbranch_execz .LBB103_79
; %bb.78:                               ;   in Loop: Header=BB103_21 Depth=1
	v_add_co_u32_e32 v68, vcc, v66, v65
	v_addc_co_u32_e32 v69, vcc, 0, v67, vcc
	v_add_co_u32_e32 v68, vcc, s79, v68
	v_addc_co_u32_e32 v69, vcc, 0, v69, vcc
	v_add_co_u32_e32 v70, vcc, v63, v30
	v_addc_co_u32_e32 v71, vcc, v64, v31, vcc
	v_add_co_u32_e32 v70, vcc, 0x300, v70
	v_addc_co_u32_e32 v71, vcc, 0, v71, vcc
	v_cndmask_b32_e64 v69, v71, v69, s[0:1]
	v_cndmask_b32_e64 v68, v70, v68, s[0:1]
	global_load_dwordx2 v[68:69], v[68:69], off
	v_add_co_u32_e32 v70, vcc, v56, v0
	v_addc_co_u32_e32 v71, vcc, 0, v57, vcc
	v_lshlrev_b64 v[70:71], 3, v[70:71]
	v_mov_b32_e32 v73, s65
	v_add_co_u32_e32 v72, vcc, s64, v70
	v_addc_co_u32_e32 v73, vcc, v73, v71, vcc
	global_store_dwordx2 v[72:73], v[46:47], off
	v_mov_b32_e32 v72, s67
	v_add_co_u32_e32 v70, vcc, s66, v70
	v_addc_co_u32_e32 v71, vcc, v72, v71, vcc
	s_waitcnt vmcnt(1)
	global_store_dwordx2 v[70:71], v[68:69], off
.LBB103_79:                             ;   in Loop: Header=BB103_21 Depth=1
	s_or_b64 exec, exec, s[36:37]
	v_readlane_b32 s14, v76, 0
	v_readlane_b32 s15, v76, 1
	s_and_saveexec_b64 s[36:37], s[14:15]
	s_cbranch_execz .LBB103_81
; %bb.80:                               ;   in Loop: Header=BB103_21 Depth=1
	v_add_co_u32_e32 v68, vcc, v66, v65
	v_addc_co_u32_e32 v69, vcc, 0, v67, vcc
	v_add_co_u32_e32 v68, vcc, s2, v68
	v_addc_co_u32_e32 v69, vcc, 0, v69, vcc
	v_add_co_u32_e32 v70, vcc, v63, v32
	v_addc_co_u32_e32 v71, vcc, v64, v33, vcc
	v_add_co_u32_e32 v70, vcc, 0x300, v70
	v_addc_co_u32_e32 v71, vcc, 0, v71, vcc
	v_cndmask_b32_e64 v69, v71, v69, s[0:1]
	v_cndmask_b32_e64 v68, v70, v68, s[0:1]
	global_load_dwordx2 v[68:69], v[68:69], off
	v_add_co_u32_e32 v70, vcc, v56, v0
	v_addc_co_u32_e32 v71, vcc, 0, v57, vcc
	v_lshlrev_b64 v[70:71], 3, v[70:71]
	v_mov_b32_e32 v73, s69
	v_add_co_u32_e32 v72, vcc, s68, v70
	v_addc_co_u32_e32 v73, vcc, v73, v71, vcc
	global_store_dwordx2 v[72:73], v[48:49], off
	v_mov_b32_e32 v72, s71
	v_add_co_u32_e32 v70, vcc, s70, v70
	v_addc_co_u32_e32 v71, vcc, v72, v71, vcc
	s_waitcnt vmcnt(1)
	global_store_dwordx2 v[70:71], v[68:69], off
.LBB103_81:                             ;   in Loop: Header=BB103_21 Depth=1
	;; [unrolled: 30-line block ×4, first 2 shown]
	s_or_b64 exec, exec, s[36:37]
	v_mov_b32_e32 v56, s82
	v_add_co_u32_e32 v68, vcc, s81, v11
	v_addc_co_u32_e32 v56, vcc, v13, v56, vcc
	v_mul_lo_u32 v70, v56, s40
	v_pk_mov_b32 v[56:57], s[46:47], s[46:47] op_sel:[0,1]
	v_mul_lo_u32 v69, v68, s41
	v_mad_u64_u32 v[56:57], s[36:37], v68, s40, v[56:57]
	v_mov_b32_e32 v68, s35
	v_add_co_u32_e32 v66, vcc, s34, v66
	v_readlane_b32 s14, v76, 6
	v_add3_u32 v57, v70, v57, v69
	v_addc_co_u32_e32 v67, vcc, v67, v68, vcc
	v_readlane_b32 s15, v76, 7
	s_and_saveexec_b64 s[36:37], s[14:15]
	s_cbranch_execz .LBB103_87
; %bb.86:                               ;   in Loop: Header=BB103_21 Depth=1
	v_add_co_u32_e32 v68, vcc, v66, v65
	v_addc_co_u32_e32 v69, vcc, 0, v67, vcc
	v_add_co_u32_e32 v70, vcc, v63, v24
	v_addc_co_u32_e32 v71, vcc, v64, v25, vcc
	;; [unrolled: 2-line block ×3, first 2 shown]
	v_cndmask_b32_e64 v69, v71, v69, s[0:1]
	v_cndmask_b32_e64 v68, v70, v68, s[0:1]
	global_load_dwordx2 v[68:69], v[68:69], off
	v_add_co_u32_e32 v70, vcc, v56, v0
	v_addc_co_u32_e32 v71, vcc, 0, v57, vcc
	v_lshlrev_b64 v[70:71], 3, v[70:71]
	v_mov_b32_e32 v73, s5
	v_add_co_u32_e32 v72, vcc, s4, v70
	v_addc_co_u32_e32 v73, vcc, v73, v71, vcc
	global_store_dwordx2 v[72:73], v[38:39], off
	v_mov_b32_e32 v72, s49
	v_add_co_u32_e32 v70, vcc, s48, v70
	v_addc_co_u32_e32 v71, vcc, v72, v71, vcc
	s_waitcnt vmcnt(1)
	global_store_dwordx2 v[70:71], v[68:69], off
.LBB103_87:                             ;   in Loop: Header=BB103_21 Depth=1
	s_or_b64 exec, exec, s[36:37]
	v_readlane_b32 s14, v76, 8
	v_readlane_b32 s15, v76, 9
	s_and_saveexec_b64 s[36:37], s[14:15]
	s_cbranch_execz .LBB103_89
; %bb.88:                               ;   in Loop: Header=BB103_21 Depth=1
	v_add_co_u32_e32 v68, vcc, v66, v65
	v_addc_co_u32_e32 v69, vcc, 0, v67, vcc
	v_add_co_u32_e32 v68, vcc, s6, v68
	v_addc_co_u32_e32 v69, vcc, 0, v69, vcc
	v_add_co_u32_e32 v70, vcc, v63, v50
	v_addc_co_u32_e32 v71, vcc, v64, v51, vcc
	v_add_co_u32_e32 v70, vcc, 0x400, v70
	v_addc_co_u32_e32 v71, vcc, 0, v71, vcc
	v_cndmask_b32_e64 v69, v71, v69, s[0:1]
	v_cndmask_b32_e64 v68, v70, v68, s[0:1]
	global_load_dwordx2 v[68:69], v[68:69], off
	v_add_co_u32_e32 v70, vcc, v56, v0
	v_addc_co_u32_e32 v71, vcc, 0, v57, vcc
	v_lshlrev_b64 v[70:71], 3, v[70:71]
	v_mov_b32_e32 v73, s55
	v_add_co_u32_e32 v72, vcc, s54, v70
	v_addc_co_u32_e32 v73, vcc, v73, v71, vcc
	global_store_dwordx2 v[72:73], v[40:41], off
	v_mov_b32_e32 v72, s57
	v_add_co_u32_e32 v70, vcc, s56, v70
	v_addc_co_u32_e32 v71, vcc, v72, v71, vcc
	s_waitcnt vmcnt(1)
	global_store_dwordx2 v[70:71], v[68:69], off
.LBB103_89:                             ;   in Loop: Header=BB103_21 Depth=1
	s_or_b64 exec, exec, s[36:37]
	v_readlane_b32 s14, v76, 10
	v_readlane_b32 s15, v76, 11
	s_and_saveexec_b64 s[36:37], s[14:15]
	s_cbranch_execz .LBB103_91
; %bb.90:                               ;   in Loop: Header=BB103_21 Depth=1
	v_add_co_u32_e32 v68, vcc, v66, v65
	v_addc_co_u32_e32 v69, vcc, 0, v67, vcc
	v_add_co_u32_e32 v68, vcc, s7, v68
	v_addc_co_u32_e32 v69, vcc, 0, v69, vcc
	v_add_co_u32_e32 v70, vcc, v63, v26
	v_addc_co_u32_e32 v71, vcc, v64, v27, vcc
	v_add_co_u32_e32 v70, vcc, 0x400, v70
	v_addc_co_u32_e32 v71, vcc, 0, v71, vcc
	v_cndmask_b32_e64 v69, v71, v69, s[0:1]
	v_cndmask_b32_e64 v68, v70, v68, s[0:1]
	global_load_dwordx2 v[68:69], v[68:69], off
	v_add_co_u32_e32 v70, vcc, v56, v0
	v_addc_co_u32_e32 v71, vcc, 0, v57, vcc
	v_lshlrev_b64 v[70:71], 3, v[70:71]
	v_mov_b32_e32 v73, s59
	v_add_co_u32_e32 v72, vcc, s58, v70
	v_addc_co_u32_e32 v73, vcc, v73, v71, vcc
	global_store_dwordx2 v[72:73], v[42:43], off
	v_mov_b32_e32 v72, s11
	v_add_co_u32_e32 v70, vcc, s10, v70
	v_addc_co_u32_e32 v71, vcc, v72, v71, vcc
	s_waitcnt vmcnt(1)
	global_store_dwordx2 v[70:71], v[68:69], off
.LBB103_91:                             ;   in Loop: Header=BB103_21 Depth=1
	s_or_b64 exec, exec, s[36:37]
	v_readlane_b32 s14, v76, 12
	v_readlane_b32 s15, v76, 13
	s_and_saveexec_b64 s[36:37], s[14:15]
	s_cbranch_execz .LBB103_93
; %bb.92:                               ;   in Loop: Header=BB103_21 Depth=1
	v_add_co_u32_e32 v68, vcc, v66, v65
	v_addc_co_u32_e32 v69, vcc, 0, v67, vcc
	v_add_co_u32_e32 v68, vcc, s78, v68
	v_addc_co_u32_e32 v69, vcc, 0, v69, vcc
	v_add_co_u32_e32 v70, vcc, v63, v28
	v_addc_co_u32_e32 v71, vcc, v64, v29, vcc
	v_add_co_u32_e32 v70, vcc, 0x400, v70
	v_addc_co_u32_e32 v71, vcc, 0, v71, vcc
	v_cndmask_b32_e64 v69, v71, v69, s[0:1]
	v_cndmask_b32_e64 v68, v70, v68, s[0:1]
	global_load_dwordx2 v[68:69], v[68:69], off
	v_add_co_u32_e32 v70, vcc, v56, v0
	v_addc_co_u32_e32 v71, vcc, 0, v57, vcc
	v_lshlrev_b64 v[70:71], 3, v[70:71]
	v_mov_b32_e32 v73, s61
	v_add_co_u32_e32 v72, vcc, s60, v70
	v_addc_co_u32_e32 v73, vcc, v73, v71, vcc
	global_store_dwordx2 v[72:73], v[44:45], off
	v_mov_b32_e32 v72, s63
	v_add_co_u32_e32 v70, vcc, s62, v70
	v_addc_co_u32_e32 v71, vcc, v72, v71, vcc
	s_waitcnt vmcnt(1)
	global_store_dwordx2 v[70:71], v[68:69], off
.LBB103_93:                             ;   in Loop: Header=BB103_21 Depth=1
	s_or_b64 exec, exec, s[36:37]
	v_readlane_b32 s14, v76, 14
	v_readlane_b32 s15, v76, 15
	s_and_saveexec_b64 s[36:37], s[14:15]
	s_cbranch_execz .LBB103_95
; %bb.94:                               ;   in Loop: Header=BB103_21 Depth=1
	v_add_co_u32_e32 v68, vcc, v56, v0
	v_addc_co_u32_e32 v69, vcc, 0, v57, vcc
	v_lshlrev_b64 v[68:69], 3, v[68:69]
	v_mov_b32_e32 v71, s65
	v_add_co_u32_e32 v70, vcc, s64, v68
	v_addc_co_u32_e32 v71, vcc, v71, v69, vcc
	global_store_dwordx2 v[70:71], v[46:47], off
	v_add_co_u32_e32 v70, vcc, v66, v65
	v_addc_co_u32_e32 v71, vcc, 0, v67, vcc
	v_add_co_u32_e32 v72, vcc, v63, v30
	v_addc_co_u32_e32 v73, vcc, v64, v31, vcc
	v_cndmask_b32_e64 v71, v73, v71, s[0:1]
	v_cndmask_b32_e64 v70, v72, v70, s[0:1]
	global_load_dwordx2 v[70:71], v[70:71], off offset:1024
	v_mov_b32_e32 v72, s67
	v_add_co_u32_e32 v68, vcc, s66, v68
	v_addc_co_u32_e32 v69, vcc, v72, v69, vcc
	s_waitcnt vmcnt(0)
	global_store_dwordx2 v[68:69], v[70:71], off
.LBB103_95:                             ;   in Loop: Header=BB103_21 Depth=1
	s_or_b64 exec, exec, s[36:37]
	v_readlane_b32 s14, v76, 16
	v_readlane_b32 s15, v76, 17
	s_and_saveexec_b64 s[36:37], s[14:15]
	s_cbranch_execz .LBB103_97
; %bb.96:                               ;   in Loop: Header=BB103_21 Depth=1
	v_add_co_u32_e32 v68, vcc, v66, v65
	v_addc_co_u32_e32 v69, vcc, 0, v67, vcc
	v_add_co_u32_e32 v68, vcc, s2, v68
	v_addc_co_u32_e32 v69, vcc, 0, v69, vcc
	;; [unrolled: 2-line block ×4, first 2 shown]
	v_cndmask_b32_e64 v69, v71, v69, s[0:1]
	v_cndmask_b32_e64 v68, v70, v68, s[0:1]
	global_load_dwordx2 v[68:69], v[68:69], off
	v_add_co_u32_e32 v70, vcc, v56, v0
	v_addc_co_u32_e32 v71, vcc, 0, v57, vcc
	v_lshlrev_b64 v[70:71], 3, v[70:71]
	v_mov_b32_e32 v73, s69
	v_add_co_u32_e32 v72, vcc, s68, v70
	v_addc_co_u32_e32 v73, vcc, v73, v71, vcc
	global_store_dwordx2 v[72:73], v[48:49], off
	v_mov_b32_e32 v72, s71
	v_add_co_u32_e32 v70, vcc, s70, v70
	v_addc_co_u32_e32 v71, vcc, v72, v71, vcc
	s_waitcnt vmcnt(1)
	global_store_dwordx2 v[70:71], v[68:69], off
.LBB103_97:                             ;   in Loop: Header=BB103_21 Depth=1
	s_or_b64 exec, exec, s[36:37]
	v_readlane_b32 s14, v76, 18
	v_readlane_b32 s15, v76, 19
	s_and_saveexec_b64 s[36:37], s[14:15]
	s_cbranch_execz .LBB103_99
; %bb.98:                               ;   in Loop: Header=BB103_21 Depth=1
	v_add_co_u32_e32 v68, vcc, v66, v65
	v_addc_co_u32_e32 v69, vcc, 0, v67, vcc
	v_add_co_u32_e32 v68, vcc, s3, v68
	v_addc_co_u32_e32 v69, vcc, 0, v69, vcc
	;; [unrolled: 2-line block ×4, first 2 shown]
	v_cndmask_b32_e64 v69, v71, v69, s[0:1]
	v_cndmask_b32_e64 v68, v70, v68, s[0:1]
	global_load_dwordx2 v[68:69], v[68:69], off
	v_add_co_u32_e32 v70, vcc, v56, v0
	v_addc_co_u32_e32 v71, vcc, 0, v57, vcc
	v_lshlrev_b64 v[70:71], 3, v[70:71]
	v_mov_b32_e32 v73, s73
	v_add_co_u32_e32 v72, vcc, s72, v70
	v_addc_co_u32_e32 v73, vcc, v73, v71, vcc
	global_store_dwordx2 v[72:73], v[52:53], off
	v_mov_b32_e32 v72, s13
	v_add_co_u32_e32 v70, vcc, s12, v70
	v_addc_co_u32_e32 v71, vcc, v72, v71, vcc
	s_waitcnt vmcnt(1)
	global_store_dwordx2 v[70:71], v[68:69], off
.LBB103_99:                             ;   in Loop: Header=BB103_21 Depth=1
	s_or_b64 exec, exec, s[36:37]
	v_readlane_b32 s14, v76, 20
	v_readlane_b32 s15, v76, 21
	s_and_saveexec_b64 s[36:37], s[14:15]
	s_cbranch_execz .LBB103_101
; %bb.100:                              ;   in Loop: Header=BB103_21 Depth=1
	v_add_co_u32_e32 v68, vcc, v66, v65
	v_addc_co_u32_e32 v69, vcc, 0, v67, vcc
	v_add_co_u32_e32 v68, vcc, s80, v68
	v_addc_co_u32_e32 v69, vcc, 0, v69, vcc
	;; [unrolled: 2-line block ×4, first 2 shown]
	v_cndmask_b32_e64 v69, v71, v69, s[0:1]
	v_cndmask_b32_e64 v68, v70, v68, s[0:1]
	global_load_dwordx2 v[68:69], v[68:69], off
	v_add_co_u32_e32 v56, vcc, v56, v0
	v_addc_co_u32_e32 v57, vcc, 0, v57, vcc
	v_lshlrev_b64 v[56:57], 3, v[56:57]
	v_mov_b32_e32 v71, s75
	v_add_co_u32_e32 v70, vcc, s74, v56
	v_addc_co_u32_e32 v71, vcc, v71, v57, vcc
	global_store_dwordx2 v[70:71], v[54:55], off
	v_mov_b32_e32 v70, s77
	v_add_co_u32_e32 v56, vcc, s76, v56
	v_addc_co_u32_e32 v57, vcc, v70, v57, vcc
	s_waitcnt vmcnt(1)
	global_store_dwordx2 v[56:57], v[68:69], off
.LBB103_101:                            ;   in Loop: Header=BB103_21 Depth=1
	s_or_b64 exec, exec, s[36:37]
	v_mov_b32_e32 v56, s82
	v_add_co_u32_e32 v68, vcc, s81, v15
	v_addc_co_u32_e32 v56, vcc, v17, v56, vcc
	v_mul_lo_u32 v70, v56, s40
	v_pk_mov_b32 v[56:57], s[46:47], s[46:47] op_sel:[0,1]
	v_mul_lo_u32 v69, v68, s41
	v_mad_u64_u32 v[56:57], s[36:37], v68, s40, v[56:57]
	v_mov_b32_e32 v68, s35
	v_add_co_u32_e32 v66, vcc, s34, v66
	v_readlane_b32 s14, v76, 22
	v_add3_u32 v57, v70, v57, v69
	v_addc_co_u32_e32 v67, vcc, v67, v68, vcc
	v_readlane_b32 s15, v76, 23
	s_and_saveexec_b64 s[36:37], s[14:15]
	s_cbranch_execz .LBB103_103
; %bb.102:                              ;   in Loop: Header=BB103_21 Depth=1
	v_add_co_u32_e32 v68, vcc, v66, v65
	v_addc_co_u32_e32 v69, vcc, 0, v67, vcc
	v_add_co_u32_e32 v70, vcc, v63, v24
	v_addc_co_u32_e32 v71, vcc, v64, v25, vcc
	;; [unrolled: 2-line block ×3, first 2 shown]
	v_cndmask_b32_e64 v69, v71, v69, s[0:1]
	v_cndmask_b32_e64 v68, v70, v68, s[0:1]
	global_load_dwordx2 v[68:69], v[68:69], off
	v_add_co_u32_e32 v70, vcc, v56, v0
	v_addc_co_u32_e32 v71, vcc, 0, v57, vcc
	v_lshlrev_b64 v[70:71], 3, v[70:71]
	v_mov_b32_e32 v73, s5
	v_add_co_u32_e32 v72, vcc, s4, v70
	v_addc_co_u32_e32 v73, vcc, v73, v71, vcc
	global_store_dwordx2 v[72:73], v[38:39], off
	v_mov_b32_e32 v72, s49
	v_add_co_u32_e32 v70, vcc, s48, v70
	v_addc_co_u32_e32 v71, vcc, v72, v71, vcc
	s_waitcnt vmcnt(1)
	global_store_dwordx2 v[70:71], v[68:69], off
.LBB103_103:                            ;   in Loop: Header=BB103_21 Depth=1
	s_or_b64 exec, exec, s[36:37]
	v_readlane_b32 s14, v76, 24
	v_readlane_b32 s15, v76, 25
	s_and_saveexec_b64 s[36:37], s[14:15]
	s_cbranch_execz .LBB103_105
; %bb.104:                              ;   in Loop: Header=BB103_21 Depth=1
	v_add_co_u32_e32 v68, vcc, v66, v65
	v_addc_co_u32_e32 v69, vcc, 0, v67, vcc
	v_add_co_u32_e32 v68, vcc, s6, v68
	v_addc_co_u32_e32 v69, vcc, 0, v69, vcc
	v_add_co_u32_e32 v70, vcc, v63, v50
	v_addc_co_u32_e32 v71, vcc, v64, v51, vcc
	v_add_co_u32_e32 v70, vcc, 0x500, v70
	v_addc_co_u32_e32 v71, vcc, 0, v71, vcc
	v_cndmask_b32_e64 v69, v71, v69, s[0:1]
	v_cndmask_b32_e64 v68, v70, v68, s[0:1]
	global_load_dwordx2 v[68:69], v[68:69], off
	v_add_co_u32_e32 v70, vcc, v56, v0
	v_addc_co_u32_e32 v71, vcc, 0, v57, vcc
	v_lshlrev_b64 v[70:71], 3, v[70:71]
	v_mov_b32_e32 v73, s55
	v_add_co_u32_e32 v72, vcc, s54, v70
	v_addc_co_u32_e32 v73, vcc, v73, v71, vcc
	global_store_dwordx2 v[72:73], v[40:41], off
	v_mov_b32_e32 v72, s57
	v_add_co_u32_e32 v70, vcc, s56, v70
	v_addc_co_u32_e32 v71, vcc, v72, v71, vcc
	s_waitcnt vmcnt(1)
	global_store_dwordx2 v[70:71], v[68:69], off
.LBB103_105:                            ;   in Loop: Header=BB103_21 Depth=1
	s_or_b64 exec, exec, s[36:37]
	v_readlane_b32 s14, v76, 26
	v_readlane_b32 s15, v76, 27
	s_and_saveexec_b64 s[36:37], s[14:15]
	s_cbranch_execz .LBB103_107
; %bb.106:                              ;   in Loop: Header=BB103_21 Depth=1
	v_add_co_u32_e32 v68, vcc, v66, v65
	v_addc_co_u32_e32 v69, vcc, 0, v67, vcc
	v_add_co_u32_e32 v68, vcc, s7, v68
	v_addc_co_u32_e32 v69, vcc, 0, v69, vcc
	v_add_co_u32_e32 v70, vcc, v63, v26
	v_addc_co_u32_e32 v71, vcc, v64, v27, vcc
	v_add_co_u32_e32 v70, vcc, 0x500, v70
	v_addc_co_u32_e32 v71, vcc, 0, v71, vcc
	v_cndmask_b32_e64 v69, v71, v69, s[0:1]
	v_cndmask_b32_e64 v68, v70, v68, s[0:1]
	global_load_dwordx2 v[68:69], v[68:69], off
	v_add_co_u32_e32 v70, vcc, v56, v0
	v_addc_co_u32_e32 v71, vcc, 0, v57, vcc
	v_lshlrev_b64 v[70:71], 3, v[70:71]
	v_mov_b32_e32 v73, s59
	v_add_co_u32_e32 v72, vcc, s58, v70
	v_addc_co_u32_e32 v73, vcc, v73, v71, vcc
	global_store_dwordx2 v[72:73], v[42:43], off
	v_mov_b32_e32 v72, s11
	v_add_co_u32_e32 v70, vcc, s10, v70
	v_addc_co_u32_e32 v71, vcc, v72, v71, vcc
	s_waitcnt vmcnt(1)
	global_store_dwordx2 v[70:71], v[68:69], off
.LBB103_107:                            ;   in Loop: Header=BB103_21 Depth=1
	;; [unrolled: 30-line block ×4, first 2 shown]
	s_or_b64 exec, exec, s[36:37]
	v_readlane_b32 s14, v76, 32
	v_readlane_b32 s15, v76, 33
	s_and_saveexec_b64 s[36:37], s[14:15]
	s_cbranch_execz .LBB103_113
; %bb.112:                              ;   in Loop: Header=BB103_21 Depth=1
	v_add_co_u32_e32 v68, vcc, v56, v0
	v_addc_co_u32_e32 v69, vcc, 0, v57, vcc
	v_lshlrev_b64 v[68:69], 3, v[68:69]
	v_mov_b32_e32 v71, s69
	v_add_co_u32_e32 v70, vcc, s68, v68
	v_addc_co_u32_e32 v71, vcc, v71, v69, vcc
	global_store_dwordx2 v[70:71], v[48:49], off
	v_add_co_u32_e32 v70, vcc, v66, v65
	v_addc_co_u32_e32 v71, vcc, 0, v67, vcc
	v_add_co_u32_e32 v72, vcc, v63, v32
	v_addc_co_u32_e32 v73, vcc, v64, v33, vcc
	v_cndmask_b32_e64 v71, v73, v71, s[0:1]
	v_cndmask_b32_e64 v70, v72, v70, s[0:1]
	global_load_dwordx2 v[70:71], v[70:71], off offset:1280
	v_mov_b32_e32 v72, s71
	v_add_co_u32_e32 v68, vcc, s70, v68
	v_addc_co_u32_e32 v69, vcc, v72, v69, vcc
	s_waitcnt vmcnt(0)
	global_store_dwordx2 v[68:69], v[70:71], off
.LBB103_113:                            ;   in Loop: Header=BB103_21 Depth=1
	s_or_b64 exec, exec, s[36:37]
	v_readlane_b32 s14, v76, 34
	v_readlane_b32 s15, v76, 35
	s_and_saveexec_b64 s[36:37], s[14:15]
	s_cbranch_execz .LBB103_115
; %bb.114:                              ;   in Loop: Header=BB103_21 Depth=1
	v_add_co_u32_e32 v68, vcc, v66, v65
	v_addc_co_u32_e32 v69, vcc, 0, v67, vcc
	v_add_co_u32_e32 v68, vcc, s3, v68
	v_addc_co_u32_e32 v69, vcc, 0, v69, vcc
	;; [unrolled: 2-line block ×4, first 2 shown]
	v_cndmask_b32_e64 v69, v71, v69, s[0:1]
	v_cndmask_b32_e64 v68, v70, v68, s[0:1]
	global_load_dwordx2 v[68:69], v[68:69], off
	v_add_co_u32_e32 v70, vcc, v56, v0
	v_addc_co_u32_e32 v71, vcc, 0, v57, vcc
	v_lshlrev_b64 v[70:71], 3, v[70:71]
	v_mov_b32_e32 v73, s73
	v_add_co_u32_e32 v72, vcc, s72, v70
	v_addc_co_u32_e32 v73, vcc, v73, v71, vcc
	global_store_dwordx2 v[72:73], v[52:53], off
	v_mov_b32_e32 v72, s13
	v_add_co_u32_e32 v70, vcc, s12, v70
	v_addc_co_u32_e32 v71, vcc, v72, v71, vcc
	s_waitcnt vmcnt(1)
	global_store_dwordx2 v[70:71], v[68:69], off
.LBB103_115:                            ;   in Loop: Header=BB103_21 Depth=1
	s_or_b64 exec, exec, s[36:37]
	v_readlane_b32 s14, v76, 36
	v_readlane_b32 s15, v76, 37
	s_and_saveexec_b64 s[36:37], s[14:15]
	s_cbranch_execz .LBB103_117
; %bb.116:                              ;   in Loop: Header=BB103_21 Depth=1
	v_add_co_u32_e32 v68, vcc, v66, v65
	v_addc_co_u32_e32 v69, vcc, 0, v67, vcc
	v_add_co_u32_e32 v68, vcc, s80, v68
	v_addc_co_u32_e32 v69, vcc, 0, v69, vcc
	;; [unrolled: 2-line block ×4, first 2 shown]
	v_cndmask_b32_e64 v69, v71, v69, s[0:1]
	v_cndmask_b32_e64 v68, v70, v68, s[0:1]
	global_load_dwordx2 v[68:69], v[68:69], off
	v_add_co_u32_e32 v56, vcc, v56, v0
	v_addc_co_u32_e32 v57, vcc, 0, v57, vcc
	v_lshlrev_b64 v[56:57], 3, v[56:57]
	v_mov_b32_e32 v71, s75
	v_add_co_u32_e32 v70, vcc, s74, v56
	v_addc_co_u32_e32 v71, vcc, v71, v57, vcc
	global_store_dwordx2 v[70:71], v[54:55], off
	v_mov_b32_e32 v70, s77
	v_add_co_u32_e32 v56, vcc, s76, v56
	v_addc_co_u32_e32 v57, vcc, v70, v57, vcc
	s_waitcnt vmcnt(1)
	global_store_dwordx2 v[56:57], v[68:69], off
.LBB103_117:                            ;   in Loop: Header=BB103_21 Depth=1
	s_or_b64 exec, exec, s[36:37]
	v_mov_b32_e32 v56, s82
	v_add_co_u32_e32 v68, vcc, s81, v59
	v_addc_co_u32_e32 v56, vcc, v60, v56, vcc
	v_mul_lo_u32 v70, v56, s40
	v_pk_mov_b32 v[56:57], s[46:47], s[46:47] op_sel:[0,1]
	v_mul_lo_u32 v69, v68, s41
	v_mad_u64_u32 v[56:57], s[36:37], v68, s40, v[56:57]
	v_mov_b32_e32 v68, s35
	v_add_co_u32_e32 v66, vcc, s34, v66
	v_add3_u32 v57, v70, v57, v69
	v_addc_co_u32_e32 v67, vcc, v67, v68, vcc
	s_and_saveexec_b64 s[36:37], s[84:85]
	s_cbranch_execnz .LBB103_134
; %bb.118:                              ;   in Loop: Header=BB103_21 Depth=1
	s_or_b64 exec, exec, s[36:37]
	s_and_saveexec_b64 s[36:37], s[86:87]
	s_cbranch_execnz .LBB103_135
.LBB103_119:                            ;   in Loop: Header=BB103_21 Depth=1
	s_or_b64 exec, exec, s[36:37]
	s_and_saveexec_b64 s[36:37], s[88:89]
	s_cbranch_execnz .LBB103_136
.LBB103_120:                            ;   in Loop: Header=BB103_21 Depth=1
	s_or_b64 exec, exec, s[36:37]
	s_and_saveexec_b64 s[36:37], s[90:91]
	s_cbranch_execnz .LBB103_137
.LBB103_121:                            ;   in Loop: Header=BB103_21 Depth=1
	s_or_b64 exec, exec, s[36:37]
	s_and_saveexec_b64 s[36:37], s[92:93]
	s_cbranch_execnz .LBB103_138
.LBB103_122:                            ;   in Loop: Header=BB103_21 Depth=1
	s_or_b64 exec, exec, s[36:37]
	s_and_saveexec_b64 s[36:37], s[8:9]
	s_cbranch_execnz .LBB103_139
.LBB103_123:                            ;   in Loop: Header=BB103_21 Depth=1
	s_or_b64 exec, exec, s[36:37]
	s_and_saveexec_b64 s[36:37], s[94:95]
	s_cbranch_execnz .LBB103_140
.LBB103_124:                            ;   in Loop: Header=BB103_21 Depth=1
	s_or_b64 exec, exec, s[36:37]
	s_and_saveexec_b64 s[36:37], s[16:17]
	s_cbranch_execz .LBB103_126
.LBB103_125:                            ;   in Loop: Header=BB103_21 Depth=1
	v_add_co_u32_e32 v68, vcc, v66, v65
	v_addc_co_u32_e32 v69, vcc, 0, v67, vcc
	v_add_co_u32_e32 v68, vcc, s80, v68
	v_addc_co_u32_e32 v69, vcc, 0, v69, vcc
	;; [unrolled: 2-line block ×4, first 2 shown]
	v_cndmask_b32_e64 v69, v71, v69, s[0:1]
	v_cndmask_b32_e64 v68, v70, v68, s[0:1]
	global_load_dwordx2 v[68:69], v[68:69], off
	v_add_co_u32_e32 v56, vcc, v56, v0
	v_addc_co_u32_e32 v57, vcc, 0, v57, vcc
	v_lshlrev_b64 v[56:57], 3, v[56:57]
	v_mov_b32_e32 v71, s75
	v_add_co_u32_e32 v70, vcc, s74, v56
	v_addc_co_u32_e32 v71, vcc, v71, v57, vcc
	global_store_dwordx2 v[70:71], v[54:55], off
	v_mov_b32_e32 v70, s77
	v_add_co_u32_e32 v56, vcc, s76, v56
	v_addc_co_u32_e32 v57, vcc, v70, v57, vcc
	s_waitcnt vmcnt(1)
	global_store_dwordx2 v[56:57], v[68:69], off
.LBB103_126:                            ;   in Loop: Header=BB103_21 Depth=1
	s_or_b64 exec, exec, s[36:37]
	v_mov_b32_e32 v56, s82
	v_add_co_u32_e32 v68, vcc, s81, v61
	v_addc_co_u32_e32 v56, vcc, v62, v56, vcc
	v_mul_lo_u32 v70, v56, s40
	v_pk_mov_b32 v[56:57], s[46:47], s[46:47] op_sel:[0,1]
	v_mul_lo_u32 v69, v68, s41
	v_mad_u64_u32 v[56:57], s[36:37], v68, s40, v[56:57]
	v_add3_u32 v68, v70, v57, v69
	v_mov_b32_e32 v69, s35
	v_add_co_u32_e32 v57, vcc, s34, v66
	v_addc_co_u32_e32 v66, vcc, v67, v69, vcc
	s_and_saveexec_b64 s[34:35], s[38:39]
	s_cbranch_execnz .LBB103_141
; %bb.127:                              ;   in Loop: Header=BB103_21 Depth=1
	s_or_b64 exec, exec, s[34:35]
	s_and_saveexec_b64 s[34:35], s[20:21]
	s_cbranch_execnz .LBB103_142
.LBB103_128:                            ;   in Loop: Header=BB103_21 Depth=1
	s_or_b64 exec, exec, s[34:35]
	s_and_saveexec_b64 s[34:35], s[22:23]
	s_cbranch_execnz .LBB103_143
.LBB103_129:                            ;   in Loop: Header=BB103_21 Depth=1
	s_or_b64 exec, exec, s[34:35]
	s_and_saveexec_b64 s[34:35], s[24:25]
	s_cbranch_execnz .LBB103_144
.LBB103_130:                            ;   in Loop: Header=BB103_21 Depth=1
	s_or_b64 exec, exec, s[34:35]
	s_and_saveexec_b64 s[34:35], s[26:27]
	s_cbranch_execnz .LBB103_145
.LBB103_131:                            ;   in Loop: Header=BB103_21 Depth=1
	s_or_b64 exec, exec, s[34:35]
	s_and_saveexec_b64 s[34:35], s[28:29]
	s_cbranch_execnz .LBB103_146
.LBB103_132:                            ;   in Loop: Header=BB103_21 Depth=1
	s_or_b64 exec, exec, s[34:35]
	s_and_saveexec_b64 s[34:35], s[30:31]
	s_cbranch_execnz .LBB103_147
.LBB103_133:                            ;   in Loop: Header=BB103_21 Depth=1
	s_or_b64 exec, exec, s[34:35]
	s_and_saveexec_b64 s[34:35], s[18:19]
	s_cbranch_execz .LBB103_20
	s_branch .LBB103_148
.LBB103_134:                            ;   in Loop: Header=BB103_21 Depth=1
	v_add_co_u32_e32 v68, vcc, v66, v65
	v_addc_co_u32_e32 v69, vcc, 0, v67, vcc
	v_add_co_u32_e32 v70, vcc, v63, v24
	v_addc_co_u32_e32 v71, vcc, v64, v25, vcc
	;; [unrolled: 2-line block ×3, first 2 shown]
	v_cndmask_b32_e64 v69, v71, v69, s[0:1]
	v_cndmask_b32_e64 v68, v70, v68, s[0:1]
	global_load_dwordx2 v[68:69], v[68:69], off
	v_add_co_u32_e32 v70, vcc, v56, v0
	v_addc_co_u32_e32 v71, vcc, 0, v57, vcc
	v_lshlrev_b64 v[70:71], 3, v[70:71]
	v_mov_b32_e32 v73, s5
	v_add_co_u32_e32 v72, vcc, s4, v70
	v_addc_co_u32_e32 v73, vcc, v73, v71, vcc
	global_store_dwordx2 v[72:73], v[38:39], off
	v_mov_b32_e32 v72, s49
	v_add_co_u32_e32 v70, vcc, s48, v70
	v_addc_co_u32_e32 v71, vcc, v72, v71, vcc
	s_waitcnt vmcnt(1)
	global_store_dwordx2 v[70:71], v[68:69], off
	s_or_b64 exec, exec, s[36:37]
	s_and_saveexec_b64 s[36:37], s[86:87]
	s_cbranch_execz .LBB103_119
.LBB103_135:                            ;   in Loop: Header=BB103_21 Depth=1
	v_add_co_u32_e32 v68, vcc, v66, v65
	v_addc_co_u32_e32 v69, vcc, 0, v67, vcc
	v_add_co_u32_e32 v68, vcc, s6, v68
	v_addc_co_u32_e32 v69, vcc, 0, v69, vcc
	;; [unrolled: 2-line block ×4, first 2 shown]
	v_cndmask_b32_e64 v69, v71, v69, s[0:1]
	v_cndmask_b32_e64 v68, v70, v68, s[0:1]
	global_load_dwordx2 v[68:69], v[68:69], off
	v_add_co_u32_e32 v70, vcc, v56, v0
	v_addc_co_u32_e32 v71, vcc, 0, v57, vcc
	v_lshlrev_b64 v[70:71], 3, v[70:71]
	v_mov_b32_e32 v73, s55
	v_add_co_u32_e32 v72, vcc, s54, v70
	v_addc_co_u32_e32 v73, vcc, v73, v71, vcc
	global_store_dwordx2 v[72:73], v[40:41], off
	v_mov_b32_e32 v72, s57
	v_add_co_u32_e32 v70, vcc, s56, v70
	v_addc_co_u32_e32 v71, vcc, v72, v71, vcc
	s_waitcnt vmcnt(1)
	global_store_dwordx2 v[70:71], v[68:69], off
	s_or_b64 exec, exec, s[36:37]
	s_and_saveexec_b64 s[36:37], s[88:89]
	s_cbranch_execz .LBB103_120
.LBB103_136:                            ;   in Loop: Header=BB103_21 Depth=1
	v_add_co_u32_e32 v68, vcc, v66, v65
	v_addc_co_u32_e32 v69, vcc, 0, v67, vcc
	v_add_co_u32_e32 v68, vcc, s7, v68
	v_addc_co_u32_e32 v69, vcc, 0, v69, vcc
	;; [unrolled: 2-line block ×4, first 2 shown]
	v_cndmask_b32_e64 v69, v71, v69, s[0:1]
	v_cndmask_b32_e64 v68, v70, v68, s[0:1]
	global_load_dwordx2 v[68:69], v[68:69], off
	v_add_co_u32_e32 v70, vcc, v56, v0
	v_addc_co_u32_e32 v71, vcc, 0, v57, vcc
	v_lshlrev_b64 v[70:71], 3, v[70:71]
	v_mov_b32_e32 v73, s59
	v_add_co_u32_e32 v72, vcc, s58, v70
	v_addc_co_u32_e32 v73, vcc, v73, v71, vcc
	global_store_dwordx2 v[72:73], v[42:43], off
	v_mov_b32_e32 v72, s11
	v_add_co_u32_e32 v70, vcc, s10, v70
	v_addc_co_u32_e32 v71, vcc, v72, v71, vcc
	s_waitcnt vmcnt(1)
	global_store_dwordx2 v[70:71], v[68:69], off
	s_or_b64 exec, exec, s[36:37]
	s_and_saveexec_b64 s[36:37], s[90:91]
	s_cbranch_execz .LBB103_121
.LBB103_137:                            ;   in Loop: Header=BB103_21 Depth=1
	v_add_co_u32_e32 v68, vcc, v66, v65
	v_addc_co_u32_e32 v69, vcc, 0, v67, vcc
	v_add_co_u32_e32 v68, vcc, s78, v68
	v_addc_co_u32_e32 v69, vcc, 0, v69, vcc
	v_add_co_u32_e32 v70, vcc, v63, v28
	v_addc_co_u32_e32 v71, vcc, v64, v29, vcc
	v_add_co_u32_e32 v70, vcc, 0x600, v70
	v_addc_co_u32_e32 v71, vcc, 0, v71, vcc
	v_cndmask_b32_e64 v69, v71, v69, s[0:1]
	v_cndmask_b32_e64 v68, v70, v68, s[0:1]
	global_load_dwordx2 v[68:69], v[68:69], off
	v_add_co_u32_e32 v70, vcc, v56, v0
	v_addc_co_u32_e32 v71, vcc, 0, v57, vcc
	v_lshlrev_b64 v[70:71], 3, v[70:71]
	v_mov_b32_e32 v73, s61
	v_add_co_u32_e32 v72, vcc, s60, v70
	v_addc_co_u32_e32 v73, vcc, v73, v71, vcc
	global_store_dwordx2 v[72:73], v[44:45], off
	v_mov_b32_e32 v72, s63
	v_add_co_u32_e32 v70, vcc, s62, v70
	v_addc_co_u32_e32 v71, vcc, v72, v71, vcc
	s_waitcnt vmcnt(1)
	global_store_dwordx2 v[70:71], v[68:69], off
	s_or_b64 exec, exec, s[36:37]
	s_and_saveexec_b64 s[36:37], s[92:93]
	s_cbranch_execz .LBB103_122
.LBB103_138:                            ;   in Loop: Header=BB103_21 Depth=1
	v_add_co_u32_e32 v68, vcc, v66, v65
	v_addc_co_u32_e32 v69, vcc, 0, v67, vcc
	v_add_co_u32_e32 v68, vcc, s79, v68
	v_addc_co_u32_e32 v69, vcc, 0, v69, vcc
	;; [unrolled: 2-line block ×4, first 2 shown]
	v_cndmask_b32_e64 v69, v71, v69, s[0:1]
	v_cndmask_b32_e64 v68, v70, v68, s[0:1]
	global_load_dwordx2 v[68:69], v[68:69], off
	v_add_co_u32_e32 v70, vcc, v56, v0
	v_addc_co_u32_e32 v71, vcc, 0, v57, vcc
	v_lshlrev_b64 v[70:71], 3, v[70:71]
	v_mov_b32_e32 v73, s65
	v_add_co_u32_e32 v72, vcc, s64, v70
	v_addc_co_u32_e32 v73, vcc, v73, v71, vcc
	global_store_dwordx2 v[72:73], v[46:47], off
	v_mov_b32_e32 v72, s67
	v_add_co_u32_e32 v70, vcc, s66, v70
	v_addc_co_u32_e32 v71, vcc, v72, v71, vcc
	s_waitcnt vmcnt(1)
	global_store_dwordx2 v[70:71], v[68:69], off
	s_or_b64 exec, exec, s[36:37]
	s_and_saveexec_b64 s[36:37], s[8:9]
	s_cbranch_execz .LBB103_123
.LBB103_139:                            ;   in Loop: Header=BB103_21 Depth=1
	v_add_co_u32_e32 v68, vcc, v66, v65
	v_addc_co_u32_e32 v69, vcc, 0, v67, vcc
	v_add_co_u32_e32 v68, vcc, s2, v68
	v_addc_co_u32_e32 v69, vcc, 0, v69, vcc
	;; [unrolled: 2-line block ×4, first 2 shown]
	v_cndmask_b32_e64 v69, v71, v69, s[0:1]
	v_cndmask_b32_e64 v68, v70, v68, s[0:1]
	global_load_dwordx2 v[68:69], v[68:69], off
	v_add_co_u32_e32 v70, vcc, v56, v0
	v_addc_co_u32_e32 v71, vcc, 0, v57, vcc
	v_lshlrev_b64 v[70:71], 3, v[70:71]
	v_mov_b32_e32 v73, s69
	v_add_co_u32_e32 v72, vcc, s68, v70
	v_addc_co_u32_e32 v73, vcc, v73, v71, vcc
	global_store_dwordx2 v[72:73], v[48:49], off
	v_mov_b32_e32 v72, s71
	v_add_co_u32_e32 v70, vcc, s70, v70
	v_addc_co_u32_e32 v71, vcc, v72, v71, vcc
	s_waitcnt vmcnt(1)
	global_store_dwordx2 v[70:71], v[68:69], off
	s_or_b64 exec, exec, s[36:37]
	s_and_saveexec_b64 s[36:37], s[94:95]
	s_cbranch_execz .LBB103_124
.LBB103_140:                            ;   in Loop: Header=BB103_21 Depth=1
	v_add_co_u32_e32 v68, vcc, v56, v0
	v_addc_co_u32_e32 v69, vcc, 0, v57, vcc
	v_lshlrev_b64 v[68:69], 3, v[68:69]
	v_mov_b32_e32 v71, s73
	v_add_co_u32_e32 v70, vcc, s72, v68
	v_addc_co_u32_e32 v71, vcc, v71, v69, vcc
	global_store_dwordx2 v[70:71], v[52:53], off
	v_add_co_u32_e32 v70, vcc, v66, v65
	v_addc_co_u32_e32 v71, vcc, 0, v67, vcc
	v_add_co_u32_e32 v72, vcc, v63, v34
	v_addc_co_u32_e32 v73, vcc, v64, v35, vcc
	v_cndmask_b32_e64 v71, v73, v71, s[0:1]
	v_cndmask_b32_e64 v70, v72, v70, s[0:1]
	global_load_dwordx2 v[70:71], v[70:71], off offset:1536
	v_mov_b32_e32 v72, s13
	v_add_co_u32_e32 v68, vcc, s12, v68
	v_addc_co_u32_e32 v69, vcc, v72, v69, vcc
	s_waitcnt vmcnt(0)
	global_store_dwordx2 v[68:69], v[70:71], off
	s_or_b64 exec, exec, s[36:37]
	s_and_saveexec_b64 s[36:37], s[16:17]
	s_cbranch_execnz .LBB103_125
	s_branch .LBB103_126
.LBB103_141:                            ;   in Loop: Header=BB103_21 Depth=1
	v_add_co_u32_e32 v67, vcc, v57, v65
	v_addc_co_u32_e32 v69, vcc, 0, v66, vcc
	v_add_co_u32_e32 v70, vcc, v63, v24
	v_addc_co_u32_e32 v71, vcc, v64, v25, vcc
	;; [unrolled: 2-line block ×3, first 2 shown]
	v_cndmask_b32_e64 v71, v71, v69, s[0:1]
	v_cndmask_b32_e64 v70, v70, v67, s[0:1]
	global_load_dwordx2 v[70:71], v[70:71], off
	v_add_co_u32_e32 v72, vcc, v56, v0
	v_addc_co_u32_e32 v73, vcc, 0, v68, vcc
	v_lshlrev_b64 v[72:73], 3, v[72:73]
	v_mov_b32_e32 v67, s5
	v_add_co_u32_e32 v74, vcc, s4, v72
	v_addc_co_u32_e32 v75, vcc, v67, v73, vcc
	global_store_dwordx2 v[74:75], v[38:39], off
	v_mov_b32_e32 v39, s49
	v_add_co_u32_e32 v38, vcc, s48, v72
	v_addc_co_u32_e32 v39, vcc, v39, v73, vcc
	s_waitcnt vmcnt(1)
	global_store_dwordx2 v[38:39], v[70:71], off
	s_or_b64 exec, exec, s[34:35]
	s_and_saveexec_b64 s[34:35], s[20:21]
	s_cbranch_execz .LBB103_128
.LBB103_142:                            ;   in Loop: Header=BB103_21 Depth=1
	v_add_co_u32_e32 v38, vcc, v57, v65
	v_addc_co_u32_e32 v39, vcc, 0, v66, vcc
	v_add_co_u32_e32 v38, vcc, s6, v38
	v_addc_co_u32_e32 v39, vcc, 0, v39, vcc
	;; [unrolled: 2-line block ×4, first 2 shown]
	v_cndmask_b32_e64 v39, v51, v39, s[0:1]
	v_cndmask_b32_e64 v38, v50, v38, s[0:1]
	global_load_dwordx2 v[38:39], v[38:39], off
	v_add_co_u32_e32 v50, vcc, v56, v0
	v_addc_co_u32_e32 v51, vcc, 0, v68, vcc
	v_lshlrev_b64 v[50:51], 3, v[50:51]
	v_mov_b32_e32 v67, s55
	v_add_co_u32_e32 v70, vcc, s54, v50
	v_addc_co_u32_e32 v71, vcc, v67, v51, vcc
	global_store_dwordx2 v[70:71], v[40:41], off
	v_mov_b32_e32 v41, s57
	v_add_co_u32_e32 v40, vcc, s56, v50
	v_addc_co_u32_e32 v41, vcc, v41, v51, vcc
	s_waitcnt vmcnt(1)
	global_store_dwordx2 v[40:41], v[38:39], off
	s_or_b64 exec, exec, s[34:35]
	s_and_saveexec_b64 s[34:35], s[22:23]
	s_cbranch_execz .LBB103_129
.LBB103_143:                            ;   in Loop: Header=BB103_21 Depth=1
	v_add_co_u32_e32 v38, vcc, v57, v65
	v_addc_co_u32_e32 v39, vcc, 0, v66, vcc
	v_add_co_u32_e32 v38, vcc, s7, v38
	v_addc_co_u32_e32 v39, vcc, 0, v39, vcc
	;; [unrolled: 2-line block ×4, first 2 shown]
	v_cndmask_b32_e64 v39, v41, v39, s[0:1]
	v_cndmask_b32_e64 v38, v40, v38, s[0:1]
	global_load_dwordx2 v[38:39], v[38:39], off
	v_add_co_u32_e32 v40, vcc, v56, v0
	v_addc_co_u32_e32 v41, vcc, 0, v68, vcc
	v_lshlrev_b64 v[40:41], 3, v[40:41]
	v_mov_b32_e32 v51, s59
	v_add_co_u32_e32 v50, vcc, s58, v40
	v_addc_co_u32_e32 v51, vcc, v51, v41, vcc
	global_store_dwordx2 v[50:51], v[42:43], off
	v_mov_b32_e32 v42, s11
	v_add_co_u32_e32 v40, vcc, s10, v40
	v_addc_co_u32_e32 v41, vcc, v42, v41, vcc
	s_waitcnt vmcnt(1)
	global_store_dwordx2 v[40:41], v[38:39], off
	s_or_b64 exec, exec, s[34:35]
	s_and_saveexec_b64 s[34:35], s[24:25]
	s_cbranch_execz .LBB103_130
.LBB103_144:                            ;   in Loop: Header=BB103_21 Depth=1
	v_add_co_u32_e32 v38, vcc, v57, v65
	v_addc_co_u32_e32 v39, vcc, 0, v66, vcc
	v_add_co_u32_e32 v38, vcc, s78, v38
	v_addc_co_u32_e32 v39, vcc, 0, v39, vcc
	;; [unrolled: 2-line block ×4, first 2 shown]
	v_cndmask_b32_e64 v39, v41, v39, s[0:1]
	v_cndmask_b32_e64 v38, v40, v38, s[0:1]
	global_load_dwordx2 v[38:39], v[38:39], off
	v_add_co_u32_e32 v40, vcc, v56, v0
	v_addc_co_u32_e32 v41, vcc, 0, v68, vcc
	v_lshlrev_b64 v[40:41], 3, v[40:41]
	v_mov_b32_e32 v43, s61
	v_add_co_u32_e32 v42, vcc, s60, v40
	v_addc_co_u32_e32 v43, vcc, v43, v41, vcc
	global_store_dwordx2 v[42:43], v[44:45], off
	v_mov_b32_e32 v42, s63
	v_add_co_u32_e32 v40, vcc, s62, v40
	v_addc_co_u32_e32 v41, vcc, v42, v41, vcc
	s_waitcnt vmcnt(1)
	global_store_dwordx2 v[40:41], v[38:39], off
	s_or_b64 exec, exec, s[34:35]
	s_and_saveexec_b64 s[34:35], s[26:27]
	s_cbranch_execz .LBB103_131
.LBB103_145:                            ;   in Loop: Header=BB103_21 Depth=1
	v_add_co_u32_e32 v38, vcc, v57, v65
	v_addc_co_u32_e32 v39, vcc, 0, v66, vcc
	v_add_co_u32_e32 v38, vcc, s79, v38
	v_addc_co_u32_e32 v39, vcc, 0, v39, vcc
	;; [unrolled: 2-line block ×4, first 2 shown]
	v_cndmask_b32_e64 v39, v41, v39, s[0:1]
	v_cndmask_b32_e64 v38, v40, v38, s[0:1]
	global_load_dwordx2 v[38:39], v[38:39], off
	v_add_co_u32_e32 v40, vcc, v56, v0
	v_addc_co_u32_e32 v41, vcc, 0, v68, vcc
	v_lshlrev_b64 v[40:41], 3, v[40:41]
	v_mov_b32_e32 v43, s65
	v_add_co_u32_e32 v42, vcc, s64, v40
	v_addc_co_u32_e32 v43, vcc, v43, v41, vcc
	global_store_dwordx2 v[42:43], v[46:47], off
	v_mov_b32_e32 v42, s67
	v_add_co_u32_e32 v40, vcc, s66, v40
	v_addc_co_u32_e32 v41, vcc, v42, v41, vcc
	s_waitcnt vmcnt(1)
	global_store_dwordx2 v[40:41], v[38:39], off
	s_or_b64 exec, exec, s[34:35]
	s_and_saveexec_b64 s[34:35], s[28:29]
	s_cbranch_execz .LBB103_132
.LBB103_146:                            ;   in Loop: Header=BB103_21 Depth=1
	v_add_co_u32_e32 v38, vcc, v57, v65
	v_addc_co_u32_e32 v39, vcc, 0, v66, vcc
	v_add_co_u32_e32 v38, vcc, s2, v38
	v_addc_co_u32_e32 v39, vcc, 0, v39, vcc
	;; [unrolled: 2-line block ×4, first 2 shown]
	v_cndmask_b32_e64 v39, v41, v39, s[0:1]
	v_cndmask_b32_e64 v38, v40, v38, s[0:1]
	global_load_dwordx2 v[38:39], v[38:39], off
	v_add_co_u32_e32 v40, vcc, v56, v0
	v_addc_co_u32_e32 v41, vcc, 0, v68, vcc
	v_lshlrev_b64 v[40:41], 3, v[40:41]
	v_mov_b32_e32 v43, s69
	v_add_co_u32_e32 v42, vcc, s68, v40
	v_addc_co_u32_e32 v43, vcc, v43, v41, vcc
	global_store_dwordx2 v[42:43], v[48:49], off
	v_mov_b32_e32 v42, s71
	v_add_co_u32_e32 v40, vcc, s70, v40
	v_addc_co_u32_e32 v41, vcc, v42, v41, vcc
	s_waitcnt vmcnt(1)
	global_store_dwordx2 v[40:41], v[38:39], off
	s_or_b64 exec, exec, s[34:35]
	s_and_saveexec_b64 s[34:35], s[30:31]
	s_cbranch_execz .LBB103_133
.LBB103_147:                            ;   in Loop: Header=BB103_21 Depth=1
	v_add_co_u32_e32 v38, vcc, v57, v65
	v_addc_co_u32_e32 v39, vcc, 0, v66, vcc
	v_add_co_u32_e32 v38, vcc, s3, v38
	v_addc_co_u32_e32 v39, vcc, 0, v39, vcc
	;; [unrolled: 2-line block ×4, first 2 shown]
	v_cndmask_b32_e64 v39, v41, v39, s[0:1]
	v_cndmask_b32_e64 v38, v40, v38, s[0:1]
	global_load_dwordx2 v[38:39], v[38:39], off
	v_add_co_u32_e32 v40, vcc, v56, v0
	v_addc_co_u32_e32 v41, vcc, 0, v68, vcc
	v_lshlrev_b64 v[40:41], 3, v[40:41]
	v_mov_b32_e32 v43, s73
	v_add_co_u32_e32 v42, vcc, s72, v40
	v_addc_co_u32_e32 v43, vcc, v43, v41, vcc
	global_store_dwordx2 v[42:43], v[52:53], off
	v_mov_b32_e32 v42, s13
	v_add_co_u32_e32 v40, vcc, s12, v40
	v_addc_co_u32_e32 v41, vcc, v42, v41, vcc
	s_waitcnt vmcnt(1)
	global_store_dwordx2 v[40:41], v[38:39], off
	s_or_b64 exec, exec, s[34:35]
	s_and_saveexec_b64 s[34:35], s[18:19]
	s_cbranch_execz .LBB103_20
.LBB103_148:                            ;   in Loop: Header=BB103_21 Depth=1
	v_add_co_u32_e32 v38, vcc, v56, v0
	v_addc_co_u32_e32 v39, vcc, 0, v68, vcc
	v_lshlrev_b64 v[38:39], 3, v[38:39]
	v_mov_b32_e32 v41, s75
	v_add_co_u32_e32 v40, vcc, s74, v38
	v_addc_co_u32_e32 v41, vcc, v41, v39, vcc
	global_store_dwordx2 v[40:41], v[54:55], off
	v_add_co_u32_e32 v40, vcc, v57, v65
	v_addc_co_u32_e32 v41, vcc, 0, v66, vcc
	v_add_co_u32_e32 v42, vcc, v63, v36
	v_addc_co_u32_e32 v43, vcc, v64, v37, vcc
	v_cndmask_b32_e64 v41, v43, v41, s[0:1]
	v_cndmask_b32_e64 v40, v42, v40, s[0:1]
	global_load_dwordx2 v[40:41], v[40:41], off offset:1792
	v_mov_b32_e32 v42, s77
	v_add_co_u32_e32 v38, vcc, s76, v38
	v_addc_co_u32_e32 v39, vcc, v42, v39, vcc
	s_waitcnt vmcnt(0)
	global_store_dwordx2 v[38:39], v[40:41], off
	s_branch .LBB103_20
.LBB103_149:
	s_endpgm
	.section	.rodata,"a",@progbits
	.p2align	6, 0x0
	.amdhsa_kernel _ZN9rocsparseL35bsr2csr_block_per_row_33_256_kernelILj1024ELj256ELj32ElllEEv20rocsparse_direction_T4_S2_21rocsparse_index_base_PKT2_PKT3_PKS2_S2_S3_PS4_PS7_PS2_
		.amdhsa_group_segment_fixed_size 0
		.amdhsa_private_segment_fixed_size 0
		.amdhsa_kernarg_size 96
		.amdhsa_user_sgpr_count 6
		.amdhsa_user_sgpr_private_segment_buffer 1
		.amdhsa_user_sgpr_dispatch_ptr 0
		.amdhsa_user_sgpr_queue_ptr 0
		.amdhsa_user_sgpr_kernarg_segment_ptr 1
		.amdhsa_user_sgpr_dispatch_id 0
		.amdhsa_user_sgpr_flat_scratch_init 0
		.amdhsa_user_sgpr_kernarg_preload_length 0
		.amdhsa_user_sgpr_kernarg_preload_offset 0
		.amdhsa_user_sgpr_private_segment_size 0
		.amdhsa_uses_dynamic_stack 0
		.amdhsa_system_sgpr_private_segment_wavefront_offset 0
		.amdhsa_system_sgpr_workgroup_id_x 1
		.amdhsa_system_sgpr_workgroup_id_y 0
		.amdhsa_system_sgpr_workgroup_id_z 0
		.amdhsa_system_sgpr_workgroup_info 0
		.amdhsa_system_vgpr_workitem_id 0
		.amdhsa_next_free_vgpr 78
		.amdhsa_next_free_sgpr 96
		.amdhsa_accum_offset 80
		.amdhsa_reserve_vcc 1
		.amdhsa_reserve_flat_scratch 0
		.amdhsa_float_round_mode_32 0
		.amdhsa_float_round_mode_16_64 0
		.amdhsa_float_denorm_mode_32 3
		.amdhsa_float_denorm_mode_16_64 3
		.amdhsa_dx10_clamp 1
		.amdhsa_ieee_mode 1
		.amdhsa_fp16_overflow 0
		.amdhsa_tg_split 0
		.amdhsa_exception_fp_ieee_invalid_op 0
		.amdhsa_exception_fp_denorm_src 0
		.amdhsa_exception_fp_ieee_div_zero 0
		.amdhsa_exception_fp_ieee_overflow 0
		.amdhsa_exception_fp_ieee_underflow 0
		.amdhsa_exception_fp_ieee_inexact 0
		.amdhsa_exception_int_div_zero 0
	.end_amdhsa_kernel
	.section	.text._ZN9rocsparseL35bsr2csr_block_per_row_33_256_kernelILj1024ELj256ELj32ElllEEv20rocsparse_direction_T4_S2_21rocsparse_index_base_PKT2_PKT3_PKS2_S2_S3_PS4_PS7_PS2_,"axG",@progbits,_ZN9rocsparseL35bsr2csr_block_per_row_33_256_kernelILj1024ELj256ELj32ElllEEv20rocsparse_direction_T4_S2_21rocsparse_index_base_PKT2_PKT3_PKS2_S2_S3_PS4_PS7_PS2_,comdat
.Lfunc_end103:
	.size	_ZN9rocsparseL35bsr2csr_block_per_row_33_256_kernelILj1024ELj256ELj32ElllEEv20rocsparse_direction_T4_S2_21rocsparse_index_base_PKT2_PKT3_PKS2_S2_S3_PS4_PS7_PS2_, .Lfunc_end103-_ZN9rocsparseL35bsr2csr_block_per_row_33_256_kernelILj1024ELj256ELj32ElllEEv20rocsparse_direction_T4_S2_21rocsparse_index_base_PKT2_PKT3_PKS2_S2_S3_PS4_PS7_PS2_
                                        ; -- End function
	.section	.AMDGPU.csdata,"",@progbits
; Kernel info:
; codeLenInByte = 12692
; NumSgprs: 100
; NumVgprs: 78
; NumAgprs: 0
; TotalNumVgprs: 78
; ScratchSize: 0
; MemoryBound: 0
; FloatMode: 240
; IeeeMode: 1
; LDSByteSize: 0 bytes/workgroup (compile time only)
; SGPRBlocks: 12
; VGPRBlocks: 9
; NumSGPRsForWavesPerEU: 100
; NumVGPRsForWavesPerEU: 78
; AccumOffset: 80
; Occupancy: 6
; WaveLimiterHint : 1
; COMPUTE_PGM_RSRC2:SCRATCH_EN: 0
; COMPUTE_PGM_RSRC2:USER_SGPR: 6
; COMPUTE_PGM_RSRC2:TRAP_HANDLER: 0
; COMPUTE_PGM_RSRC2:TGID_X_EN: 1
; COMPUTE_PGM_RSRC2:TGID_Y_EN: 0
; COMPUTE_PGM_RSRC2:TGID_Z_EN: 0
; COMPUTE_PGM_RSRC2:TIDIG_COMP_CNT: 0
; COMPUTE_PGM_RSRC3_GFX90A:ACCUM_OFFSET: 19
; COMPUTE_PGM_RSRC3_GFX90A:TG_SPLIT: 0
	.section	.text._ZN9rocsparseL35bsr2csr_block_dim_equals_one_kernelILj1024EfiiEEvT2_S1_21rocsparse_index_base_PKT0_PKT1_PKS1_S2_PS3_PS6_PS1_,"axG",@progbits,_ZN9rocsparseL35bsr2csr_block_dim_equals_one_kernelILj1024EfiiEEvT2_S1_21rocsparse_index_base_PKT0_PKT1_PKS1_S2_PS3_PS6_PS1_,comdat
	.globl	_ZN9rocsparseL35bsr2csr_block_dim_equals_one_kernelILj1024EfiiEEvT2_S1_21rocsparse_index_base_PKT0_PKT1_PKS1_S2_PS3_PS6_PS1_ ; -- Begin function _ZN9rocsparseL35bsr2csr_block_dim_equals_one_kernelILj1024EfiiEEvT2_S1_21rocsparse_index_base_PKT0_PKT1_PKS1_S2_PS3_PS6_PS1_
	.p2align	8
	.type	_ZN9rocsparseL35bsr2csr_block_dim_equals_one_kernelILj1024EfiiEEvT2_S1_21rocsparse_index_base_PKT0_PKT1_PKS1_S2_PS3_PS6_PS1_,@function
_ZN9rocsparseL35bsr2csr_block_dim_equals_one_kernelILj1024EfiiEEvT2_S1_21rocsparse_index_base_PKT0_PKT1_PKS1_S2_PS3_PS6_PS1_: ; @_ZN9rocsparseL35bsr2csr_block_dim_equals_one_kernelILj1024EfiiEEvT2_S1_21rocsparse_index_base_PKT0_PKT1_PKS1_S2_PS3_PS6_PS1_
; %bb.0:
	v_lshl_or_b32 v0, s6, 10, v0
	s_load_dword s14, s[4:5], 0x0
	s_load_dword s20, s[4:5], 0x8
	s_load_dwordx4 s[0:3], s[4:5], 0x10
	s_load_dwordx2 s[8:9], s[4:5], 0x20
	s_load_dword s21, s[4:5], 0x28
	s_load_dwordx2 s[10:11], s[4:5], 0x40
	s_load_dwordx2 s[12:13], s[4:5], 0x30
	s_waitcnt lgkmcnt(0)
	v_cmp_gt_i32_e32 vcc, s14, v0
	s_and_saveexec_b64 s[6:7], vcc
	s_cbranch_execz .LBB104_6
; %bb.1:
	s_load_dwordx2 s[16:17], s[4:5], 0x38
	v_cmp_ne_u32_e32 vcc, 0, v0
                                        ; implicit-def: $sgpr15
	s_and_saveexec_b64 s[18:19], vcc
	s_xor_b64 s[18:19], exec, s[18:19]
; %bb.2:
	s_sub_i32 s15, s21, s20
; %bb.3:
	s_or_saveexec_b64 s[18:19], s[18:19]
	v_mov_b32_e32 v2, s15
	s_xor_b64 exec, exec, s[18:19]
	s_cbranch_execz .LBB104_5
; %bb.4:
	s_load_dword s15, s[2:3], 0x0
	s_sub_i32 s22, s21, s20
	v_mov_b32_e32 v1, 0
	s_waitcnt lgkmcnt(0)
	s_add_i32 s15, s22, s15
	v_mov_b32_e32 v2, s15
	global_store_dword v1, v2, s[16:17]
	v_mov_b32_e32 v2, s22
.LBB104_5:
	s_or_b64 exec, exec, s[18:19]
	v_ashrrev_i32_e32 v1, 31, v0
	v_lshlrev_b64 v[4:5], 2, v[0:1]
	v_mov_b32_e32 v1, s3
	v_add_co_u32_e32 v6, vcc, s2, v4
	v_addc_co_u32_e32 v7, vcc, v1, v5, vcc
	global_load_dword v1, v[6:7], off offset:4
	s_waitcnt lgkmcnt(0)
	v_mov_b32_e32 v3, s17
	s_waitcnt vmcnt(0)
	v_add_u32_e32 v1, v2, v1
	v_add_co_u32_e32 v2, vcc, s16, v4
	v_addc_co_u32_e32 v3, vcc, v3, v5, vcc
	global_store_dword v[2:3], v1, off offset:4
.LBB104_6:
	s_or_b64 exec, exec, s[6:7]
	s_ashr_i32 s15, s14, 31
	s_lshl_b64 s[6:7], s[14:15], 2
	s_add_u32 s6, s2, s6
	s_addc_u32 s7, s3, s7
	s_load_dword s14, s[6:7], 0x0
	s_load_dword s15, s[2:3], 0x0
	s_waitcnt lgkmcnt(0)
	s_sub_i32 s6, s14, s15
	v_cmp_gt_i32_e32 vcc, s6, v0
	s_and_saveexec_b64 s[2:3], vcc
	s_cbranch_execz .LBB104_9
; %bb.7:
	s_load_dword s5, s[4:5], 0x48
	s_sub_i32 s4, s21, s20
	s_mov_b64 s[2:3], 0
	v_mov_b32_e32 v2, s9
	v_mov_b32_e32 v3, s11
	s_waitcnt lgkmcnt(0)
	s_lshl_b32 s5, s5, 10
	v_mov_b32_e32 v4, s1
	v_mov_b32_e32 v5, s13
.LBB104_8:                              ; =>This Inner Loop Header: Depth=1
	v_ashrrev_i32_e32 v1, 31, v0
	v_lshlrev_b64 v[6:7], 2, v[0:1]
	v_add_co_u32_e32 v8, vcc, s8, v6
	v_addc_co_u32_e32 v9, vcc, v2, v7, vcc
	global_load_dword v1, v[8:9], off
	v_add_co_u32_e32 v8, vcc, s0, v6
	v_addc_co_u32_e32 v9, vcc, v4, v7, vcc
	global_load_dword v10, v[8:9], off
	v_add_co_u32_e32 v8, vcc, s10, v6
	v_addc_co_u32_e32 v9, vcc, v3, v7, vcc
	v_add_co_u32_e32 v6, vcc, s12, v6
	v_add_u32_e32 v0, s5, v0
	v_addc_co_u32_e32 v7, vcc, v5, v7, vcc
	v_cmp_le_i32_e32 vcc, s6, v0
	s_or_b64 s[2:3], vcc, s[2:3]
	s_waitcnt vmcnt(1)
	v_add_u32_e32 v1, s4, v1
	global_store_dword v[8:9], v1, off
	s_waitcnt vmcnt(1)
	global_store_dword v[6:7], v10, off
	s_andn2_b64 exec, exec, s[2:3]
	s_cbranch_execnz .LBB104_8
.LBB104_9:
	s_endpgm
	.section	.rodata,"a",@progbits
	.p2align	6, 0x0
	.amdhsa_kernel _ZN9rocsparseL35bsr2csr_block_dim_equals_one_kernelILj1024EfiiEEvT2_S1_21rocsparse_index_base_PKT0_PKT1_PKS1_S2_PS3_PS6_PS1_
		.amdhsa_group_segment_fixed_size 0
		.amdhsa_private_segment_fixed_size 0
		.amdhsa_kernarg_size 328
		.amdhsa_user_sgpr_count 6
		.amdhsa_user_sgpr_private_segment_buffer 1
		.amdhsa_user_sgpr_dispatch_ptr 0
		.amdhsa_user_sgpr_queue_ptr 0
		.amdhsa_user_sgpr_kernarg_segment_ptr 1
		.amdhsa_user_sgpr_dispatch_id 0
		.amdhsa_user_sgpr_flat_scratch_init 0
		.amdhsa_user_sgpr_kernarg_preload_length 0
		.amdhsa_user_sgpr_kernarg_preload_offset 0
		.amdhsa_user_sgpr_private_segment_size 0
		.amdhsa_uses_dynamic_stack 0
		.amdhsa_system_sgpr_private_segment_wavefront_offset 0
		.amdhsa_system_sgpr_workgroup_id_x 1
		.amdhsa_system_sgpr_workgroup_id_y 0
		.amdhsa_system_sgpr_workgroup_id_z 0
		.amdhsa_system_sgpr_workgroup_info 0
		.amdhsa_system_vgpr_workitem_id 0
		.amdhsa_next_free_vgpr 11
		.amdhsa_next_free_sgpr 23
		.amdhsa_accum_offset 12
		.amdhsa_reserve_vcc 1
		.amdhsa_reserve_flat_scratch 0
		.amdhsa_float_round_mode_32 0
		.amdhsa_float_round_mode_16_64 0
		.amdhsa_float_denorm_mode_32 3
		.amdhsa_float_denorm_mode_16_64 3
		.amdhsa_dx10_clamp 1
		.amdhsa_ieee_mode 1
		.amdhsa_fp16_overflow 0
		.amdhsa_tg_split 0
		.amdhsa_exception_fp_ieee_invalid_op 0
		.amdhsa_exception_fp_denorm_src 0
		.amdhsa_exception_fp_ieee_div_zero 0
		.amdhsa_exception_fp_ieee_overflow 0
		.amdhsa_exception_fp_ieee_underflow 0
		.amdhsa_exception_fp_ieee_inexact 0
		.amdhsa_exception_int_div_zero 0
	.end_amdhsa_kernel
	.section	.text._ZN9rocsparseL35bsr2csr_block_dim_equals_one_kernelILj1024EfiiEEvT2_S1_21rocsparse_index_base_PKT0_PKT1_PKS1_S2_PS3_PS6_PS1_,"axG",@progbits,_ZN9rocsparseL35bsr2csr_block_dim_equals_one_kernelILj1024EfiiEEvT2_S1_21rocsparse_index_base_PKT0_PKT1_PKS1_S2_PS3_PS6_PS1_,comdat
.Lfunc_end104:
	.size	_ZN9rocsparseL35bsr2csr_block_dim_equals_one_kernelILj1024EfiiEEvT2_S1_21rocsparse_index_base_PKT0_PKT1_PKS1_S2_PS3_PS6_PS1_, .Lfunc_end104-_ZN9rocsparseL35bsr2csr_block_dim_equals_one_kernelILj1024EfiiEEvT2_S1_21rocsparse_index_base_PKT0_PKT1_PKS1_S2_PS3_PS6_PS1_
                                        ; -- End function
	.section	.AMDGPU.csdata,"",@progbits
; Kernel info:
; codeLenInByte = 436
; NumSgprs: 27
; NumVgprs: 11
; NumAgprs: 0
; TotalNumVgprs: 11
; ScratchSize: 0
; MemoryBound: 0
; FloatMode: 240
; IeeeMode: 1
; LDSByteSize: 0 bytes/workgroup (compile time only)
; SGPRBlocks: 3
; VGPRBlocks: 1
; NumSGPRsForWavesPerEU: 27
; NumVGPRsForWavesPerEU: 11
; AccumOffset: 12
; Occupancy: 8
; WaveLimiterHint : 0
; COMPUTE_PGM_RSRC2:SCRATCH_EN: 0
; COMPUTE_PGM_RSRC2:USER_SGPR: 6
; COMPUTE_PGM_RSRC2:TRAP_HANDLER: 0
; COMPUTE_PGM_RSRC2:TGID_X_EN: 1
; COMPUTE_PGM_RSRC2:TGID_Y_EN: 0
; COMPUTE_PGM_RSRC2:TGID_Z_EN: 0
; COMPUTE_PGM_RSRC2:TIDIG_COMP_CNT: 0
; COMPUTE_PGM_RSRC3_GFX90A:ACCUM_OFFSET: 2
; COMPUTE_PGM_RSRC3_GFX90A:TG_SPLIT: 0
	.section	.text._ZN9rocsparseL32bsr2csr_block_per_row_2_7_kernelILj256ELj2EfiiEEv20rocsparse_direction_T3_S2_21rocsparse_index_base_PKT1_PKT2_PKS2_S2_S3_PS4_PS7_PS2_,"axG",@progbits,_ZN9rocsparseL32bsr2csr_block_per_row_2_7_kernelILj256ELj2EfiiEEv20rocsparse_direction_T3_S2_21rocsparse_index_base_PKT1_PKT2_PKS2_S2_S3_PS4_PS7_PS2_,comdat
	.globl	_ZN9rocsparseL32bsr2csr_block_per_row_2_7_kernelILj256ELj2EfiiEEv20rocsparse_direction_T3_S2_21rocsparse_index_base_PKT1_PKT2_PKS2_S2_S3_PS4_PS7_PS2_ ; -- Begin function _ZN9rocsparseL32bsr2csr_block_per_row_2_7_kernelILj256ELj2EfiiEEv20rocsparse_direction_T3_S2_21rocsparse_index_base_PKT1_PKT2_PKS2_S2_S3_PS4_PS7_PS2_
	.p2align	8
	.type	_ZN9rocsparseL32bsr2csr_block_per_row_2_7_kernelILj256ELj2EfiiEEv20rocsparse_direction_T3_S2_21rocsparse_index_base_PKT1_PKT2_PKS2_S2_S3_PS4_PS7_PS2_,@function
_ZN9rocsparseL32bsr2csr_block_per_row_2_7_kernelILj256ELj2EfiiEEv20rocsparse_direction_T3_S2_21rocsparse_index_base_PKT1_PKT2_PKS2_S2_S3_PS4_PS7_PS2_: ; @_ZN9rocsparseL32bsr2csr_block_per_row_2_7_kernelILj256ELj2EfiiEEv20rocsparse_direction_T3_S2_21rocsparse_index_base_PKT1_PKT2_PKS2_S2_S3_PS4_PS7_PS2_
; %bb.0:
	s_load_dwordx2 s[2:3], s[4:5], 0x18
	s_load_dword s26, s[4:5], 0x2c
	s_load_dwordx2 s[0:1], s[4:5], 0x38
	s_ashr_i32 s7, s6, 31
	s_lshl_b64 s[8:9], s[6:7], 2
	s_waitcnt lgkmcnt(0)
	s_add_u32 s2, s2, s8
	s_addc_u32 s3, s3, s9
	s_load_dwordx2 s[20:21], s[2:3], 0x0
	v_or_b32_e32 v1, s6, v0
	v_cmp_eq_u32_e32 vcc, 0, v1
	s_and_saveexec_b64 s[2:3], vcc
	s_cbranch_execz .LBB105_2
; %bb.1:
	v_mov_b32_e32 v1, 0
	v_mov_b32_e32 v2, s26
	global_store_dword v1, v2, s[0:1]
.LBB105_2:
	s_or_b64 exec, exec, s[2:3]
	s_load_dword s27, s[4:5], 0xc
	v_and_b32_e32 v4, 1, v0
	v_lshl_or_b32 v2, s6, 1, v4
	v_add_u32_e32 v2, 1, v2
	v_mov_b32_e32 v3, 0
	s_waitcnt lgkmcnt(0)
	s_sub_i32 s28, s20, s27
	s_sub_i32 s21, s21, s27
	;; [unrolled: 1-line block ×3, first 2 shown]
	s_lshl_b32 s2, s2, 1
	v_mul_lo_u32 v9, s2, v4
	v_lshlrev_b64 v[2:3], 2, v[2:3]
	s_add_i32 s2, s2, s26
	v_lshl_add_u32 v6, s28, 2, v9
	v_mov_b32_e32 v7, s1
	v_add_co_u32_e32 v2, vcc, s0, v2
	v_lshrrev_b32_e32 v1, 1, v0
	v_add_u32_e32 v5, s2, v6
	v_addc_co_u32_e32 v3, vcc, v7, v3, vcc
	global_store_dword v[2:3], v5, off
	v_add_u32_e32 v2, s28, v1
	v_cmp_gt_i32_e32 vcc, s21, v2
	s_and_saveexec_b64 s[0:1], vcc
	s_cbranch_execz .LBB105_12
; %bb.3:
	s_load_dwordx2 s[12:13], s[4:5], 0x20
	s_load_dwordx2 s[14:15], s[4:5], 0x30
	s_load_dword s0, s[4:5], 0x0
	s_load_dwordx2 s[16:17], s[4:5], 0x10
	s_load_dwordx2 s[18:19], s[4:5], 0x40
	v_add_u32_e32 v3, s20, v1
	v_subrev_u32_e32 v3, s27, v3
	s_waitcnt lgkmcnt(0)
	s_cmp_eq_u32 s0, 0
	s_cselect_b64 vcc, -1, 0
	v_add_u32_e32 v3, 0x80, v3
	s_not_b32 s0, s20
	v_max_i32_e32 v3, s21, v3
	s_add_i32 s0, s0, s27
	v_add_u32_e32 v3, s0, v3
	v_sub_u32_e32 v1, v3, v1
	s_movk_i32 s0, 0x2a80
	v_cmp_gt_u32_e64 s[22:23], s0, v1
	s_movk_i32 s0, 0x2a7f
	v_lshlrev_b32_e32 v8, 1, v4
	v_cmp_lt_u32_e64 s[0:1], s0, v1
	s_and_saveexec_b64 s[24:25], s[0:1]
	s_cbranch_execz .LBB105_9
; %bb.4:
	s_lshl_b32 s0, s20, 2
	v_and_b32_e32 v0, 0xfe, v0
	v_add3_u32 v0, v9, s0, v0
	s_lshl_b32 s2, s27, 2
	v_lshrrev_b32_e32 v10, 7, v1
	v_subrev_u32_e32 v12, s2, v0
	v_or_b32_e32 v0, 1, v0
	v_lshlrev_b32_e32 v3, 8, v10
	v_subrev_u32_e32 v0, s2, v0
	v_add_u32_e32 v5, v12, v3
	v_add_u32_e32 v3, v0, v3
	v_ashrrev_i32_e32 v13, 31, v12
	v_cmp_ge_i32_e64 s[0:1], v5, v12
	v_cmp_ge_i32_e64 s[4:5], v3, v0
	v_lshlrev_b64 v[12:13], 2, v[12:13]
	s_and_b64 s[30:31], s[4:5], s[0:1]
	v_mov_b32_e32 v0, s19
	v_add_co_u32_e64 v14, s[0:1], s18, v12
	v_mov_b32_e32 v11, 0
	v_addc_co_u32_e64 v15, s[0:1], v0, v13, s[0:1]
	v_lshlrev_b64 v[16:17], 10, v[10:11]
	v_add_co_u32_e64 v18, s[0:1], v14, v16
	v_addc_co_u32_e64 v19, s[0:1], v15, v17, s[0:1]
	v_cmp_ge_u64_e64 s[0:1], v[18:19], v[14:15]
	v_add_co_u32_e64 v14, s[4:5], 4, v14
	v_addc_co_u32_e64 v15, s[4:5], 0, v15, s[4:5]
	v_add_co_u32_e64 v18, s[4:5], 4, v18
	v_mov_b32_e32 v0, s15
	v_add_co_u32_e64 v12, s[6:7], s14, v12
	v_addc_co_u32_e64 v19, s[4:5], 0, v19, s[4:5]
	v_addc_co_u32_e64 v13, s[6:7], v0, v13, s[6:7]
	v_cmp_ge_u64_e64 s[4:5], v[18:19], v[14:15]
	v_add_co_u32_e64 v14, s[6:7], v12, v16
	v_addc_co_u32_e64 v15, s[6:7], v13, v17, s[6:7]
	v_cmp_lt_i32_e64 s[2:3], -1, v1
	v_cmp_ge_u64_e64 s[6:7], v[14:15], v[12:13]
	v_add_co_u32_e64 v12, s[8:9], 4, v12
	v_addc_co_u32_e64 v13, s[8:9], 0, v13, s[8:9]
	s_and_b64 s[2:3], s[30:31], s[2:3]
	v_add_co_u32_e64 v14, s[8:9], 4, v14
	s_and_b64 s[0:1], s[2:3], s[0:1]
	v_addc_co_u32_e64 v15, s[8:9], 0, v15, s[8:9]
	v_and_b32_e32 v0, 0xffffff80, v1
	s_and_b64 s[0:1], s[0:1], s[4:5]
	v_cmp_ge_u64_e64 s[8:9], v[14:15], v[12:13]
	v_add_u32_e32 v0, v2, v0
	s_and_b64 s[0:1], s[0:1], s[6:7]
	v_cmp_ge_i32_e64 s[10:11], v0, v2
	s_and_b64 s[0:1], s[0:1], s[8:9]
	s_and_b64 s[4:5], s[0:1], s[10:11]
	s_mov_b64 s[0:1], -1
	s_and_saveexec_b64 s[2:3], s[4:5]
	s_cbranch_execz .LBB105_8
; %bb.5:
	v_add_u32_e32 v0, 1, v10
	v_and_b32_e32 v14, 0x3fffffe, v0
	v_add_u32_e32 v3, 0x80, v2
	s_mov_b32 s6, s27
	s_mov_b32 s7, s28
	v_mov_b32_e32 v1, v6
	s_mov_b32 s8, s26
	v_mov_b32_e32 v5, v8
	v_mov_b32_e32 v7, v4
	s_mov_b64 s[4:5], 0
	v_mov_b32_e32 v15, s13
	v_mov_b32_e32 v16, s19
	;; [unrolled: 1-line block ×5, first 2 shown]
	v_pk_mov_b32 v[12:13], v[2:3], v[2:3] op_sel:[0,1]
.LBB105_6:                              ; =>This Inner Loop Header: Depth=1
	v_ashrrev_i32_e32 v23, 31, v12
	v_mov_b32_e32 v22, v12
	v_lshlrev_b64 v[22:23], 2, v[22:23]
	v_ashrrev_i32_e32 v21, 31, v13
	v_mov_b32_e32 v20, v13
	v_add_co_u32_e64 v22, s[0:1], s12, v22
	v_lshlrev_b32_e32 v10, 2, v12
	v_lshlrev_b64 v[20:21], 2, v[20:21]
	v_addc_co_u32_e64 v23, s[0:1], v15, v23, s[0:1]
	v_or_b32_e32 v26, v10, v8
	v_or_b32_e32 v29, v10, v4
	v_add_co_u32_e64 v20, s[0:1], s12, v20
	v_lshlrev_b32_e32 v3, 2, v13
	v_addc_co_u32_e64 v21, s[0:1], v15, v21, s[0:1]
	v_cndmask_b32_e32 v10, v29, v26, vcc
	v_or_b32_e32 v28, v3, v5
	v_or_b32_e32 v3, v3, v7
	global_load_dword v36, v[22:23], off
	global_load_dword v37, v[20:21], off
	v_lshlrev_b64 v[20:21], 2, v[10:11]
	v_mov_b32_e32 v25, v11
	v_cndmask_b32_e32 v24, v3, v28, vcc
	v_add_co_u32_e64 v20, s[0:1], s16, v20
	v_or_b32_e32 v30, 1, v26
	v_or_b32_e32 v26, 1, v28
	;; [unrolled: 1-line block ×3, first 2 shown]
	v_lshlrev_b64 v[22:23], 2, v[24:25]
	v_addc_co_u32_e64 v21, s[0:1], v17, v21, s[0:1]
	v_cndmask_b32_e32 v10, v28, v30, vcc
	v_add_co_u32_e64 v22, s[0:1], s16, v22
	v_or_b32_e32 v3, 2, v3
	v_addc_co_u32_e64 v23, s[0:1], v17, v23, s[0:1]
	v_lshlrev_b64 v[24:25], 2, v[10:11]
	v_mov_b32_e32 v27, v11
	v_cndmask_b32_e32 v26, v3, v26, vcc
	global_load_dword v3, v[20:21], off
	global_load_dword v10, v[22:23], off
	v_add_co_u32_e64 v20, s[0:1], s16, v24
	v_lshlrev_b64 v[26:27], 2, v[26:27]
	v_addc_co_u32_e64 v21, s[0:1], v17, v25, s[0:1]
	v_add_co_u32_e64 v22, s[0:1], s16, v26
	v_addc_co_u32_e64 v23, s[0:1], v17, v27, s[0:1]
	global_load_dword v38, v[20:21], off
	global_load_dword v39, v[22:23], off
	v_subrev_u32_e32 v20, s28, v12
	v_subrev_u32_e32 v21, s7, v13
	v_lshl_add_u32 v20, v20, 1, v6
	v_add_u32_e32 v19, -2, v19
	v_lshl_add_u32 v22, v21, 1, v1
	v_ashrrev_i32_e32 v21, 31, v20
	v_cmp_eq_u32_e64 s[0:1], 0, v19
	v_or_b32_e32 v24, 1, v20
	v_lshlrev_b64 v[20:21], 2, v[20:21]
	v_ashrrev_i32_e32 v23, 31, v22
	s_or_b64 s[4:5], s[0:1], s[4:5]
	v_add_co_u32_e64 v28, s[0:1], s18, v20
	v_or_b32_e32 v26, 1, v22
	v_lshlrev_b64 v[22:23], 2, v[22:23]
	v_addc_co_u32_e64 v29, s[0:1], v16, v21, s[0:1]
	v_add_co_u32_e64 v30, s[0:1], s18, v22
	v_addc_co_u32_e64 v31, s[0:1], v16, v23, s[0:1]
	v_add_co_u32_e64 v20, s[0:1], s14, v20
	v_addc_co_u32_e64 v21, s[0:1], v18, v21, s[0:1]
	v_ashrrev_i32_e32 v25, 31, v24
	v_add_co_u32_e64 v22, s[0:1], s14, v22
	v_addc_co_u32_e64 v23, s[0:1], v18, v23, s[0:1]
	v_lshlrev_b64 v[24:25], 2, v[24:25]
	v_ashrrev_i32_e32 v27, 31, v26
	v_add_co_u32_e64 v32, s[0:1], s18, v24
	v_lshlrev_b64 v[26:27], 2, v[26:27]
	v_addc_co_u32_e64 v33, s[0:1], v16, v25, s[0:1]
	v_add_co_u32_e64 v34, s[0:1], s18, v26
	v_addc_co_u32_e64 v35, s[0:1], v16, v27, s[0:1]
	v_add_co_u32_e64 v24, s[0:1], s14, v24
	v_addc_co_u32_e64 v25, s[0:1], v18, v25, s[0:1]
	v_add_u32_e32 v13, 0x100, v13
	v_add_u32_e32 v12, 0x100, v12
	s_waitcnt vmcnt(5)
	v_subrev_u32_e32 v36, s27, v36
	s_waitcnt vmcnt(4)
	v_subrev_u32_e32 v37, s6, v37
	v_lshl_add_u32 v36, v36, 1, s26
	v_add_co_u32_e64 v26, s[0:1], s14, v26
	v_lshl_add_u32 v37, v37, 1, s8
	global_store_dword v[28:29], v36, off
	global_store_dword v[30:31], v37, off
	s_waitcnt vmcnt(5)
	global_store_dword v[20:21], v3, off
	s_waitcnt vmcnt(5)
	global_store_dword v[22:23], v10, off
	v_add_u32_e32 v10, 1, v36
	v_addc_co_u32_e64 v27, s[0:1], v18, v27, s[0:1]
	v_add_u32_e32 v3, 1, v37
	global_store_dword v[32:33], v10, off
	global_store_dword v[34:35], v3, off
	s_waitcnt vmcnt(7)
	global_store_dword v[24:25], v38, off
	s_waitcnt vmcnt(7)
	global_store_dword v[26:27], v39, off
	s_andn2_b64 exec, exec, s[4:5]
	s_cbranch_execnz .LBB105_6
; %bb.7:
	s_or_b64 exec, exec, s[4:5]
	v_cmp_ne_u32_e64 s[0:1], v0, v14
	v_lshl_add_u32 v2, v14, 7, v2
	s_orn2_b64 s[0:1], s[0:1], exec
.LBB105_8:
	s_or_b64 exec, exec, s[2:3]
	s_andn2_b64 s[2:3], s[22:23], exec
	s_and_b64 s[0:1], s[0:1], exec
	s_or_b64 s[22:23], s[2:3], s[0:1]
.LBB105_9:
	s_or_b64 exec, exec, s[24:25]
	s_and_b64 exec, exec, s[22:23]
	s_cbranch_execz .LBB105_12
; %bb.10:
	v_add_u32_e32 v0, s20, v2
	v_lshl_add_u32 v0, v0, 1, v9
	s_lshl_b32 s0, s27, 1
	v_lshlrev_b32_e32 v1, 2, v2
	v_subrev_u32_e32 v0, s0, v0
	v_or_b32_e32 v6, v1, v8
	v_or_b32_e32 v7, v1, v4
	s_mov_b64 s[2:3], 0
	v_mov_b32_e32 v8, s13
	v_mov_b32_e32 v9, s19
	;; [unrolled: 1-line block ×5, first 2 shown]
.LBB105_11:                             ; =>This Inner Loop Header: Depth=1
	v_ashrrev_i32_e32 v3, 31, v2
	v_lshlrev_b64 v[12:13], 2, v[2:3]
	v_cndmask_b32_e32 v4, v7, v6, vcc
	v_add_co_u32_e64 v12, s[0:1], s12, v12
	v_add_u32_e32 v1, 1, v6
	v_add_u32_e32 v16, 2, v7
	v_lshlrev_b64 v[14:15], 2, v[4:5]
	v_addc_co_u32_e64 v13, s[0:1], v8, v13, s[0:1]
	v_cndmask_b32_e32 v4, v16, v1, vcc
	v_add_co_u32_e64 v14, s[0:1], s16, v14
	global_load_dword v3, v[12:13], off
	v_addc_co_u32_e64 v15, s[0:1], v10, v15, s[0:1]
	v_lshlrev_b64 v[16:17], 2, v[4:5]
	v_add_co_u32_e64 v12, s[0:1], s16, v16
	v_addc_co_u32_e64 v13, s[0:1], v10, v17, s[0:1]
	global_load_dword v16, v[14:15], off
	global_load_dword v17, v[12:13], off
	v_ashrrev_i32_e32 v1, 31, v0
	v_lshlrev_b64 v[12:13], 2, v[0:1]
	v_add_co_u32_e64 v14, s[0:1], s18, v12
	v_addc_co_u32_e64 v15, s[0:1], v9, v13, s[0:1]
	v_add_co_u32_e64 v12, s[0:1], s14, v12
	v_add_u32_e32 v2, 0x80, v2
	v_addc_co_u32_e64 v13, s[0:1], v11, v13, s[0:1]
	v_cmp_le_i32_e64 s[0:1], s21, v2
	v_add_u32_e32 v6, 0x200, v6
	v_add_u32_e32 v7, 0x200, v7
	;; [unrolled: 1-line block ×3, first 2 shown]
	s_or_b64 s[2:3], s[0:1], s[2:3]
	s_waitcnt vmcnt(2)
	v_subrev_u32_e32 v1, s27, v3
	v_lshl_add_u32 v18, v1, 1, s26
	v_add_u32_e32 v19, 1, v18
	global_store_dwordx2 v[14:15], v[18:19], off
	s_waitcnt vmcnt(1)
	global_store_dwordx2 v[12:13], v[16:17], off
	s_andn2_b64 exec, exec, s[2:3]
	s_cbranch_execnz .LBB105_11
.LBB105_12:
	s_endpgm
	.section	.rodata,"a",@progbits
	.p2align	6, 0x0
	.amdhsa_kernel _ZN9rocsparseL32bsr2csr_block_per_row_2_7_kernelILj256ELj2EfiiEEv20rocsparse_direction_T3_S2_21rocsparse_index_base_PKT1_PKT2_PKS2_S2_S3_PS4_PS7_PS2_
		.amdhsa_group_segment_fixed_size 0
		.amdhsa_private_segment_fixed_size 0
		.amdhsa_kernarg_size 72
		.amdhsa_user_sgpr_count 6
		.amdhsa_user_sgpr_private_segment_buffer 1
		.amdhsa_user_sgpr_dispatch_ptr 0
		.amdhsa_user_sgpr_queue_ptr 0
		.amdhsa_user_sgpr_kernarg_segment_ptr 1
		.amdhsa_user_sgpr_dispatch_id 0
		.amdhsa_user_sgpr_flat_scratch_init 0
		.amdhsa_user_sgpr_kernarg_preload_length 0
		.amdhsa_user_sgpr_kernarg_preload_offset 0
		.amdhsa_user_sgpr_private_segment_size 0
		.amdhsa_uses_dynamic_stack 0
		.amdhsa_system_sgpr_private_segment_wavefront_offset 0
		.amdhsa_system_sgpr_workgroup_id_x 1
		.amdhsa_system_sgpr_workgroup_id_y 0
		.amdhsa_system_sgpr_workgroup_id_z 0
		.amdhsa_system_sgpr_workgroup_info 0
		.amdhsa_system_vgpr_workitem_id 0
		.amdhsa_next_free_vgpr 40
		.amdhsa_next_free_sgpr 32
		.amdhsa_accum_offset 40
		.amdhsa_reserve_vcc 1
		.amdhsa_reserve_flat_scratch 0
		.amdhsa_float_round_mode_32 0
		.amdhsa_float_round_mode_16_64 0
		.amdhsa_float_denorm_mode_32 3
		.amdhsa_float_denorm_mode_16_64 3
		.amdhsa_dx10_clamp 1
		.amdhsa_ieee_mode 1
		.amdhsa_fp16_overflow 0
		.amdhsa_tg_split 0
		.amdhsa_exception_fp_ieee_invalid_op 0
		.amdhsa_exception_fp_denorm_src 0
		.amdhsa_exception_fp_ieee_div_zero 0
		.amdhsa_exception_fp_ieee_overflow 0
		.amdhsa_exception_fp_ieee_underflow 0
		.amdhsa_exception_fp_ieee_inexact 0
		.amdhsa_exception_int_div_zero 0
	.end_amdhsa_kernel
	.section	.text._ZN9rocsparseL32bsr2csr_block_per_row_2_7_kernelILj256ELj2EfiiEEv20rocsparse_direction_T3_S2_21rocsparse_index_base_PKT1_PKT2_PKS2_S2_S3_PS4_PS7_PS2_,"axG",@progbits,_ZN9rocsparseL32bsr2csr_block_per_row_2_7_kernelILj256ELj2EfiiEEv20rocsparse_direction_T3_S2_21rocsparse_index_base_PKT1_PKT2_PKS2_S2_S3_PS4_PS7_PS2_,comdat
.Lfunc_end105:
	.size	_ZN9rocsparseL32bsr2csr_block_per_row_2_7_kernelILj256ELj2EfiiEEv20rocsparse_direction_T3_S2_21rocsparse_index_base_PKT1_PKT2_PKS2_S2_S3_PS4_PS7_PS2_, .Lfunc_end105-_ZN9rocsparseL32bsr2csr_block_per_row_2_7_kernelILj256ELj2EfiiEEv20rocsparse_direction_T3_S2_21rocsparse_index_base_PKT1_PKT2_PKS2_S2_S3_PS4_PS7_PS2_
                                        ; -- End function
	.section	.AMDGPU.csdata,"",@progbits
; Kernel info:
; codeLenInByte = 1740
; NumSgprs: 36
; NumVgprs: 40
; NumAgprs: 0
; TotalNumVgprs: 40
; ScratchSize: 0
; MemoryBound: 0
; FloatMode: 240
; IeeeMode: 1
; LDSByteSize: 0 bytes/workgroup (compile time only)
; SGPRBlocks: 4
; VGPRBlocks: 4
; NumSGPRsForWavesPerEU: 36
; NumVGPRsForWavesPerEU: 40
; AccumOffset: 40
; Occupancy: 8
; WaveLimiterHint : 0
; COMPUTE_PGM_RSRC2:SCRATCH_EN: 0
; COMPUTE_PGM_RSRC2:USER_SGPR: 6
; COMPUTE_PGM_RSRC2:TRAP_HANDLER: 0
; COMPUTE_PGM_RSRC2:TGID_X_EN: 1
; COMPUTE_PGM_RSRC2:TGID_Y_EN: 0
; COMPUTE_PGM_RSRC2:TGID_Z_EN: 0
; COMPUTE_PGM_RSRC2:TIDIG_COMP_CNT: 0
; COMPUTE_PGM_RSRC3_GFX90A:ACCUM_OFFSET: 9
; COMPUTE_PGM_RSRC3_GFX90A:TG_SPLIT: 0
	.section	.text._ZN9rocsparseL32bsr2csr_block_per_row_2_7_kernelILj256ELj3EfiiEEv20rocsparse_direction_T3_S2_21rocsparse_index_base_PKT1_PKT2_PKS2_S2_S3_PS4_PS7_PS2_,"axG",@progbits,_ZN9rocsparseL32bsr2csr_block_per_row_2_7_kernelILj256ELj3EfiiEEv20rocsparse_direction_T3_S2_21rocsparse_index_base_PKT1_PKT2_PKS2_S2_S3_PS4_PS7_PS2_,comdat
	.globl	_ZN9rocsparseL32bsr2csr_block_per_row_2_7_kernelILj256ELj3EfiiEEv20rocsparse_direction_T3_S2_21rocsparse_index_base_PKT1_PKT2_PKS2_S2_S3_PS4_PS7_PS2_ ; -- Begin function _ZN9rocsparseL32bsr2csr_block_per_row_2_7_kernelILj256ELj3EfiiEEv20rocsparse_direction_T3_S2_21rocsparse_index_base_PKT1_PKT2_PKS2_S2_S3_PS4_PS7_PS2_
	.p2align	8
	.type	_ZN9rocsparseL32bsr2csr_block_per_row_2_7_kernelILj256ELj3EfiiEEv20rocsparse_direction_T3_S2_21rocsparse_index_base_PKT1_PKT2_PKS2_S2_S3_PS4_PS7_PS2_,@function
_ZN9rocsparseL32bsr2csr_block_per_row_2_7_kernelILj256ELj3EfiiEEv20rocsparse_direction_T3_S2_21rocsparse_index_base_PKT1_PKT2_PKS2_S2_S3_PS4_PS7_PS2_: ; @_ZN9rocsparseL32bsr2csr_block_per_row_2_7_kernelILj256ELj3EfiiEEv20rocsparse_direction_T3_S2_21rocsparse_index_base_PKT1_PKT2_PKS2_S2_S3_PS4_PS7_PS2_
; %bb.0:
	s_load_dwordx2 s[0:1], s[4:5], 0x18
	s_load_dword s15, s[4:5], 0x2c
	s_load_dwordx2 s[2:3], s[4:5], 0x38
	s_ashr_i32 s7, s6, 31
	s_lshl_b64 s[8:9], s[6:7], 2
	s_waitcnt lgkmcnt(0)
	s_add_u32 s8, s0, s8
	v_or_b32_e32 v1, s6, v0
	s_addc_u32 s9, s1, s9
	v_cmp_eq_u32_e32 vcc, 0, v1
	s_and_saveexec_b64 s[0:1], vcc
	s_cbranch_execz .LBB106_2
; %bb.1:
	v_mov_b32_e32 v1, 0
	v_mov_b32_e32 v2, s15
	global_store_dword v1, v2, s[2:3]
.LBB106_2:
	s_or_b64 exec, exec, s[0:1]
	v_and_b32_e32 v4, 3, v0
	v_cmp_ne_u32_e32 vcc, 3, v4
	s_and_saveexec_b64 s[0:1], vcc
	s_cbranch_execz .LBB106_6
; %bb.3:
	s_load_dwordx2 s[0:1], s[8:9], 0x0
	s_load_dword s12, s[4:5], 0xc
	v_lshrrev_b32_e32 v3, 2, v0
	v_mov_b32_e32 v1, 0
	s_waitcnt lgkmcnt(0)
	s_sub_i32 s7, s0, s12
	s_sub_i32 s13, s1, s12
	;; [unrolled: 1-line block ×3, first 2 shown]
	s_mul_i32 s8, s8, 3
	s_mul_i32 s1, s7, 9
	v_mul_lo_u32 v6, s8, v4
	s_add_i32 s8, s8, s15
	s_add_i32 s8, s8, s1
	s_mul_i32 s1, s6, 3
	v_add3_u32 v0, v4, s1, 1
	v_lshlrev_b64 v[8:9], 2, v[0:1]
	v_mov_b32_e32 v0, s3
	v_add_co_u32_e32 v8, vcc, s2, v8
	v_add_u32_e32 v2, s8, v6
	v_addc_co_u32_e32 v9, vcc, v0, v9, vcc
	global_store_dword v[8:9], v2, off
	v_add_u32_e32 v2, s7, v3
	v_cmp_gt_i32_e32 vcc, s13, v2
	s_and_b64 exec, exec, vcc
	s_cbranch_execz .LBB106_6
; %bb.4:
	s_load_dwordx2 s[2:3], s[4:5], 0x20
	s_load_dwordx2 s[6:7], s[4:5], 0x30
	s_load_dword s1, s[4:5], 0x0
	s_load_dwordx2 s[8:9], s[4:5], 0x10
	s_load_dwordx2 s[10:11], s[4:5], 0x40
	v_add_u32_e32 v0, s0, v3
	v_lshl_add_u32 v0, v0, 3, v0
	s_waitcnt lgkmcnt(0)
	s_cmp_eq_u32 s1, 0
	v_mad_u32_u24 v0, v4, 3, v0
	s_mul_i32 s1, s12, 9
	v_subrev_u32_e32 v9, s1, v0
	s_mul_i32 s0, s0, 9
	v_mul_u32_u24_e32 v0, 3, v3
	v_mad_u64_u32 v[4:5], s[4:5], v2, 9, v[4:5]
	v_add3_u32 v0, v6, s0, v0
	s_mov_b32 s14, 0
	s_cselect_b64 vcc, -1, 0
	v_subrev_u32_e32 v6, s1, v0
	s_mov_b64 s[4:5], 0
	v_mov_b32_e32 v5, s3
	v_mov_b32_e32 v8, s15
	;; [unrolled: 1-line block ×5, first 2 shown]
.LBB106_5:                              ; =>This Inner Loop Header: Depth=1
	v_ashrrev_i32_e32 v3, 31, v2
	v_add_u32_e32 v7, s14, v4
	v_add_u32_e32 v13, s14, v9
	v_lshlrev_b64 v[14:15], 2, v[2:3]
	v_cndmask_b32_e32 v0, v7, v13, vcc
	v_add_co_u32_e64 v14, s[0:1], s2, v14
	v_add_u32_e32 v3, 1, v13
	v_add_u32_e32 v18, 3, v7
	v_addc_co_u32_e64 v15, s[0:1], v5, v15, s[0:1]
	v_lshlrev_b64 v[16:17], 2, v[0:1]
	v_cndmask_b32_e32 v0, v18, v3, vcc
	global_load_dword v3, v[14:15], off
	v_add_co_u32_e64 v14, s[0:1], s8, v16
	v_add_u32_e32 v13, 2, v13
	v_add_u32_e32 v7, 6, v7
	v_addc_co_u32_e64 v15, s[0:1], v11, v17, s[0:1]
	v_lshlrev_b64 v[16:17], 2, v[0:1]
	v_cndmask_b32_e32 v0, v7, v13, vcc
	v_add_co_u32_e64 v18, s[0:1], s8, v16
	v_addc_co_u32_e64 v19, s[0:1], v11, v17, s[0:1]
	v_lshlrev_b64 v[16:17], 2, v[0:1]
	v_add_co_u32_e64 v20, s[0:1], s8, v16
	global_load_dword v14, v[14:15], off
	v_addc_co_u32_e64 v21, s[0:1], v11, v17, s[0:1]
	global_load_dword v15, v[18:19], off
	global_load_dword v16, v[20:21], off
	v_ashrrev_i32_e32 v7, 31, v6
	v_lshlrev_b64 v[18:19], 2, v[6:7]
	v_add_co_u32_e64 v22, s[0:1], s10, v18
	v_addc_co_u32_e64 v23, s[0:1], v10, v19, s[0:1]
	v_add_co_u32_e64 v24, s[0:1], s6, v18
	v_add_u32_e32 v2, 64, v2
	v_addc_co_u32_e64 v25, s[0:1], v12, v19, s[0:1]
	s_addk_i32 s14, 0x240
	v_cmp_le_i32_e64 s[0:1], s13, v2
	s_or_b64 s[4:5], s[0:1], s[4:5]
	v_add_u32_e32 v6, 0xc0, v6
	s_waitcnt vmcnt(3)
	v_subrev_u32_e32 v0, s12, v3
	v_mad_u64_u32 v[18:19], s[0:1], v0, 3, v[8:9]
	v_add_u32_e32 v19, 1, v18
	v_add_u32_e32 v20, 2, v18
	global_store_dwordx3 v[22:23], v[18:20], off
	s_waitcnt vmcnt(1)
	global_store_dwordx3 v[24:25], v[14:16], off
	s_andn2_b64 exec, exec, s[4:5]
	s_cbranch_execnz .LBB106_5
.LBB106_6:
	s_endpgm
	.section	.rodata,"a",@progbits
	.p2align	6, 0x0
	.amdhsa_kernel _ZN9rocsparseL32bsr2csr_block_per_row_2_7_kernelILj256ELj3EfiiEEv20rocsparse_direction_T3_S2_21rocsparse_index_base_PKT1_PKT2_PKS2_S2_S3_PS4_PS7_PS2_
		.amdhsa_group_segment_fixed_size 0
		.amdhsa_private_segment_fixed_size 0
		.amdhsa_kernarg_size 72
		.amdhsa_user_sgpr_count 6
		.amdhsa_user_sgpr_private_segment_buffer 1
		.amdhsa_user_sgpr_dispatch_ptr 0
		.amdhsa_user_sgpr_queue_ptr 0
		.amdhsa_user_sgpr_kernarg_segment_ptr 1
		.amdhsa_user_sgpr_dispatch_id 0
		.amdhsa_user_sgpr_flat_scratch_init 0
		.amdhsa_user_sgpr_kernarg_preload_length 0
		.amdhsa_user_sgpr_kernarg_preload_offset 0
		.amdhsa_user_sgpr_private_segment_size 0
		.amdhsa_uses_dynamic_stack 0
		.amdhsa_system_sgpr_private_segment_wavefront_offset 0
		.amdhsa_system_sgpr_workgroup_id_x 1
		.amdhsa_system_sgpr_workgroup_id_y 0
		.amdhsa_system_sgpr_workgroup_id_z 0
		.amdhsa_system_sgpr_workgroup_info 0
		.amdhsa_system_vgpr_workitem_id 0
		.amdhsa_next_free_vgpr 26
		.amdhsa_next_free_sgpr 16
		.amdhsa_accum_offset 28
		.amdhsa_reserve_vcc 1
		.amdhsa_reserve_flat_scratch 0
		.amdhsa_float_round_mode_32 0
		.amdhsa_float_round_mode_16_64 0
		.amdhsa_float_denorm_mode_32 3
		.amdhsa_float_denorm_mode_16_64 3
		.amdhsa_dx10_clamp 1
		.amdhsa_ieee_mode 1
		.amdhsa_fp16_overflow 0
		.amdhsa_tg_split 0
		.amdhsa_exception_fp_ieee_invalid_op 0
		.amdhsa_exception_fp_denorm_src 0
		.amdhsa_exception_fp_ieee_div_zero 0
		.amdhsa_exception_fp_ieee_overflow 0
		.amdhsa_exception_fp_ieee_underflow 0
		.amdhsa_exception_fp_ieee_inexact 0
		.amdhsa_exception_int_div_zero 0
	.end_amdhsa_kernel
	.section	.text._ZN9rocsparseL32bsr2csr_block_per_row_2_7_kernelILj256ELj3EfiiEEv20rocsparse_direction_T3_S2_21rocsparse_index_base_PKT1_PKT2_PKS2_S2_S3_PS4_PS7_PS2_,"axG",@progbits,_ZN9rocsparseL32bsr2csr_block_per_row_2_7_kernelILj256ELj3EfiiEEv20rocsparse_direction_T3_S2_21rocsparse_index_base_PKT1_PKT2_PKS2_S2_S3_PS4_PS7_PS2_,comdat
.Lfunc_end106:
	.size	_ZN9rocsparseL32bsr2csr_block_per_row_2_7_kernelILj256ELj3EfiiEEv20rocsparse_direction_T3_S2_21rocsparse_index_base_PKT1_PKT2_PKS2_S2_S3_PS4_PS7_PS2_, .Lfunc_end106-_ZN9rocsparseL32bsr2csr_block_per_row_2_7_kernelILj256ELj3EfiiEEv20rocsparse_direction_T3_S2_21rocsparse_index_base_PKT1_PKT2_PKS2_S2_S3_PS4_PS7_PS2_
                                        ; -- End function
	.section	.AMDGPU.csdata,"",@progbits
; Kernel info:
; codeLenInByte = 652
; NumSgprs: 20
; NumVgprs: 26
; NumAgprs: 0
; TotalNumVgprs: 26
; ScratchSize: 0
; MemoryBound: 0
; FloatMode: 240
; IeeeMode: 1
; LDSByteSize: 0 bytes/workgroup (compile time only)
; SGPRBlocks: 2
; VGPRBlocks: 3
; NumSGPRsForWavesPerEU: 20
; NumVGPRsForWavesPerEU: 26
; AccumOffset: 28
; Occupancy: 8
; WaveLimiterHint : 1
; COMPUTE_PGM_RSRC2:SCRATCH_EN: 0
; COMPUTE_PGM_RSRC2:USER_SGPR: 6
; COMPUTE_PGM_RSRC2:TRAP_HANDLER: 0
; COMPUTE_PGM_RSRC2:TGID_X_EN: 1
; COMPUTE_PGM_RSRC2:TGID_Y_EN: 0
; COMPUTE_PGM_RSRC2:TGID_Z_EN: 0
; COMPUTE_PGM_RSRC2:TIDIG_COMP_CNT: 0
; COMPUTE_PGM_RSRC3_GFX90A:ACCUM_OFFSET: 6
; COMPUTE_PGM_RSRC3_GFX90A:TG_SPLIT: 0
	.section	.text._ZN9rocsparseL32bsr2csr_block_per_row_2_7_kernelILj256ELj4EfiiEEv20rocsparse_direction_T3_S2_21rocsparse_index_base_PKT1_PKT2_PKS2_S2_S3_PS4_PS7_PS2_,"axG",@progbits,_ZN9rocsparseL32bsr2csr_block_per_row_2_7_kernelILj256ELj4EfiiEEv20rocsparse_direction_T3_S2_21rocsparse_index_base_PKT1_PKT2_PKS2_S2_S3_PS4_PS7_PS2_,comdat
	.globl	_ZN9rocsparseL32bsr2csr_block_per_row_2_7_kernelILj256ELj4EfiiEEv20rocsparse_direction_T3_S2_21rocsparse_index_base_PKT1_PKT2_PKS2_S2_S3_PS4_PS7_PS2_ ; -- Begin function _ZN9rocsparseL32bsr2csr_block_per_row_2_7_kernelILj256ELj4EfiiEEv20rocsparse_direction_T3_S2_21rocsparse_index_base_PKT1_PKT2_PKS2_S2_S3_PS4_PS7_PS2_
	.p2align	8
	.type	_ZN9rocsparseL32bsr2csr_block_per_row_2_7_kernelILj256ELj4EfiiEEv20rocsparse_direction_T3_S2_21rocsparse_index_base_PKT1_PKT2_PKS2_S2_S3_PS4_PS7_PS2_,@function
_ZN9rocsparseL32bsr2csr_block_per_row_2_7_kernelILj256ELj4EfiiEEv20rocsparse_direction_T3_S2_21rocsparse_index_base_PKT1_PKT2_PKS2_S2_S3_PS4_PS7_PS2_: ; @_ZN9rocsparseL32bsr2csr_block_per_row_2_7_kernelILj256ELj4EfiiEEv20rocsparse_direction_T3_S2_21rocsparse_index_base_PKT1_PKT2_PKS2_S2_S3_PS4_PS7_PS2_
; %bb.0:
	s_load_dwordx2 s[2:3], s[4:5], 0x18
	s_load_dword s33, s[4:5], 0x2c
	s_load_dwordx2 s[0:1], s[4:5], 0x38
	s_ashr_i32 s7, s6, 31
	s_lshl_b64 s[8:9], s[6:7], 2
	s_waitcnt lgkmcnt(0)
	s_add_u32 s2, s2, s8
	s_addc_u32 s3, s3, s9
	s_load_dwordx2 s[34:35], s[2:3], 0x0
	v_or_b32_e32 v1, s6, v0
	v_cmp_eq_u32_e32 vcc, 0, v1
	s_and_saveexec_b64 s[2:3], vcc
	s_cbranch_execz .LBB107_2
; %bb.1:
	v_mov_b32_e32 v1, 0
	v_mov_b32_e32 v2, s33
	global_store_dword v1, v2, s[0:1]
.LBB107_2:
	s_or_b64 exec, exec, s[2:3]
	s_load_dword s40, s[4:5], 0xc
	v_and_b32_e32 v2, 3, v0
	v_lshl_or_b32 v4, s6, 2, v2
	v_add_u32_e32 v4, 1, v4
	v_mov_b32_e32 v5, 0
	s_waitcnt lgkmcnt(0)
	s_sub_i32 s41, s34, s40
	s_sub_i32 s35, s35, s40
	;; [unrolled: 1-line block ×3, first 2 shown]
	s_lshl_b32 s2, s2, 2
	v_mul_lo_u32 v9, s2, v2
	v_lshlrev_b64 v[4:5], 2, v[4:5]
	s_add_i32 s2, s2, s33
	v_lshl_add_u32 v8, s41, 4, v9
	v_mov_b32_e32 v6, s1
	v_add_co_u32_e32 v4, vcc, s0, v4
	v_lshrrev_b32_e32 v1, 2, v0
	v_add_u32_e32 v3, s2, v8
	v_addc_co_u32_e32 v5, vcc, v6, v5, vcc
	global_store_dword v[4:5], v3, off
	v_add_u32_e32 v4, s41, v1
	v_cmp_gt_i32_e32 vcc, s35, v4
	s_and_saveexec_b64 s[0:1], vcc
	s_cbranch_execz .LBB107_12
; %bb.3:
	s_load_dwordx2 s[24:25], s[4:5], 0x20
	s_load_dwordx2 s[26:27], s[4:5], 0x30
	s_load_dword s0, s[4:5], 0x0
	s_load_dwordx2 s[28:29], s[4:5], 0x10
	s_load_dwordx2 s[30:31], s[4:5], 0x40
	v_add_u32_e32 v3, s34, v1
	v_subrev_u32_e32 v3, s40, v3
	s_waitcnt lgkmcnt(0)
	s_cmp_eq_u32 s0, 0
	s_cselect_b64 vcc, -1, 0
	v_add_u32_e32 v3, 64, v3
	s_not_b32 s0, s34
	v_max_i32_e32 v3, s35, v3
	s_add_i32 s0, s0, s40
	v_add_u32_e32 v3, s0, v3
	v_sub_u32_e32 v1, v3, v1
	s_movk_i32 s0, 0x2040
	v_cmp_gt_u32_e64 s[36:37], s0, v1
	s_movk_i32 s0, 0x203f
	v_lshlrev_b32_e32 v6, 2, v2
	v_cmp_lt_u32_e64 s[0:1], s0, v1
	s_and_saveexec_b64 s[38:39], s[0:1]
	s_cbranch_execz .LBB107_9
; %bb.4:
	s_lshl_b32 s0, s34, 4
	v_and_b32_e32 v0, 0xfc, v0
	v_lshrrev_b32_e32 v10, 6, v1
	v_add3_u32 v0, v9, s0, v0
	s_lshl_b32 s6, s40, 4
	v_subrev_u32_e32 v12, s6, v0
	v_lshlrev_b32_e32 v3, 8, v10
	v_add_u32_e32 v5, v12, v3
	v_cmp_ge_i32_e64 s[2:3], v5, v12
	v_or_b32_e32 v5, 1, v0
	v_subrev_u32_e32 v5, s6, v5
	v_add_u32_e32 v7, v5, v3
	v_cmp_ge_i32_e64 s[4:5], v7, v5
	v_or_b32_e32 v5, 2, v0
	v_or_b32_e32 v0, 3, v0
	v_subrev_u32_e32 v5, s6, v5
	v_subrev_u32_e32 v0, s6, v0
	v_ashrrev_i32_e32 v13, 31, v12
	v_add_u32_e32 v7, v5, v3
	v_add_u32_e32 v3, v0, v3
	v_lshlrev_b64 v[12:13], 2, v[12:13]
	s_and_b64 s[42:43], s[4:5], s[2:3]
	v_cmp_ge_i32_e64 s[4:5], v3, v0
	v_mov_b32_e32 v0, s31
	v_add_co_u32_e64 v14, s[6:7], s30, v12
	v_addc_co_u32_e64 v15, s[6:7], v0, v13, s[6:7]
	v_add_co_u32_e64 v16, s[6:7], 8, v14
	v_mov_b32_e32 v11, 0
	v_addc_co_u32_e64 v17, s[6:7], 0, v15, s[6:7]
	v_lshlrev_b64 v[18:19], 10, v[10:11]
	v_add_co_u32_e64 v20, s[6:7], v14, v18
	v_addc_co_u32_e64 v21, s[6:7], v15, v19, s[6:7]
	v_add_co_u32_e64 v22, s[6:7], 8, v20
	v_addc_co_u32_e64 v23, s[6:7], 0, v21, s[6:7]
	v_cmp_ge_u64_e64 s[6:7], v[22:23], v[16:17]
	v_add_co_u32_e64 v16, s[8:9], 12, v14
	v_addc_co_u32_e64 v17, s[8:9], 0, v15, s[8:9]
	v_add_co_u32_e64 v22, s[8:9], 12, v20
	v_addc_co_u32_e64 v23, s[8:9], 0, v21, s[8:9]
	v_cmp_ge_u64_e64 s[8:9], v[22:23], v[16:17]
	v_add_co_u32_e64 v16, s[10:11], 4, v14
	v_mov_b32_e32 v0, s27
	v_add_co_u32_e64 v12, s[14:15], s26, v12
	v_addc_co_u32_e64 v17, s[10:11], 0, v15, s[10:11]
	v_addc_co_u32_e64 v13, s[14:15], v0, v13, s[14:15]
	v_add_co_u32_e64 v22, s[10:11], 4, v20
	v_cmp_ge_u64_e64 s[12:13], v[20:21], v[14:15]
	v_add_co_u32_e64 v14, s[14:15], 8, v12
	v_addc_co_u32_e64 v23, s[10:11], 0, v21, s[10:11]
	v_addc_co_u32_e64 v15, s[14:15], 0, v13, s[14:15]
	v_cmp_ge_u64_e64 s[10:11], v[22:23], v[16:17]
	v_add_co_u32_e64 v16, s[14:15], v12, v18
	v_addc_co_u32_e64 v17, s[14:15], v13, v19, s[14:15]
	v_add_co_u32_e64 v18, s[14:15], 8, v16
	v_cmp_gt_u32_e64 s[0:1], 2.0, v1
	v_addc_co_u32_e64 v19, s[14:15], 0, v17, s[14:15]
	v_cmp_ge_i32_e64 s[2:3], v7, v5
	v_cmp_ge_u64_e64 s[14:15], v[18:19], v[14:15]
	v_add_co_u32_e64 v14, s[16:17], 12, v12
	s_and_b64 s[0:1], s[42:43], s[0:1]
	v_addc_co_u32_e64 v15, s[16:17], 0, v13, s[16:17]
	s_and_b64 s[0:1], s[2:3], s[0:1]
	v_add_co_u32_e64 v18, s[16:17], 12, v16
	s_and_b64 s[0:1], s[4:5], s[0:1]
	v_addc_co_u32_e64 v19, s[16:17], 0, v17, s[16:17]
	s_and_b64 s[0:1], s[0:1], s[6:7]
	v_cmp_ge_u64_e64 s[16:17], v[18:19], v[14:15]
	v_add_co_u32_e64 v14, s[18:19], 4, v12
	s_and_b64 s[0:1], s[0:1], s[8:9]
	v_addc_co_u32_e64 v15, s[18:19], 0, v13, s[18:19]
	s_and_b64 s[0:1], s[0:1], s[10:11]
	v_add_co_u32_e64 v18, s[18:19], 4, v16
	s_and_b64 s[0:1], s[0:1], s[12:13]
	v_addc_co_u32_e64 v19, s[18:19], 0, v17, s[18:19]
	s_and_b64 s[0:1], s[0:1], s[14:15]
	v_cmp_ge_u64_e64 s[18:19], v[18:19], v[14:15]
	v_and_b32_e32 v0, 0xffffffc0, v1
	s_and_b64 s[0:1], s[0:1], s[16:17]
	v_cmp_ge_u64_e64 s[20:21], v[16:17], v[12:13]
	v_add_u32_e32 v0, v4, v0
	s_and_b64 s[0:1], s[0:1], s[18:19]
	v_cmp_ge_i32_e64 s[22:23], v0, v4
	s_and_b64 s[0:1], s[0:1], s[20:21]
	s_and_b64 s[4:5], s[0:1], s[22:23]
	s_mov_b64 s[0:1], -1
	s_and_saveexec_b64 s[2:3], s[4:5]
	s_cbranch_execz .LBB107_8
; %bb.5:
	v_add_u32_e32 v0, 1, v10
	v_and_b32_e32 v18, 0x7fffffe, v0
	v_add_u32_e32 v5, 64, v4
	s_mov_b32 s6, s40
	s_mov_b32 s7, s41
	v_mov_b32_e32 v1, v8
	s_mov_b32 s8, s33
	v_mov_b32_e32 v3, v6
	v_mov_b32_e32 v7, v2
	s_mov_b64 s[4:5], 0
	v_mov_b32_e32 v19, s25
	v_mov_b32_e32 v20, s31
	;; [unrolled: 1-line block ×5, first 2 shown]
	v_pk_mov_b32 v[12:13], v[4:5], v[4:5] op_sel:[0,1]
.LBB107_6:                              ; =>This Inner Loop Header: Depth=1
	v_ashrrev_i32_e32 v17, 31, v12
	v_mov_b32_e32 v16, v12
	v_lshlrev_b64 v[16:17], 2, v[16:17]
	v_ashrrev_i32_e32 v15, 31, v13
	v_mov_b32_e32 v14, v13
	v_add_co_u32_e64 v16, s[0:1], s24, v16
	v_addc_co_u32_e64 v17, s[0:1], v19, v17, s[0:1]
	v_lshlrev_b64 v[14:15], 2, v[14:15]
	v_add_co_u32_e64 v14, s[0:1], s24, v14
	v_addc_co_u32_e64 v15, s[0:1], v19, v15, s[0:1]
	global_load_dword v5, v[16:17], off
	global_load_dword v10, v[14:15], off
	v_subrev_u32_e32 v15, s41, v12
	v_lshl_add_u32 v16, v15, 2, v8
	v_subrev_u32_e32 v14, s7, v13
	v_ashrrev_i32_e32 v17, 31, v16
	v_lshl_add_u32 v14, v14, 2, v1
	v_lshlrev_b64 v[24:25], 2, v[16:17]
	v_ashrrev_i32_e32 v15, 31, v14
	v_add_co_u32_e64 v26, s[0:1], s30, v24
	v_lshlrev_b32_e32 v33, 4, v12
	v_addc_co_u32_e64 v27, s[0:1], v20, v25, s[0:1]
	v_lshlrev_b64 v[28:29], 2, v[14:15]
	v_or_b32_e32 v34, v33, v6
	v_add_co_u32_e64 v30, s[0:1], s30, v28
	v_or_b32_e32 v33, v33, v2
	v_addc_co_u32_e64 v31, s[0:1], v20, v29, s[0:1]
	v_or_b32_e32 v17, 4, v33
	v_add_u32_e32 v23, -2, v23
	v_add_u32_e32 v12, 0x80, v12
	s_waitcnt vmcnt(1)
	v_subrev_u32_e32 v5, s40, v5
	s_waitcnt vmcnt(0)
	v_subrev_u32_e32 v10, s6, v10
	v_lshl_add_u32 v32, v10, 2, s8
	v_lshlrev_b32_e32 v10, 4, v13
	v_lshl_add_u32 v5, v5, 2, s33
	v_or_b32_e32 v35, v10, v3
	v_or_b32_e32 v36, v10, v7
	v_cndmask_b32_e32 v10, v33, v34, vcc
	global_store_dword v[26:27], v5, off
	global_store_dword v[30:31], v32, off
	v_lshlrev_b64 v[30:31], 2, v[10:11]
	v_cndmask_b32_e32 v26, v36, v35, vcc
	v_add_co_u32_e64 v30, s[0:1], s28, v30
	v_mov_b32_e32 v27, v11
	v_addc_co_u32_e64 v31, s[0:1], v21, v31, s[0:1]
	v_lshlrev_b64 v[26:27], 2, v[26:27]
	v_add_co_u32_e64 v26, s[0:1], s28, v26
	v_addc_co_u32_e64 v27, s[0:1], v21, v27, s[0:1]
	global_load_dword v10, v[30:31], off
	global_load_dword v15, v[26:27], off
	v_add_co_u32_e64 v24, s[0:1], s26, v24
	v_addc_co_u32_e64 v25, s[0:1], v22, v25, s[0:1]
	v_add_co_u32_e64 v26, s[0:1], s26, v28
	v_addc_co_u32_e64 v27, s[0:1], v22, v29, s[0:1]
	v_add_u32_e32 v13, 0x80, v13
	s_waitcnt vmcnt(1)
	global_store_dword v[24:25], v10, off
	s_waitcnt vmcnt(1)
	global_store_dword v[26:27], v15, off
	v_or_b32_e32 v24, 1, v16
	v_ashrrev_i32_e32 v25, 31, v24
	v_or_b32_e32 v26, 1, v14
	v_lshlrev_b64 v[24:25], 2, v[24:25]
	v_ashrrev_i32_e32 v27, 31, v26
	v_add_co_u32_e64 v28, s[0:1], s30, v24
	v_addc_co_u32_e64 v29, s[0:1], v20, v25, s[0:1]
	v_lshlrev_b64 v[26:27], 2, v[26:27]
	v_add_u32_e32 v10, 1, v32
	v_add_u32_e32 v15, 1, v5
	v_add_co_u32_e64 v30, s[0:1], s30, v26
	v_addc_co_u32_e64 v31, s[0:1], v20, v27, s[0:1]
	global_store_dword v[28:29], v15, off
	global_store_dword v[30:31], v10, off
	v_or_b32_e32 v10, 1, v34
	v_cndmask_b32_e32 v10, v17, v10, vcc
	v_or_b32_e32 v15, 1, v35
	v_or_b32_e32 v28, 4, v36
	v_lshlrev_b64 v[30:31], 2, v[10:11]
	v_cndmask_b32_e32 v28, v28, v15, vcc
	v_add_co_u32_e64 v30, s[0:1], s28, v30
	v_mov_b32_e32 v29, v11
	v_addc_co_u32_e64 v31, s[0:1], v21, v31, s[0:1]
	v_lshlrev_b64 v[28:29], 2, v[28:29]
	v_add_co_u32_e64 v28, s[0:1], s28, v28
	v_addc_co_u32_e64 v29, s[0:1], v21, v29, s[0:1]
	global_load_dword v10, v[30:31], off
	global_load_dword v15, v[28:29], off
	v_add_co_u32_e64 v24, s[0:1], s26, v24
	v_addc_co_u32_e64 v25, s[0:1], v22, v25, s[0:1]
	v_add_co_u32_e64 v26, s[0:1], s26, v26
	v_addc_co_u32_e64 v27, s[0:1], v22, v27, s[0:1]
	v_or_b32_e32 v17, 8, v33
	s_waitcnt vmcnt(1)
	global_store_dword v[24:25], v10, off
	s_waitcnt vmcnt(1)
	global_store_dword v[26:27], v15, off
	v_or_b32_e32 v24, 2, v16
	v_ashrrev_i32_e32 v25, 31, v24
	v_or_b32_e32 v26, 2, v14
	v_lshlrev_b64 v[24:25], 2, v[24:25]
	v_ashrrev_i32_e32 v27, 31, v26
	v_add_co_u32_e64 v28, s[0:1], s30, v24
	v_addc_co_u32_e64 v29, s[0:1], v20, v25, s[0:1]
	v_lshlrev_b64 v[26:27], 2, v[26:27]
	v_add_u32_e32 v10, 2, v32
	v_add_u32_e32 v15, 2, v5
	v_add_co_u32_e64 v30, s[0:1], s30, v26
	v_addc_co_u32_e64 v31, s[0:1], v20, v27, s[0:1]
	global_store_dword v[28:29], v15, off
	global_store_dword v[30:31], v10, off
	v_or_b32_e32 v10, 2, v34
	v_cndmask_b32_e32 v10, v17, v10, vcc
	v_or_b32_e32 v15, 2, v35
	v_or_b32_e32 v28, 8, v36
	v_lshlrev_b64 v[30:31], 2, v[10:11]
	v_cndmask_b32_e32 v28, v28, v15, vcc
	v_add_co_u32_e64 v30, s[0:1], s28, v30
	v_mov_b32_e32 v29, v11
	v_addc_co_u32_e64 v31, s[0:1], v21, v31, s[0:1]
	v_lshlrev_b64 v[28:29], 2, v[28:29]
	v_add_co_u32_e64 v28, s[0:1], s28, v28
	v_addc_co_u32_e64 v29, s[0:1], v21, v29, s[0:1]
	global_load_dword v10, v[30:31], off
	global_load_dword v15, v[28:29], off
	v_add_co_u32_e64 v24, s[0:1], s26, v24
	v_addc_co_u32_e64 v25, s[0:1], v22, v25, s[0:1]
	v_or_b32_e32 v16, 3, v16
	v_add_co_u32_e64 v26, s[0:1], s26, v26
	v_ashrrev_i32_e32 v17, 31, v16
	v_addc_co_u32_e64 v27, s[0:1], v22, v27, s[0:1]
	v_or_b32_e32 v14, 3, v14
	v_lshlrev_b64 v[16:17], 2, v[16:17]
	v_add_u32_e32 v5, 3, v5
	s_waitcnt vmcnt(1)
	global_store_dword v[24:25], v10, off
	s_waitcnt vmcnt(1)
	global_store_dword v[26:27], v15, off
	v_ashrrev_i32_e32 v15, 31, v14
	v_add_co_u32_e64 v24, s[0:1], s30, v16
	v_addc_co_u32_e64 v25, s[0:1], v20, v17, s[0:1]
	v_lshlrev_b64 v[14:15], 2, v[14:15]
	v_add_u32_e32 v10, 3, v32
	v_add_co_u32_e64 v26, s[0:1], s30, v14
	v_addc_co_u32_e64 v27, s[0:1], v20, v15, s[0:1]
	global_store_dword v[24:25], v5, off
	global_store_dword v[26:27], v10, off
	v_or_b32_e32 v5, 3, v34
	v_or_b32_e32 v10, 3, v35
	;; [unrolled: 1-line block ×4, first 2 shown]
	v_cndmask_b32_e32 v24, v24, v10, vcc
	v_cndmask_b32_e32 v10, v25, v5, vcc
	v_lshlrev_b64 v[26:27], 2, v[10:11]
	v_add_co_u32_e64 v26, s[0:1], s28, v26
	v_mov_b32_e32 v25, v11
	v_addc_co_u32_e64 v27, s[0:1], v21, v27, s[0:1]
	v_lshlrev_b64 v[24:25], 2, v[24:25]
	v_add_co_u32_e64 v24, s[0:1], s28, v24
	v_addc_co_u32_e64 v25, s[0:1], v21, v25, s[0:1]
	global_load_dword v5, v[26:27], off
	global_load_dword v10, v[24:25], off
	v_add_co_u32_e64 v16, s[0:1], s26, v16
	v_addc_co_u32_e64 v17, s[0:1], v22, v17, s[0:1]
	v_add_co_u32_e64 v14, s[0:1], s26, v14
	v_addc_co_u32_e64 v15, s[0:1], v22, v15, s[0:1]
	v_cmp_eq_u32_e64 s[0:1], 0, v23
	s_or_b64 s[4:5], s[0:1], s[4:5]
	s_waitcnt vmcnt(1)
	global_store_dword v[16:17], v5, off
	s_waitcnt vmcnt(1)
	global_store_dword v[14:15], v10, off
	s_andn2_b64 exec, exec, s[4:5]
	s_cbranch_execnz .LBB107_6
; %bb.7:
	s_or_b64 exec, exec, s[4:5]
	v_cmp_ne_u32_e64 s[0:1], v0, v18
	v_lshl_add_u32 v4, v18, 6, v4
	s_orn2_b64 s[0:1], s[0:1], exec
.LBB107_8:
	s_or_b64 exec, exec, s[2:3]
	s_andn2_b64 s[2:3], s[36:37], exec
	s_and_b64 s[0:1], s[0:1], exec
	s_or_b64 s[36:37], s[2:3], s[0:1]
.LBB107_9:
	s_or_b64 exec, exec, s[38:39]
	s_and_b64 exec, exec, s[36:37]
	s_cbranch_execz .LBB107_12
; %bb.10:
	s_mul_i32 s0, s34, 12
	v_lshlrev_b32_e32 v0, 2, v4
	v_add3_u32 v0, v9, s0, v0
	s_mul_i32 s0, s40, 12
	v_subrev_u32_e32 v0, s0, v0
	v_lshlrev_b32_e32 v3, 4, v4
	s_mov_b64 s[2:3], 0
	v_mov_b32_e32 v7, s25
	v_mov_b32_e32 v10, s31
	;; [unrolled: 1-line block ×5, first 2 shown]
.LBB107_11:                             ; =>This Inner Loop Header: Depth=1
	v_ashrrev_i32_e32 v5, 31, v4
	v_add_u32_e32 v1, v6, v3
	v_add_u32_e32 v13, v2, v3
	v_lshlrev_b64 v[14:15], 2, v[4:5]
	v_cndmask_b32_e32 v8, v13, v1, vcc
	v_add_co_u32_e64 v14, s[0:1], s24, v14
	v_add_u32_e32 v5, 1, v1
	v_add_u32_e32 v18, 4, v13
	v_addc_co_u32_e64 v15, s[0:1], v7, v15, s[0:1]
	v_lshlrev_b64 v[16:17], 2, v[8:9]
	v_cndmask_b32_e32 v8, v18, v5, vcc
	v_add_co_u32_e64 v16, s[0:1], s28, v16
	v_add_u32_e32 v19, 2, v1
	v_add_u32_e32 v20, 8, v13
	global_load_dword v5, v[14:15], off
	v_addc_co_u32_e64 v17, s[0:1], v11, v17, s[0:1]
	v_lshlrev_b64 v[14:15], 2, v[8:9]
	v_cndmask_b32_e32 v8, v20, v19, vcc
	v_add_co_u32_e64 v18, s[0:1], s28, v14
	v_add_u32_e32 v1, 3, v1
	v_add_u32_e32 v13, 12, v13
	v_addc_co_u32_e64 v19, s[0:1], v11, v15, s[0:1]
	v_lshlrev_b64 v[20:21], 2, v[8:9]
	v_cndmask_b32_e32 v8, v13, v1, vcc
	global_load_dword v14, v[16:17], off
	global_load_dword v15, v[18:19], off
	v_add_co_u32_e64 v18, s[0:1], s28, v20
	v_addc_co_u32_e64 v19, s[0:1], v11, v21, s[0:1]
	v_lshlrev_b64 v[16:17], 2, v[8:9]
	v_add_co_u32_e64 v20, s[0:1], s28, v16
	v_addc_co_u32_e64 v21, s[0:1], v11, v17, s[0:1]
	global_load_dword v16, v[18:19], off
	global_load_dword v17, v[20:21], off
	v_ashrrev_i32_e32 v1, 31, v0
	v_lshlrev_b64 v[18:19], 2, v[0:1]
	v_add_co_u32_e64 v22, s[0:1], s30, v18
	v_addc_co_u32_e64 v23, s[0:1], v10, v19, s[0:1]
	v_add_co_u32_e64 v24, s[0:1], s26, v18
	v_add_u32_e32 v4, 64, v4
	v_addc_co_u32_e64 v25, s[0:1], v12, v19, s[0:1]
	v_cmp_le_i32_e64 s[0:1], s35, v4
	v_add_u32_e32 v3, 0x400, v3
	v_add_u32_e32 v0, 0x100, v0
	s_or_b64 s[2:3], s[0:1], s[2:3]
	s_waitcnt vmcnt(4)
	v_subrev_u32_e32 v1, s40, v5
	v_lshl_add_u32 v18, v1, 2, s33
	v_add_u32_e32 v20, 2, v18
	v_add_u32_e32 v19, 1, v18
	;; [unrolled: 1-line block ×3, first 2 shown]
	global_store_dwordx4 v[22:23], v[18:21], off
	s_waitcnt vmcnt(1)
	global_store_dwordx4 v[24:25], v[14:17], off
	s_andn2_b64 exec, exec, s[2:3]
	s_cbranch_execnz .LBB107_11
.LBB107_12:
	s_endpgm
	.section	.rodata,"a",@progbits
	.p2align	6, 0x0
	.amdhsa_kernel _ZN9rocsparseL32bsr2csr_block_per_row_2_7_kernelILj256ELj4EfiiEEv20rocsparse_direction_T3_S2_21rocsparse_index_base_PKT1_PKT2_PKS2_S2_S3_PS4_PS7_PS2_
		.amdhsa_group_segment_fixed_size 0
		.amdhsa_private_segment_fixed_size 0
		.amdhsa_kernarg_size 72
		.amdhsa_user_sgpr_count 6
		.amdhsa_user_sgpr_private_segment_buffer 1
		.amdhsa_user_sgpr_dispatch_ptr 0
		.amdhsa_user_sgpr_queue_ptr 0
		.amdhsa_user_sgpr_kernarg_segment_ptr 1
		.amdhsa_user_sgpr_dispatch_id 0
		.amdhsa_user_sgpr_flat_scratch_init 0
		.amdhsa_user_sgpr_kernarg_preload_length 0
		.amdhsa_user_sgpr_kernarg_preload_offset 0
		.amdhsa_user_sgpr_private_segment_size 0
		.amdhsa_uses_dynamic_stack 0
		.amdhsa_system_sgpr_private_segment_wavefront_offset 0
		.amdhsa_system_sgpr_workgroup_id_x 1
		.amdhsa_system_sgpr_workgroup_id_y 0
		.amdhsa_system_sgpr_workgroup_id_z 0
		.amdhsa_system_sgpr_workgroup_info 0
		.amdhsa_system_vgpr_workitem_id 0
		.amdhsa_next_free_vgpr 37
		.amdhsa_next_free_sgpr 44
		.amdhsa_accum_offset 40
		.amdhsa_reserve_vcc 1
		.amdhsa_reserve_flat_scratch 0
		.amdhsa_float_round_mode_32 0
		.amdhsa_float_round_mode_16_64 0
		.amdhsa_float_denorm_mode_32 3
		.amdhsa_float_denorm_mode_16_64 3
		.amdhsa_dx10_clamp 1
		.amdhsa_ieee_mode 1
		.amdhsa_fp16_overflow 0
		.amdhsa_tg_split 0
		.amdhsa_exception_fp_ieee_invalid_op 0
		.amdhsa_exception_fp_denorm_src 0
		.amdhsa_exception_fp_ieee_div_zero 0
		.amdhsa_exception_fp_ieee_overflow 0
		.amdhsa_exception_fp_ieee_underflow 0
		.amdhsa_exception_fp_ieee_inexact 0
		.amdhsa_exception_int_div_zero 0
	.end_amdhsa_kernel
	.section	.text._ZN9rocsparseL32bsr2csr_block_per_row_2_7_kernelILj256ELj4EfiiEEv20rocsparse_direction_T3_S2_21rocsparse_index_base_PKT1_PKT2_PKS2_S2_S3_PS4_PS7_PS2_,"axG",@progbits,_ZN9rocsparseL32bsr2csr_block_per_row_2_7_kernelILj256ELj4EfiiEEv20rocsparse_direction_T3_S2_21rocsparse_index_base_PKT1_PKT2_PKS2_S2_S3_PS4_PS7_PS2_,comdat
.Lfunc_end107:
	.size	_ZN9rocsparseL32bsr2csr_block_per_row_2_7_kernelILj256ELj4EfiiEEv20rocsparse_direction_T3_S2_21rocsparse_index_base_PKT1_PKT2_PKS2_S2_S3_PS4_PS7_PS2_, .Lfunc_end107-_ZN9rocsparseL32bsr2csr_block_per_row_2_7_kernelILj256ELj4EfiiEEv20rocsparse_direction_T3_S2_21rocsparse_index_base_PKT1_PKT2_PKS2_S2_S3_PS4_PS7_PS2_
                                        ; -- End function
	.section	.AMDGPU.csdata,"",@progbits
; Kernel info:
; codeLenInByte = 2516
; NumSgprs: 48
; NumVgprs: 37
; NumAgprs: 0
; TotalNumVgprs: 37
; ScratchSize: 0
; MemoryBound: 0
; FloatMode: 240
; IeeeMode: 1
; LDSByteSize: 0 bytes/workgroup (compile time only)
; SGPRBlocks: 5
; VGPRBlocks: 4
; NumSGPRsForWavesPerEU: 48
; NumVGPRsForWavesPerEU: 37
; AccumOffset: 40
; Occupancy: 8
; WaveLimiterHint : 0
; COMPUTE_PGM_RSRC2:SCRATCH_EN: 0
; COMPUTE_PGM_RSRC2:USER_SGPR: 6
; COMPUTE_PGM_RSRC2:TRAP_HANDLER: 0
; COMPUTE_PGM_RSRC2:TGID_X_EN: 1
; COMPUTE_PGM_RSRC2:TGID_Y_EN: 0
; COMPUTE_PGM_RSRC2:TGID_Z_EN: 0
; COMPUTE_PGM_RSRC2:TIDIG_COMP_CNT: 0
; COMPUTE_PGM_RSRC3_GFX90A:ACCUM_OFFSET: 9
; COMPUTE_PGM_RSRC3_GFX90A:TG_SPLIT: 0
	.section	.text._ZN9rocsparseL32bsr2csr_block_per_row_2_7_kernelILj256ELj5EfiiEEv20rocsparse_direction_T3_S2_21rocsparse_index_base_PKT1_PKT2_PKS2_S2_S3_PS4_PS7_PS2_,"axG",@progbits,_ZN9rocsparseL32bsr2csr_block_per_row_2_7_kernelILj256ELj5EfiiEEv20rocsparse_direction_T3_S2_21rocsparse_index_base_PKT1_PKT2_PKS2_S2_S3_PS4_PS7_PS2_,comdat
	.globl	_ZN9rocsparseL32bsr2csr_block_per_row_2_7_kernelILj256ELj5EfiiEEv20rocsparse_direction_T3_S2_21rocsparse_index_base_PKT1_PKT2_PKS2_S2_S3_PS4_PS7_PS2_ ; -- Begin function _ZN9rocsparseL32bsr2csr_block_per_row_2_7_kernelILj256ELj5EfiiEEv20rocsparse_direction_T3_S2_21rocsparse_index_base_PKT1_PKT2_PKS2_S2_S3_PS4_PS7_PS2_
	.p2align	8
	.type	_ZN9rocsparseL32bsr2csr_block_per_row_2_7_kernelILj256ELj5EfiiEEv20rocsparse_direction_T3_S2_21rocsparse_index_base_PKT1_PKT2_PKS2_S2_S3_PS4_PS7_PS2_,@function
_ZN9rocsparseL32bsr2csr_block_per_row_2_7_kernelILj256ELj5EfiiEEv20rocsparse_direction_T3_S2_21rocsparse_index_base_PKT1_PKT2_PKS2_S2_S3_PS4_PS7_PS2_: ; @_ZN9rocsparseL32bsr2csr_block_per_row_2_7_kernelILj256ELj5EfiiEEv20rocsparse_direction_T3_S2_21rocsparse_index_base_PKT1_PKT2_PKS2_S2_S3_PS4_PS7_PS2_
; %bb.0:
	s_load_dwordx2 s[0:1], s[4:5], 0x18
	s_load_dword s15, s[4:5], 0x2c
	s_load_dwordx2 s[2:3], s[4:5], 0x38
	s_ashr_i32 s7, s6, 31
	s_lshl_b64 s[8:9], s[6:7], 2
	s_waitcnt lgkmcnt(0)
	s_add_u32 s8, s0, s8
	v_or_b32_e32 v1, s6, v0
	s_addc_u32 s9, s1, s9
	v_cmp_eq_u32_e32 vcc, 0, v1
	s_and_saveexec_b64 s[0:1], vcc
	s_cbranch_execz .LBB108_2
; %bb.1:
	v_mov_b32_e32 v1, 0
	v_mov_b32_e32 v2, s15
	global_store_dword v1, v2, s[2:3]
.LBB108_2:
	s_or_b64 exec, exec, s[0:1]
	v_and_b32_e32 v4, 7, v0
	v_cmp_gt_u32_e32 vcc, 5, v4
	s_and_saveexec_b64 s[0:1], vcc
	s_cbranch_execz .LBB108_6
; %bb.3:
	s_load_dwordx2 s[0:1], s[8:9], 0x0
	s_load_dword s12, s[4:5], 0xc
	v_lshrrev_b32_e32 v3, 3, v0
	v_mov_b32_e32 v1, 0
	s_waitcnt lgkmcnt(0)
	s_sub_i32 s7, s0, s12
	s_sub_i32 s13, s1, s12
	;; [unrolled: 1-line block ×3, first 2 shown]
	s_mul_i32 s8, s8, 5
	s_mul_i32 s1, s7, 25
	v_mul_lo_u32 v6, s8, v4
	s_add_i32 s8, s8, s15
	s_add_i32 s8, s8, s1
	s_mul_i32 s1, s6, 5
	v_add3_u32 v0, v4, s1, 1
	v_lshlrev_b64 v[8:9], 2, v[0:1]
	v_mov_b32_e32 v0, s3
	v_add_co_u32_e32 v8, vcc, s2, v8
	v_add_u32_e32 v2, s8, v6
	v_addc_co_u32_e32 v9, vcc, v0, v9, vcc
	global_store_dword v[8:9], v2, off
	v_add_u32_e32 v2, s7, v3
	v_cmp_gt_i32_e32 vcc, s13, v2
	s_and_b64 exec, exec, vcc
	s_cbranch_execz .LBB108_6
; %bb.4:
	s_load_dwordx2 s[2:3], s[4:5], 0x20
	s_load_dwordx2 s[6:7], s[4:5], 0x30
	s_load_dword s1, s[4:5], 0x0
	s_load_dwordx2 s[8:9], s[4:5], 0x10
	s_load_dwordx2 s[10:11], s[4:5], 0x40
	v_add_u32_e32 v0, s0, v3
	v_mul_lo_u32 v0, v0, 25
	s_waitcnt lgkmcnt(0)
	s_cmp_eq_u32 s1, 0
	v_mad_u32_u24 v0, v4, 5, v0
	s_mul_i32 s1, s12, 25
	v_subrev_u32_e32 v9, s1, v0
	s_mul_i32 s0, s0, 25
	v_mul_u32_u24_e32 v0, 5, v3
	v_mad_u64_u32 v[4:5], s[4:5], v2, 25, v[4:5]
	v_add3_u32 v0, v6, s0, v0
	s_mov_b32 s14, 0
	s_cselect_b64 vcc, -1, 0
	v_subrev_u32_e32 v6, s1, v0
	s_mov_b64 s[4:5], 0
	v_mov_b32_e32 v5, s3
	v_mov_b32_e32 v8, s15
	v_mov_b32_e32 v10, s11
	v_mov_b32_e32 v11, s9
	v_mov_b32_e32 v12, s7
.LBB108_5:                              ; =>This Inner Loop Header: Depth=1
	v_ashrrev_i32_e32 v3, 31, v2
	v_add_u32_e32 v7, s14, v4
	v_add_u32_e32 v13, s14, v9
	v_lshlrev_b64 v[14:15], 2, v[2:3]
	v_cndmask_b32_e32 v0, v7, v13, vcc
	v_add_co_u32_e64 v14, s[0:1], s2, v14
	v_add_u32_e32 v3, 1, v13
	v_add_u32_e32 v18, 5, v7
	v_addc_co_u32_e64 v15, s[0:1], v5, v15, s[0:1]
	v_lshlrev_b64 v[16:17], 2, v[0:1]
	v_cndmask_b32_e32 v0, v18, v3, vcc
	global_load_dword v3, v[14:15], off
	v_add_co_u32_e64 v14, s[0:1], s8, v16
	v_add_u32_e32 v19, 2, v13
	v_add_u32_e32 v20, 10, v7
	v_addc_co_u32_e64 v15, s[0:1], v11, v17, s[0:1]
	v_lshlrev_b64 v[16:17], 2, v[0:1]
	v_cndmask_b32_e32 v0, v20, v19, vcc
	v_add_co_u32_e64 v18, s[0:1], s8, v16
	v_add_u32_e32 v21, 3, v13
	v_add_u32_e32 v22, 15, v7
	v_addc_co_u32_e64 v19, s[0:1], v11, v17, s[0:1]
	v_lshlrev_b64 v[16:17], 2, v[0:1]
	v_cndmask_b32_e32 v0, v22, v21, vcc
	v_add_co_u32_e64 v20, s[0:1], s8, v16
	v_add_u32_e32 v13, 4, v13
	v_add_u32_e32 v7, 20, v7
	v_addc_co_u32_e64 v21, s[0:1], v11, v17, s[0:1]
	v_lshlrev_b64 v[22:23], 2, v[0:1]
	global_load_dword v14, v[14:15], off
	v_cndmask_b32_e32 v0, v7, v13, vcc
	global_load_dword v15, v[18:19], off
	global_load_dword v16, v[20:21], off
	v_add_co_u32_e64 v18, s[0:1], s8, v22
	v_addc_co_u32_e64 v19, s[0:1], v11, v23, s[0:1]
	v_lshlrev_b64 v[20:21], 2, v[0:1]
	v_add_co_u32_e64 v20, s[0:1], s8, v20
	v_addc_co_u32_e64 v21, s[0:1], v11, v21, s[0:1]
	global_load_dword v17, v[18:19], off
	global_load_dword v0, v[20:21], off
	v_ashrrev_i32_e32 v7, 31, v6
	v_lshlrev_b64 v[18:19], 2, v[6:7]
	v_add_co_u32_e64 v22, s[0:1], s10, v18
	v_addc_co_u32_e64 v23, s[0:1], v10, v19, s[0:1]
	v_add_co_u32_e64 v24, s[0:1], s6, v18
	v_add_u32_e32 v2, 32, v2
	v_addc_co_u32_e64 v25, s[0:1], v12, v19, s[0:1]
	s_addk_i32 s14, 0x320
	v_cmp_le_i32_e64 s[0:1], s13, v2
	s_or_b64 s[4:5], s[0:1], s[4:5]
	v_add_u32_e32 v6, 0xa0, v6
	s_waitcnt vmcnt(5)
	v_subrev_u32_e32 v3, s12, v3
	v_mad_u64_u32 v[18:19], s[0:1], v3, 5, v[8:9]
	v_add_u32_e32 v19, 1, v18
	v_add_u32_e32 v20, 2, v18
	;; [unrolled: 1-line block ×4, first 2 shown]
	global_store_dwordx4 v[22:23], v[18:21], off
	global_store_dword v[22:23], v3, off offset:16
	s_waitcnt vmcnt(3)
	global_store_dwordx4 v[24:25], v[14:17], off
	s_waitcnt vmcnt(3)
	global_store_dword v[24:25], v0, off offset:16
	s_andn2_b64 exec, exec, s[4:5]
	s_cbranch_execnz .LBB108_5
.LBB108_6:
	s_endpgm
	.section	.rodata,"a",@progbits
	.p2align	6, 0x0
	.amdhsa_kernel _ZN9rocsparseL32bsr2csr_block_per_row_2_7_kernelILj256ELj5EfiiEEv20rocsparse_direction_T3_S2_21rocsparse_index_base_PKT1_PKT2_PKS2_S2_S3_PS4_PS7_PS2_
		.amdhsa_group_segment_fixed_size 0
		.amdhsa_private_segment_fixed_size 0
		.amdhsa_kernarg_size 72
		.amdhsa_user_sgpr_count 6
		.amdhsa_user_sgpr_private_segment_buffer 1
		.amdhsa_user_sgpr_dispatch_ptr 0
		.amdhsa_user_sgpr_queue_ptr 0
		.amdhsa_user_sgpr_kernarg_segment_ptr 1
		.amdhsa_user_sgpr_dispatch_id 0
		.amdhsa_user_sgpr_flat_scratch_init 0
		.amdhsa_user_sgpr_kernarg_preload_length 0
		.amdhsa_user_sgpr_kernarg_preload_offset 0
		.amdhsa_user_sgpr_private_segment_size 0
		.amdhsa_uses_dynamic_stack 0
		.amdhsa_system_sgpr_private_segment_wavefront_offset 0
		.amdhsa_system_sgpr_workgroup_id_x 1
		.amdhsa_system_sgpr_workgroup_id_y 0
		.amdhsa_system_sgpr_workgroup_id_z 0
		.amdhsa_system_sgpr_workgroup_info 0
		.amdhsa_system_vgpr_workitem_id 0
		.amdhsa_next_free_vgpr 26
		.amdhsa_next_free_sgpr 16
		.amdhsa_accum_offset 28
		.amdhsa_reserve_vcc 1
		.amdhsa_reserve_flat_scratch 0
		.amdhsa_float_round_mode_32 0
		.amdhsa_float_round_mode_16_64 0
		.amdhsa_float_denorm_mode_32 3
		.amdhsa_float_denorm_mode_16_64 3
		.amdhsa_dx10_clamp 1
		.amdhsa_ieee_mode 1
		.amdhsa_fp16_overflow 0
		.amdhsa_tg_split 0
		.amdhsa_exception_fp_ieee_invalid_op 0
		.amdhsa_exception_fp_denorm_src 0
		.amdhsa_exception_fp_ieee_div_zero 0
		.amdhsa_exception_fp_ieee_overflow 0
		.amdhsa_exception_fp_ieee_underflow 0
		.amdhsa_exception_fp_ieee_inexact 0
		.amdhsa_exception_int_div_zero 0
	.end_amdhsa_kernel
	.section	.text._ZN9rocsparseL32bsr2csr_block_per_row_2_7_kernelILj256ELj5EfiiEEv20rocsparse_direction_T3_S2_21rocsparse_index_base_PKT1_PKT2_PKS2_S2_S3_PS4_PS7_PS2_,"axG",@progbits,_ZN9rocsparseL32bsr2csr_block_per_row_2_7_kernelILj256ELj5EfiiEEv20rocsparse_direction_T3_S2_21rocsparse_index_base_PKT1_PKT2_PKS2_S2_S3_PS4_PS7_PS2_,comdat
.Lfunc_end108:
	.size	_ZN9rocsparseL32bsr2csr_block_per_row_2_7_kernelILj256ELj5EfiiEEv20rocsparse_direction_T3_S2_21rocsparse_index_base_PKT1_PKT2_PKS2_S2_S3_PS4_PS7_PS2_, .Lfunc_end108-_ZN9rocsparseL32bsr2csr_block_per_row_2_7_kernelILj256ELj5EfiiEEv20rocsparse_direction_T3_S2_21rocsparse_index_base_PKT1_PKT2_PKS2_S2_S3_PS4_PS7_PS2_
                                        ; -- End function
	.section	.AMDGPU.csdata,"",@progbits
; Kernel info:
; codeLenInByte = 768
; NumSgprs: 20
; NumVgprs: 26
; NumAgprs: 0
; TotalNumVgprs: 26
; ScratchSize: 0
; MemoryBound: 0
; FloatMode: 240
; IeeeMode: 1
; LDSByteSize: 0 bytes/workgroup (compile time only)
; SGPRBlocks: 2
; VGPRBlocks: 3
; NumSGPRsForWavesPerEU: 20
; NumVGPRsForWavesPerEU: 26
; AccumOffset: 28
; Occupancy: 8
; WaveLimiterHint : 1
; COMPUTE_PGM_RSRC2:SCRATCH_EN: 0
; COMPUTE_PGM_RSRC2:USER_SGPR: 6
; COMPUTE_PGM_RSRC2:TRAP_HANDLER: 0
; COMPUTE_PGM_RSRC2:TGID_X_EN: 1
; COMPUTE_PGM_RSRC2:TGID_Y_EN: 0
; COMPUTE_PGM_RSRC2:TGID_Z_EN: 0
; COMPUTE_PGM_RSRC2:TIDIG_COMP_CNT: 0
; COMPUTE_PGM_RSRC3_GFX90A:ACCUM_OFFSET: 6
; COMPUTE_PGM_RSRC3_GFX90A:TG_SPLIT: 0
	.section	.text._ZN9rocsparseL32bsr2csr_block_per_row_2_7_kernelILj256ELj6EfiiEEv20rocsparse_direction_T3_S2_21rocsparse_index_base_PKT1_PKT2_PKS2_S2_S3_PS4_PS7_PS2_,"axG",@progbits,_ZN9rocsparseL32bsr2csr_block_per_row_2_7_kernelILj256ELj6EfiiEEv20rocsparse_direction_T3_S2_21rocsparse_index_base_PKT1_PKT2_PKS2_S2_S3_PS4_PS7_PS2_,comdat
	.globl	_ZN9rocsparseL32bsr2csr_block_per_row_2_7_kernelILj256ELj6EfiiEEv20rocsparse_direction_T3_S2_21rocsparse_index_base_PKT1_PKT2_PKS2_S2_S3_PS4_PS7_PS2_ ; -- Begin function _ZN9rocsparseL32bsr2csr_block_per_row_2_7_kernelILj256ELj6EfiiEEv20rocsparse_direction_T3_S2_21rocsparse_index_base_PKT1_PKT2_PKS2_S2_S3_PS4_PS7_PS2_
	.p2align	8
	.type	_ZN9rocsparseL32bsr2csr_block_per_row_2_7_kernelILj256ELj6EfiiEEv20rocsparse_direction_T3_S2_21rocsparse_index_base_PKT1_PKT2_PKS2_S2_S3_PS4_PS7_PS2_,@function
_ZN9rocsparseL32bsr2csr_block_per_row_2_7_kernelILj256ELj6EfiiEEv20rocsparse_direction_T3_S2_21rocsparse_index_base_PKT1_PKT2_PKS2_S2_S3_PS4_PS7_PS2_: ; @_ZN9rocsparseL32bsr2csr_block_per_row_2_7_kernelILj256ELj6EfiiEEv20rocsparse_direction_T3_S2_21rocsparse_index_base_PKT1_PKT2_PKS2_S2_S3_PS4_PS7_PS2_
; %bb.0:
	s_load_dwordx2 s[2:3], s[4:5], 0x18
	s_load_dword s15, s[4:5], 0x2c
	s_load_dwordx2 s[0:1], s[4:5], 0x38
	s_ashr_i32 s7, s6, 31
	s_lshl_b64 s[8:9], s[6:7], 2
	s_waitcnt lgkmcnt(0)
	s_add_u32 s2, s2, s8
	v_or_b32_e32 v1, s6, v0
	s_addc_u32 s3, s3, s9
	v_cmp_eq_u32_e32 vcc, 0, v1
	s_and_saveexec_b64 s[8:9], vcc
	s_cbranch_execz .LBB109_2
; %bb.1:
	v_mov_b32_e32 v1, 0
	v_mov_b32_e32 v2, s15
	global_store_dword v1, v2, s[0:1]
.LBB109_2:
	s_or_b64 exec, exec, s[8:9]
	v_and_b32_e32 v4, 7, v0
	v_cmp_gt_u32_e32 vcc, 6, v4
	s_and_saveexec_b64 s[8:9], vcc
	s_cbranch_execz .LBB109_6
; %bb.3:
	s_load_dwordx2 s[12:13], s[2:3], 0x0
	s_load_dword s14, s[4:5], 0xc
	v_lshrrev_b32_e32 v3, 3, v0
	v_mov_b32_e32 v1, 0
	s_waitcnt lgkmcnt(0)
	s_sub_i32 s2, s12, s14
	s_sub_i32 s13, s13, s14
	;; [unrolled: 1-line block ×3, first 2 shown]
	s_mul_i32 s7, s7, 6
	s_mul_i32 s3, s2, 36
	v_mul_lo_u32 v6, s7, v4
	s_add_i32 s7, s7, s15
	s_add_i32 s7, s7, s3
	s_mul_i32 s3, s6, 6
	v_add3_u32 v0, v4, s3, 1
	v_lshlrev_b64 v[8:9], 2, v[0:1]
	v_mov_b32_e32 v0, s1
	v_add_co_u32_e32 v8, vcc, s0, v8
	v_add_u32_e32 v2, s7, v6
	v_addc_co_u32_e32 v9, vcc, v0, v9, vcc
	global_store_dword v[8:9], v2, off
	v_add_u32_e32 v2, s2, v3
	v_cmp_gt_i32_e32 vcc, s13, v2
	s_and_b64 exec, exec, vcc
	s_cbranch_execz .LBB109_6
; %bb.4:
	s_load_dwordx2 s[2:3], s[4:5], 0x20
	s_load_dwordx2 s[6:7], s[4:5], 0x30
	s_load_dword s0, s[4:5], 0x0
	s_load_dwordx2 s[8:9], s[4:5], 0x10
	s_load_dwordx2 s[10:11], s[4:5], 0x40
	v_mul_u32_u24_e32 v9, 5, v4
	v_mul_u32_u24_e32 v0, 6, v3
	s_waitcnt lgkmcnt(0)
	s_cmp_eq_u32 s0, 0
	v_mad_u64_u32 v[4:5], s[0:1], v2, 36, v[4:5]
	s_mul_i32 s0, s12, 36
	v_add3_u32 v0, v6, s0, v0
	s_mul_i32 s0, s14, 36
	s_cselect_b64 vcc, -1, 0
	v_subrev_u32_e32 v6, s0, v0
	s_mov_b64 s[4:5], 0
	v_mov_b32_e32 v5, s3
	v_mov_b32_e32 v8, s15
	;; [unrolled: 1-line block ×5, first 2 shown]
.LBB109_5:                              ; =>This Inner Loop Header: Depth=1
	v_ashrrev_i32_e32 v3, 31, v2
	v_add_u32_e32 v7, v9, v4
	v_lshlrev_b64 v[14:15], 2, v[2:3]
	v_cndmask_b32_e32 v0, v4, v7, vcc
	v_add_co_u32_e64 v14, s[0:1], s2, v14
	v_add_u32_e32 v13, 6, v4
	v_add_u32_e32 v3, 1, v7
	v_addc_co_u32_e64 v15, s[0:1], v5, v15, s[0:1]
	v_lshlrev_b64 v[16:17], 2, v[0:1]
	v_cndmask_b32_e32 v0, v13, v3, vcc
	v_add_co_u32_e64 v16, s[0:1], s8, v16
	v_add_u32_e32 v18, 12, v4
	v_add_u32_e32 v19, 2, v7
	global_load_dword v3, v[14:15], off
	v_addc_co_u32_e64 v17, s[0:1], v11, v17, s[0:1]
	v_lshlrev_b64 v[14:15], 2, v[0:1]
	v_cndmask_b32_e32 v0, v18, v19, vcc
	v_add_co_u32_e64 v18, s[0:1], s8, v14
	v_add_u32_e32 v22, 18, v4
	v_add_u32_e32 v25, 3, v7
	v_addc_co_u32_e64 v19, s[0:1], v11, v15, s[0:1]
	v_lshlrev_b64 v[20:21], 2, v[0:1]
	v_cndmask_b32_e32 v0, v22, v25, vcc
	global_load_dword v14, v[16:17], off
	global_load_dword v15, v[18:19], off
	v_add_co_u32_e64 v18, s[0:1], s8, v20
	v_add_u32_e32 v23, 24, v4
	v_add_u32_e32 v26, 4, v7
	v_addc_co_u32_e64 v19, s[0:1], v11, v21, s[0:1]
	v_lshlrev_b64 v[16:17], 2, v[0:1]
	v_cndmask_b32_e32 v0, v23, v26, vcc
	v_add_co_u32_e64 v20, s[0:1], s8, v16
	v_add_u32_e32 v24, 30, v4
	v_add_u32_e32 v7, 5, v7
	v_addc_co_u32_e64 v21, s[0:1], v11, v17, s[0:1]
	v_lshlrev_b64 v[22:23], 2, v[0:1]
	v_cndmask_b32_e32 v0, v24, v7, vcc
	global_load_dword v16, v[18:19], off
	global_load_dword v17, v[20:21], off
	v_add_co_u32_e64 v18, s[0:1], s8, v22
	v_addc_co_u32_e64 v19, s[0:1], v11, v23, s[0:1]
	v_lshlrev_b64 v[20:21], 2, v[0:1]
	v_add_co_u32_e64 v20, s[0:1], s8, v20
	v_addc_co_u32_e64 v21, s[0:1], v11, v21, s[0:1]
	global_load_dword v22, v[18:19], off
	global_load_dword v23, v[20:21], off
	v_ashrrev_i32_e32 v7, 31, v6
	v_lshlrev_b64 v[18:19], 2, v[6:7]
	v_add_co_u32_e64 v24, s[0:1], s10, v18
	v_addc_co_u32_e64 v25, s[0:1], v10, v19, s[0:1]
	v_add_co_u32_e64 v26, s[0:1], s6, v18
	v_add_u32_e32 v2, 32, v2
	v_addc_co_u32_e64 v27, s[0:1], v12, v19, s[0:1]
	v_cmp_le_i32_e64 s[0:1], s13, v2
	s_or_b64 s[4:5], s[0:1], s[4:5]
	v_add_u32_e32 v4, 0x480, v4
	v_add_u32_e32 v6, 0xc0, v6
	s_waitcnt vmcnt(6)
	v_subrev_u32_e32 v0, s14, v3
	v_mad_u64_u32 v[18:19], s[0:1], v0, 6, v[8:9]
	v_add_u32_e32 v19, 1, v18
	v_add_u32_e32 v20, 2, v18
	;; [unrolled: 1-line block ×5, first 2 shown]
	global_store_dwordx4 v[24:25], v[18:21], off
	global_store_dwordx2 v[24:25], v[28:29], off offset:16
	s_waitcnt vmcnt(4)
	global_store_dwordx4 v[26:27], v[14:17], off
	s_waitcnt vmcnt(3)
	global_store_dwordx2 v[26:27], v[22:23], off offset:16
	s_andn2_b64 exec, exec, s[4:5]
	s_cbranch_execnz .LBB109_5
.LBB109_6:
	s_endpgm
	.section	.rodata,"a",@progbits
	.p2align	6, 0x0
	.amdhsa_kernel _ZN9rocsparseL32bsr2csr_block_per_row_2_7_kernelILj256ELj6EfiiEEv20rocsparse_direction_T3_S2_21rocsparse_index_base_PKT1_PKT2_PKS2_S2_S3_PS4_PS7_PS2_
		.amdhsa_group_segment_fixed_size 0
		.amdhsa_private_segment_fixed_size 0
		.amdhsa_kernarg_size 72
		.amdhsa_user_sgpr_count 6
		.amdhsa_user_sgpr_private_segment_buffer 1
		.amdhsa_user_sgpr_dispatch_ptr 0
		.amdhsa_user_sgpr_queue_ptr 0
		.amdhsa_user_sgpr_kernarg_segment_ptr 1
		.amdhsa_user_sgpr_dispatch_id 0
		.amdhsa_user_sgpr_flat_scratch_init 0
		.amdhsa_user_sgpr_kernarg_preload_length 0
		.amdhsa_user_sgpr_kernarg_preload_offset 0
		.amdhsa_user_sgpr_private_segment_size 0
		.amdhsa_uses_dynamic_stack 0
		.amdhsa_system_sgpr_private_segment_wavefront_offset 0
		.amdhsa_system_sgpr_workgroup_id_x 1
		.amdhsa_system_sgpr_workgroup_id_y 0
		.amdhsa_system_sgpr_workgroup_id_z 0
		.amdhsa_system_sgpr_workgroup_info 0
		.amdhsa_system_vgpr_workitem_id 0
		.amdhsa_next_free_vgpr 30
		.amdhsa_next_free_sgpr 16
		.amdhsa_accum_offset 32
		.amdhsa_reserve_vcc 1
		.amdhsa_reserve_flat_scratch 0
		.amdhsa_float_round_mode_32 0
		.amdhsa_float_round_mode_16_64 0
		.amdhsa_float_denorm_mode_32 3
		.amdhsa_float_denorm_mode_16_64 3
		.amdhsa_dx10_clamp 1
		.amdhsa_ieee_mode 1
		.amdhsa_fp16_overflow 0
		.amdhsa_tg_split 0
		.amdhsa_exception_fp_ieee_invalid_op 0
		.amdhsa_exception_fp_denorm_src 0
		.amdhsa_exception_fp_ieee_div_zero 0
		.amdhsa_exception_fp_ieee_overflow 0
		.amdhsa_exception_fp_ieee_underflow 0
		.amdhsa_exception_fp_ieee_inexact 0
		.amdhsa_exception_int_div_zero 0
	.end_amdhsa_kernel
	.section	.text._ZN9rocsparseL32bsr2csr_block_per_row_2_7_kernelILj256ELj6EfiiEEv20rocsparse_direction_T3_S2_21rocsparse_index_base_PKT1_PKT2_PKS2_S2_S3_PS4_PS7_PS2_,"axG",@progbits,_ZN9rocsparseL32bsr2csr_block_per_row_2_7_kernelILj256ELj6EfiiEEv20rocsparse_direction_T3_S2_21rocsparse_index_base_PKT1_PKT2_PKS2_S2_S3_PS4_PS7_PS2_,comdat
.Lfunc_end109:
	.size	_ZN9rocsparseL32bsr2csr_block_per_row_2_7_kernelILj256ELj6EfiiEEv20rocsparse_direction_T3_S2_21rocsparse_index_base_PKT1_PKT2_PKS2_S2_S3_PS4_PS7_PS2_, .Lfunc_end109-_ZN9rocsparseL32bsr2csr_block_per_row_2_7_kernelILj256ELj6EfiiEEv20rocsparse_direction_T3_S2_21rocsparse_index_base_PKT1_PKT2_PKS2_S2_S3_PS4_PS7_PS2_
                                        ; -- End function
	.section	.AMDGPU.csdata,"",@progbits
; Kernel info:
; codeLenInByte = 792
; NumSgprs: 20
; NumVgprs: 30
; NumAgprs: 0
; TotalNumVgprs: 30
; ScratchSize: 0
; MemoryBound: 0
; FloatMode: 240
; IeeeMode: 1
; LDSByteSize: 0 bytes/workgroup (compile time only)
; SGPRBlocks: 2
; VGPRBlocks: 3
; NumSGPRsForWavesPerEU: 20
; NumVGPRsForWavesPerEU: 30
; AccumOffset: 32
; Occupancy: 8
; WaveLimiterHint : 0
; COMPUTE_PGM_RSRC2:SCRATCH_EN: 0
; COMPUTE_PGM_RSRC2:USER_SGPR: 6
; COMPUTE_PGM_RSRC2:TRAP_HANDLER: 0
; COMPUTE_PGM_RSRC2:TGID_X_EN: 1
; COMPUTE_PGM_RSRC2:TGID_Y_EN: 0
; COMPUTE_PGM_RSRC2:TGID_Z_EN: 0
; COMPUTE_PGM_RSRC2:TIDIG_COMP_CNT: 0
; COMPUTE_PGM_RSRC3_GFX90A:ACCUM_OFFSET: 7
; COMPUTE_PGM_RSRC3_GFX90A:TG_SPLIT: 0
	.section	.text._ZN9rocsparseL32bsr2csr_block_per_row_2_7_kernelILj256ELj7EfiiEEv20rocsparse_direction_T3_S2_21rocsparse_index_base_PKT1_PKT2_PKS2_S2_S3_PS4_PS7_PS2_,"axG",@progbits,_ZN9rocsparseL32bsr2csr_block_per_row_2_7_kernelILj256ELj7EfiiEEv20rocsparse_direction_T3_S2_21rocsparse_index_base_PKT1_PKT2_PKS2_S2_S3_PS4_PS7_PS2_,comdat
	.globl	_ZN9rocsparseL32bsr2csr_block_per_row_2_7_kernelILj256ELj7EfiiEEv20rocsparse_direction_T3_S2_21rocsparse_index_base_PKT1_PKT2_PKS2_S2_S3_PS4_PS7_PS2_ ; -- Begin function _ZN9rocsparseL32bsr2csr_block_per_row_2_7_kernelILj256ELj7EfiiEEv20rocsparse_direction_T3_S2_21rocsparse_index_base_PKT1_PKT2_PKS2_S2_S3_PS4_PS7_PS2_
	.p2align	8
	.type	_ZN9rocsparseL32bsr2csr_block_per_row_2_7_kernelILj256ELj7EfiiEEv20rocsparse_direction_T3_S2_21rocsparse_index_base_PKT1_PKT2_PKS2_S2_S3_PS4_PS7_PS2_,@function
_ZN9rocsparseL32bsr2csr_block_per_row_2_7_kernelILj256ELj7EfiiEEv20rocsparse_direction_T3_S2_21rocsparse_index_base_PKT1_PKT2_PKS2_S2_S3_PS4_PS7_PS2_: ; @_ZN9rocsparseL32bsr2csr_block_per_row_2_7_kernelILj256ELj7EfiiEEv20rocsparse_direction_T3_S2_21rocsparse_index_base_PKT1_PKT2_PKS2_S2_S3_PS4_PS7_PS2_
; %bb.0:
	s_load_dwordx2 s[2:3], s[4:5], 0x18
	s_load_dword s15, s[4:5], 0x2c
	s_load_dwordx2 s[0:1], s[4:5], 0x38
	s_ashr_i32 s7, s6, 31
	s_lshl_b64 s[8:9], s[6:7], 2
	s_waitcnt lgkmcnt(0)
	s_add_u32 s2, s2, s8
	v_or_b32_e32 v1, s6, v0
	s_addc_u32 s3, s3, s9
	v_cmp_eq_u32_e32 vcc, 0, v1
	s_and_saveexec_b64 s[8:9], vcc
	s_cbranch_execz .LBB110_2
; %bb.1:
	v_mov_b32_e32 v1, 0
	v_mov_b32_e32 v2, s15
	global_store_dword v1, v2, s[0:1]
.LBB110_2:
	s_or_b64 exec, exec, s[8:9]
	v_and_b32_e32 v4, 7, v0
	v_cmp_ne_u32_e32 vcc, 7, v4
	s_and_saveexec_b64 s[8:9], vcc
	s_cbranch_execz .LBB110_6
; %bb.3:
	s_load_dwordx2 s[12:13], s[2:3], 0x0
	s_load_dword s14, s[4:5], 0xc
	v_lshrrev_b32_e32 v3, 3, v0
	v_mov_b32_e32 v1, 0
	s_waitcnt lgkmcnt(0)
	s_sub_i32 s2, s12, s14
	s_sub_i32 s13, s13, s14
	;; [unrolled: 1-line block ×3, first 2 shown]
	s_mul_i32 s7, s7, 7
	s_mul_i32 s3, s2, 49
	v_mul_lo_u32 v6, s7, v4
	s_add_i32 s7, s7, s15
	s_add_i32 s7, s7, s3
	s_mul_i32 s3, s6, 7
	v_add3_u32 v0, v4, s3, 1
	v_lshlrev_b64 v[8:9], 2, v[0:1]
	v_mov_b32_e32 v0, s1
	v_add_co_u32_e32 v8, vcc, s0, v8
	v_add_u32_e32 v2, s7, v6
	v_addc_co_u32_e32 v9, vcc, v0, v9, vcc
	global_store_dword v[8:9], v2, off
	v_add_u32_e32 v2, s2, v3
	v_cmp_gt_i32_e32 vcc, s13, v2
	s_and_b64 exec, exec, vcc
	s_cbranch_execz .LBB110_6
; %bb.4:
	s_load_dwordx2 s[2:3], s[4:5], 0x20
	s_load_dwordx2 s[6:7], s[4:5], 0x30
	s_load_dword s0, s[4:5], 0x0
	s_load_dwordx2 s[8:9], s[4:5], 0x10
	s_load_dwordx2 s[10:11], s[4:5], 0x40
	v_mul_u32_u24_e32 v9, 6, v4
	v_mul_u32_u24_e32 v0, 7, v3
	s_waitcnt lgkmcnt(0)
	s_cmp_eq_u32 s0, 0
	v_mad_u64_u32 v[4:5], s[0:1], v2, 49, v[4:5]
	s_mul_i32 s0, s12, 49
	v_add3_u32 v0, v6, s0, v0
	s_mul_i32 s0, s14, 49
	s_cselect_b64 vcc, -1, 0
	v_subrev_u32_e32 v6, s0, v0
	s_mov_b64 s[4:5], 0
	v_mov_b32_e32 v5, s3
	v_mov_b32_e32 v8, s15
	;; [unrolled: 1-line block ×5, first 2 shown]
.LBB110_5:                              ; =>This Inner Loop Header: Depth=1
	v_ashrrev_i32_e32 v3, 31, v2
	v_add_u32_e32 v7, v9, v4
	v_lshlrev_b64 v[14:15], 2, v[2:3]
	v_cndmask_b32_e32 v0, v4, v7, vcc
	v_add_co_u32_e64 v14, s[0:1], s2, v14
	v_add_u32_e32 v13, 7, v4
	v_add_u32_e32 v3, 1, v7
	v_addc_co_u32_e64 v15, s[0:1], v5, v15, s[0:1]
	v_lshlrev_b64 v[16:17], 2, v[0:1]
	v_cndmask_b32_e32 v0, v13, v3, vcc
	global_load_dword v3, v[14:15], off
	v_add_co_u32_e64 v14, s[0:1], s8, v16
	v_add_u32_e32 v18, 14, v4
	v_add_u32_e32 v19, 2, v7
	v_addc_co_u32_e64 v15, s[0:1], v11, v17, s[0:1]
	v_lshlrev_b64 v[16:17], 2, v[0:1]
	v_cndmask_b32_e32 v0, v18, v19, vcc
	v_add_co_u32_e64 v18, s[0:1], s8, v16
	v_add_u32_e32 v20, 21, v4
	v_add_u32_e32 v21, 3, v7
	v_addc_co_u32_e64 v19, s[0:1], v11, v17, s[0:1]
	v_lshlrev_b64 v[16:17], 2, v[0:1]
	v_cndmask_b32_e32 v0, v20, v21, vcc
	v_add_co_u32_e64 v20, s[0:1], s8, v16
	v_add_u32_e32 v24, 28, v4
	v_add_u32_e32 v27, 4, v7
	v_addc_co_u32_e64 v21, s[0:1], v11, v17, s[0:1]
	v_lshlrev_b64 v[22:23], 2, v[0:1]
	global_load_dword v14, v[14:15], off
	v_cndmask_b32_e32 v0, v24, v27, vcc
	global_load_dword v15, v[18:19], off
	global_load_dword v16, v[20:21], off
	v_add_co_u32_e64 v18, s[0:1], s8, v22
	v_add_u32_e32 v25, 35, v4
	v_add_u32_e32 v28, 5, v7
	v_addc_co_u32_e64 v19, s[0:1], v11, v23, s[0:1]
	v_lshlrev_b64 v[20:21], 2, v[0:1]
	v_cndmask_b32_e32 v0, v25, v28, vcc
	v_add_co_u32_e64 v20, s[0:1], s8, v20
	v_add_u32_e32 v26, 42, v4
	v_add_u32_e32 v7, 6, v7
	v_addc_co_u32_e64 v21, s[0:1], v11, v21, s[0:1]
	v_lshlrev_b64 v[24:25], 2, v[0:1]
	v_cndmask_b32_e32 v0, v26, v7, vcc
	global_load_dword v17, v[18:19], off
	global_load_dword v22, v[20:21], off
	v_add_co_u32_e64 v18, s[0:1], s8, v24
	v_addc_co_u32_e64 v19, s[0:1], v11, v25, s[0:1]
	v_lshlrev_b64 v[20:21], 2, v[0:1]
	v_add_co_u32_e64 v20, s[0:1], s8, v20
	v_addc_co_u32_e64 v21, s[0:1], v11, v21, s[0:1]
	global_load_dword v23, v[18:19], off
	global_load_dword v24, v[20:21], off
	v_ashrrev_i32_e32 v7, 31, v6
	v_lshlrev_b64 v[18:19], 2, v[6:7]
	v_add_co_u32_e64 v30, s[0:1], s10, v18
	v_addc_co_u32_e64 v31, s[0:1], v10, v19, s[0:1]
	v_add_co_u32_e64 v32, s[0:1], s6, v18
	v_add_u32_e32 v2, 32, v2
	v_addc_co_u32_e64 v33, s[0:1], v12, v19, s[0:1]
	v_cmp_le_i32_e64 s[0:1], s13, v2
	s_or_b64 s[4:5], s[0:1], s[4:5]
	v_add_u32_e32 v4, 0x620, v4
	v_add_u32_e32 v6, 0xe0, v6
	s_waitcnt vmcnt(7)
	v_subrev_u32_e32 v0, s14, v3
	v_mad_u64_u32 v[18:19], s[0:1], v0, 7, v[8:9]
	v_add_u32_e32 v19, 1, v18
	v_add_u32_e32 v20, 2, v18
	;; [unrolled: 1-line block ×6, first 2 shown]
	global_store_dwordx4 v[30:31], v[18:21], off
	global_store_dwordx3 v[30:31], v[26:28], off offset:16
	s_waitcnt vmcnt(5)
	global_store_dwordx4 v[32:33], v[14:17], off
	s_waitcnt vmcnt(3)
	global_store_dwordx3 v[32:33], v[22:24], off offset:16
	s_andn2_b64 exec, exec, s[4:5]
	s_cbranch_execnz .LBB110_5
.LBB110_6:
	s_endpgm
	.section	.rodata,"a",@progbits
	.p2align	6, 0x0
	.amdhsa_kernel _ZN9rocsparseL32bsr2csr_block_per_row_2_7_kernelILj256ELj7EfiiEEv20rocsparse_direction_T3_S2_21rocsparse_index_base_PKT1_PKT2_PKS2_S2_S3_PS4_PS7_PS2_
		.amdhsa_group_segment_fixed_size 0
		.amdhsa_private_segment_fixed_size 0
		.amdhsa_kernarg_size 72
		.amdhsa_user_sgpr_count 6
		.amdhsa_user_sgpr_private_segment_buffer 1
		.amdhsa_user_sgpr_dispatch_ptr 0
		.amdhsa_user_sgpr_queue_ptr 0
		.amdhsa_user_sgpr_kernarg_segment_ptr 1
		.amdhsa_user_sgpr_dispatch_id 0
		.amdhsa_user_sgpr_flat_scratch_init 0
		.amdhsa_user_sgpr_kernarg_preload_length 0
		.amdhsa_user_sgpr_kernarg_preload_offset 0
		.amdhsa_user_sgpr_private_segment_size 0
		.amdhsa_uses_dynamic_stack 0
		.amdhsa_system_sgpr_private_segment_wavefront_offset 0
		.amdhsa_system_sgpr_workgroup_id_x 1
		.amdhsa_system_sgpr_workgroup_id_y 0
		.amdhsa_system_sgpr_workgroup_id_z 0
		.amdhsa_system_sgpr_workgroup_info 0
		.amdhsa_system_vgpr_workitem_id 0
		.amdhsa_next_free_vgpr 34
		.amdhsa_next_free_sgpr 16
		.amdhsa_accum_offset 36
		.amdhsa_reserve_vcc 1
		.amdhsa_reserve_flat_scratch 0
		.amdhsa_float_round_mode_32 0
		.amdhsa_float_round_mode_16_64 0
		.amdhsa_float_denorm_mode_32 3
		.amdhsa_float_denorm_mode_16_64 3
		.amdhsa_dx10_clamp 1
		.amdhsa_ieee_mode 1
		.amdhsa_fp16_overflow 0
		.amdhsa_tg_split 0
		.amdhsa_exception_fp_ieee_invalid_op 0
		.amdhsa_exception_fp_denorm_src 0
		.amdhsa_exception_fp_ieee_div_zero 0
		.amdhsa_exception_fp_ieee_overflow 0
		.amdhsa_exception_fp_ieee_underflow 0
		.amdhsa_exception_fp_ieee_inexact 0
		.amdhsa_exception_int_div_zero 0
	.end_amdhsa_kernel
	.section	.text._ZN9rocsparseL32bsr2csr_block_per_row_2_7_kernelILj256ELj7EfiiEEv20rocsparse_direction_T3_S2_21rocsparse_index_base_PKT1_PKT2_PKS2_S2_S3_PS4_PS7_PS2_,"axG",@progbits,_ZN9rocsparseL32bsr2csr_block_per_row_2_7_kernelILj256ELj7EfiiEEv20rocsparse_direction_T3_S2_21rocsparse_index_base_PKT1_PKT2_PKS2_S2_S3_PS4_PS7_PS2_,comdat
.Lfunc_end110:
	.size	_ZN9rocsparseL32bsr2csr_block_per_row_2_7_kernelILj256ELj7EfiiEEv20rocsparse_direction_T3_S2_21rocsparse_index_base_PKT1_PKT2_PKS2_S2_S3_PS4_PS7_PS2_, .Lfunc_end110-_ZN9rocsparseL32bsr2csr_block_per_row_2_7_kernelILj256ELj7EfiiEEv20rocsparse_direction_T3_S2_21rocsparse_index_base_PKT1_PKT2_PKS2_S2_S3_PS4_PS7_PS2_
                                        ; -- End function
	.section	.AMDGPU.csdata,"",@progbits
; Kernel info:
; codeLenInByte = 840
; NumSgprs: 20
; NumVgprs: 34
; NumAgprs: 0
; TotalNumVgprs: 34
; ScratchSize: 0
; MemoryBound: 0
; FloatMode: 240
; IeeeMode: 1
; LDSByteSize: 0 bytes/workgroup (compile time only)
; SGPRBlocks: 2
; VGPRBlocks: 4
; NumSGPRsForWavesPerEU: 20
; NumVGPRsForWavesPerEU: 34
; AccumOffset: 36
; Occupancy: 8
; WaveLimiterHint : 0
; COMPUTE_PGM_RSRC2:SCRATCH_EN: 0
; COMPUTE_PGM_RSRC2:USER_SGPR: 6
; COMPUTE_PGM_RSRC2:TRAP_HANDLER: 0
; COMPUTE_PGM_RSRC2:TGID_X_EN: 1
; COMPUTE_PGM_RSRC2:TGID_Y_EN: 0
; COMPUTE_PGM_RSRC2:TGID_Z_EN: 0
; COMPUTE_PGM_RSRC2:TIDIG_COMP_CNT: 0
; COMPUTE_PGM_RSRC3_GFX90A:ACCUM_OFFSET: 8
; COMPUTE_PGM_RSRC3_GFX90A:TG_SPLIT: 0
	.section	.text._ZN9rocsparseL33bsr2csr_block_per_row_8_32_kernelILj1024ELj8EfiiEEv20rocsparse_direction_T3_S2_21rocsparse_index_base_PKT1_PKT2_PKS2_S2_S3_PS4_PS7_PS2_,"axG",@progbits,_ZN9rocsparseL33bsr2csr_block_per_row_8_32_kernelILj1024ELj8EfiiEEv20rocsparse_direction_T3_S2_21rocsparse_index_base_PKT1_PKT2_PKS2_S2_S3_PS4_PS7_PS2_,comdat
	.globl	_ZN9rocsparseL33bsr2csr_block_per_row_8_32_kernelILj1024ELj8EfiiEEv20rocsparse_direction_T3_S2_21rocsparse_index_base_PKT1_PKT2_PKS2_S2_S3_PS4_PS7_PS2_ ; -- Begin function _ZN9rocsparseL33bsr2csr_block_per_row_8_32_kernelILj1024ELj8EfiiEEv20rocsparse_direction_T3_S2_21rocsparse_index_base_PKT1_PKT2_PKS2_S2_S3_PS4_PS7_PS2_
	.p2align	8
	.type	_ZN9rocsparseL33bsr2csr_block_per_row_8_32_kernelILj1024ELj8EfiiEEv20rocsparse_direction_T3_S2_21rocsparse_index_base_PKT1_PKT2_PKS2_S2_S3_PS4_PS7_PS2_,@function
_ZN9rocsparseL33bsr2csr_block_per_row_8_32_kernelILj1024ELj8EfiiEEv20rocsparse_direction_T3_S2_21rocsparse_index_base_PKT1_PKT2_PKS2_S2_S3_PS4_PS7_PS2_: ; @_ZN9rocsparseL33bsr2csr_block_per_row_8_32_kernelILj1024ELj8EfiiEEv20rocsparse_direction_T3_S2_21rocsparse_index_base_PKT1_PKT2_PKS2_S2_S3_PS4_PS7_PS2_
; %bb.0:
	s_load_dwordx2 s[2:3], s[4:5], 0x18
	s_load_dwordx2 s[8:9], s[4:5], 0x28
	;; [unrolled: 1-line block ×3, first 2 shown]
	s_ashr_i32 s7, s6, 31
	s_lshl_b64 s[10:11], s[6:7], 2
	s_waitcnt lgkmcnt(0)
	s_add_u32 s2, s2, s10
	v_or_b32_e32 v1, s6, v0
	s_addc_u32 s3, s3, s11
	v_cmp_eq_u32_e32 vcc, 0, v1
	s_and_saveexec_b64 s[10:11], vcc
	s_cbranch_execz .LBB111_2
; %bb.1:
	v_mov_b32_e32 v1, 0
	v_mov_b32_e32 v2, s9
	global_store_dword v1, v2, s[0:1]
.LBB111_2:
	s_or_b64 exec, exec, s[10:11]
	v_and_b32_e32 v4, 7, v0
	v_bfe_u32 v10, v0, 3, 3
	v_max_i32_e32 v1, v10, v4
	v_cmp_gt_i32_e32 vcc, s8, v1
	s_and_saveexec_b64 s[10:11], vcc
	s_cbranch_execz .LBB111_15
; %bb.3:
	s_load_dwordx2 s[18:19], s[2:3], 0x0
	s_load_dword s22, s[4:5], 0xc
	s_mul_i32 s23, s8, s8
	v_lshrrev_b32_e32 v5, 6, v0
	v_mov_b32_e32 v6, s1
	s_waitcnt lgkmcnt(0)
	s_sub_i32 s24, s18, s22
	s_sub_i32 s19, s19, s22
	;; [unrolled: 1-line block ×3, first 2 shown]
	s_mul_i32 s3, s7, s8
	s_mul_i32 s2, s24, s23
	v_mul_lo_u32 v0, s3, v10
	v_add_u32_e32 v1, s2, v0
	s_mul_i32 s2, s6, s8
	v_add_u32_e32 v2, s2, v10
	v_ashrrev_i32_e32 v3, 31, v2
	v_lshlrev_b64 v[2:3], 2, v[2:3]
	s_add_i32 s3, s3, s9
	v_add_co_u32_e32 v2, vcc, s0, v2
	v_add_u32_e32 v0, s3, v1
	v_addc_co_u32_e32 v3, vcc, v6, v3, vcc
	global_store_dword v[2:3], v0, off offset:4
	v_add_u32_e32 v0, s24, v5
	v_cmp_gt_i32_e32 vcc, s19, v0
	s_and_b64 exec, exec, vcc
	s_cbranch_execz .LBB111_15
; %bb.4:
	s_load_dwordx2 s[10:11], s[4:5], 0x20
	s_load_dwordx2 s[12:13], s[4:5], 0x30
	s_load_dword s0, s[4:5], 0x0
	s_load_dwordx2 s[14:15], s[4:5], 0x10
	s_load_dwordx2 s[16:17], s[4:5], 0x40
	v_add_u32_e32 v3, s18, v5
	v_subrev_u32_e32 v3, s22, v3
	s_waitcnt lgkmcnt(0)
	s_cmp_eq_u32 s0, 0
	v_mad_u64_u32 v[6:7], s[0:1], v4, s8, v[10:11]
	v_mad_u64_u32 v[8:9], s[0:1], v10, s8, v[4:5]
	s_cselect_b64 vcc, -1, 0
	v_add_u32_e32 v3, 16, v3
	s_not_b32 s0, s18
	v_max_i32_e32 v3, s19, v3
	s_add_i32 s0, s0, s22
	v_add_u32_e32 v3, s0, v3
	v_sub_u32_e32 v9, v3, v5
	s_movk_i32 s0, 0x18f
	v_add_u32_e32 v2, s9, v4
	v_cmp_lt_u32_e64 s[0:1], s0, v9
	s_mov_b64 s[2:3], 0
	v_mul_lo_u32 v3, s7, v10
                                        ; implicit-def: $sgpr25
                                        ; implicit-def: $sgpr9
	s_and_saveexec_b64 s[4:5], s[0:1]
	s_xor_b64 s[20:21], exec, s[4:5]
	s_cbranch_execz .LBB111_10
; %bb.5:
	v_and_b32_e32 v3, -16, v9
	v_add_u32_e32 v3, v0, v3
	v_cmp_ge_i32_e64 s[0:1], v3, v0
	s_lshl_b32 s9, s8, 4
	s_mul_i32 s25, s24, s8
	v_mul_lo_u32 v3, s7, v10
	s_sub_i32 s6, 0, s9
	v_add3_u32 v5, v5, s25, v3
	v_mad_u64_u32 v[10:11], s[2:3], v5, s8, v[4:5]
	s_cmp_lt_i32 s9, 0
	s_cselect_b64 s[2:3], -1, 0
	s_and_b64 s[4:5], s[2:3], exec
	v_lshrrev_b32_e32 v7, 4, v9
	s_cselect_b32 s6, s6, s9
	v_mul_hi_u32 v5, s6, v7
	v_cmp_eq_u32_e64 s[4:5], 0, v5
	v_mul_lo_u32 v5, s6, v7
	v_add_u32_e32 v9, v10, v5
	v_sub_u32_e32 v5, v10, v5
	v_cmp_gt_i32_e64 s[6:7], v5, v10
	v_cndmask_b32_e64 v5, 0, 1, s[6:7]
	v_cmp_lt_i32_e64 s[6:7], v9, v10
	v_cndmask_b32_e64 v9, 0, 1, s[6:7]
	v_cndmask_b32_e64 v5, v9, v5, s[2:3]
	v_and_b32_e32 v5, 1, v5
	v_cmp_eq_u32_e64 s[2:3], 1, v5
	s_xor_b64 s[2:3], s[2:3], -1
	s_and_b64 s[2:3], s[2:3], s[4:5]
	s_mov_b64 s[6:7], -1
	s_and_b64 s[0:1], s[0:1], s[2:3]
	s_and_saveexec_b64 s[2:3], s[0:1]
	s_cbranch_execz .LBB111_9
; %bb.6:
	v_add_u32_e32 v5, 1, v7
	v_add_u32_e32 v10, v1, v4
	v_and_b32_e32 v7, 0x1ffffffe, v5
	v_add_u32_e32 v1, 16, v0
	v_cndmask_b32_e32 v12, v6, v8, vcc
	s_mov_b32 s6, s22
	s_mov_b32 s7, s24
	;; [unrolled: 1-line block ×4, first 2 shown]
	s_mov_b64 s[4:5], 0
	v_mov_b32_e32 v9, s11
	v_mov_b32_e32 v14, v10
	;; [unrolled: 1-line block ×8, first 2 shown]
	v_pk_mov_b32 v[20:21], v[0:1], v[0:1] op_sel:[0,1]
.LBB111_7:                              ; =>This Inner Loop Header: Depth=1
	v_ashrrev_i32_e32 v25, 31, v20
	v_mov_b32_e32 v24, v20
	v_mad_u64_u32 v[26:27], s[0:1], v20, s23, v[12:13]
	v_mad_u64_u32 v[28:29], s[0:1], v21, s27, v[18:19]
	v_lshlrev_b64 v[24:25], 2, v[24:25]
	v_ashrrev_i32_e32 v23, 31, v21
	v_mov_b32_e32 v22, v21
	v_add_co_u32_e64 v24, s[0:1], s10, v24
	v_lshlrev_b64 v[22:23], 2, v[22:23]
	v_addc_co_u32_e64 v25, s[0:1], v9, v25, s[0:1]
	v_ashrrev_i32_e32 v27, 31, v26
	v_add_co_u32_e64 v22, s[0:1], s10, v22
	v_addc_co_u32_e64 v23, s[0:1], v9, v23, s[0:1]
	v_lshlrev_b64 v[26:27], 2, v[26:27]
	v_ashrrev_i32_e32 v29, 31, v28
	global_load_dword v1, v[24:25], off
	global_load_dword v19, v[22:23], off
	v_add_co_u32_e64 v22, s[0:1], s14, v26
	v_lshlrev_b64 v[28:29], 2, v[28:29]
	v_addc_co_u32_e64 v23, s[0:1], v13, v27, s[0:1]
	v_add_co_u32_e64 v24, s[0:1], s14, v28
	v_addc_co_u32_e64 v25, s[0:1], v13, v29, s[0:1]
	global_load_dword v34, v[22:23], off
	global_load_dword v35, v[24:25], off
	v_subrev_u32_e32 v22, s24, v20
	v_subrev_u32_e32 v24, s7, v21
	v_mad_u64_u32 v[22:23], s[0:1], v22, s8, v[10:11]
	v_add_u32_e32 v17, -2, v17
	v_mad_u64_u32 v[24:25], s[0:1], v24, s26, v[14:15]
	v_ashrrev_i32_e32 v23, 31, v22
	v_cmp_eq_u32_e64 s[0:1], 0, v17
	v_lshlrev_b64 v[22:23], 2, v[22:23]
	v_ashrrev_i32_e32 v25, 31, v24
	s_or_b64 s[4:5], s[0:1], s[4:5]
	v_add_co_u32_e64 v26, s[0:1], s16, v22
	v_lshlrev_b64 v[24:25], 2, v[24:25]
	v_addc_co_u32_e64 v27, s[0:1], v11, v23, s[0:1]
	v_add_co_u32_e64 v28, s[0:1], s16, v24
	v_addc_co_u32_e64 v29, s[0:1], v11, v25, s[0:1]
	v_add_co_u32_e64 v22, s[0:1], s12, v22
	v_addc_co_u32_e64 v23, s[0:1], v15, v23, s[0:1]
	v_add_u32_e32 v21, 32, v21
	v_add_u32_e32 v20, 32, v20
	v_add_co_u32_e64 v24, s[0:1], s12, v24
	v_addc_co_u32_e64 v25, s[0:1], v15, v25, s[0:1]
	s_waitcnt vmcnt(3)
	v_subrev_u32_e32 v1, s22, v1
	s_waitcnt vmcnt(2)
	v_subrev_u32_e32 v19, s6, v19
	v_mad_u64_u32 v[30:31], s[0:1], v19, s26, v[16:17]
	v_mad_u64_u32 v[32:33], s[0:1], v1, s8, v[2:3]
	s_waitcnt vmcnt(1)
	global_store_dword v[22:23], v34, off
	s_waitcnt vmcnt(1)
	global_store_dword v[24:25], v35, off
	global_store_dword v[26:27], v32, off
	;; [unrolled: 1-line block ×3, first 2 shown]
	s_andn2_b64 exec, exec, s[4:5]
	s_cbranch_execnz .LBB111_7
; %bb.8:
	s_or_b64 exec, exec, s[4:5]
	v_cmp_ne_u32_e64 s[0:1], v5, v7
	v_lshl_add_u32 v0, v7, 4, v0
	s_orn2_b64 s[6:7], s[0:1], exec
.LBB111_9:
	s_or_b64 exec, exec, s[2:3]
	s_and_b64 s[2:3], s[6:7], exec
.LBB111_10:
	s_or_saveexec_b64 s[0:1], s[20:21]
	v_mov_b32_e32 v1, s25
	v_mov_b32_e32 v9, s9
	s_xor_b64 exec, exec, s[0:1]
; %bb.11:
	s_mul_i32 s4, s8, s24
	s_lshl_b32 s5, s8, 4
	v_mov_b32_e32 v1, s4
	v_mov_b32_e32 v9, s5
	s_or_b64 s[2:3], s[2:3], exec
; %bb.12:
	s_or_b64 exec, exec, s[0:1]
	s_and_b64 exec, exec, s[2:3]
	s_cbranch_execz .LBB111_15
; %bb.13:
	v_add_u32_e32 v5, s22, v0
	v_add3_u32 v1, v5, v1, v3
	v_cndmask_b32_e32 v6, v6, v8, vcc
	v_subrev_u32_e32 v1, s18, v1
	v_mad_u64_u32 v[6:7], s[0:1], v0, s23, v[6:7]
	v_mad_u64_u32 v[4:5], s[0:1], s8, v1, v[4:5]
	s_lshl_b32 s2, s23, 4
	s_mov_b64 s[0:1], 0
	v_mov_b32_e32 v3, s11
	v_mov_b32_e32 v8, s17
	;; [unrolled: 1-line block ×4, first 2 shown]
.LBB111_14:                             ; =>This Inner Loop Header: Depth=1
	v_ashrrev_i32_e32 v1, 31, v0
	v_lshlrev_b64 v[12:13], 2, v[0:1]
	v_add_co_u32_e32 v12, vcc, s10, v12
	v_addc_co_u32_e32 v13, vcc, v3, v13, vcc
	v_ashrrev_i32_e32 v7, 31, v6
	global_load_dword v1, v[12:13], off
	v_lshlrev_b64 v[12:13], 2, v[6:7]
	v_add_co_u32_e32 v12, vcc, s14, v12
	v_addc_co_u32_e32 v13, vcc, v10, v13, vcc
	global_load_dword v7, v[12:13], off
	v_ashrrev_i32_e32 v5, 31, v4
	v_lshlrev_b64 v[12:13], 2, v[4:5]
	v_add_co_u32_e32 v14, vcc, s16, v12
	v_addc_co_u32_e32 v15, vcc, v8, v13, vcc
	v_add_co_u32_e32 v12, vcc, s12, v12
	v_add_u32_e32 v0, 16, v0
	v_addc_co_u32_e32 v13, vcc, v11, v13, vcc
	v_cmp_le_i32_e32 vcc, s19, v0
	v_add_u32_e32 v6, s2, v6
	s_or_b64 s[0:1], vcc, s[0:1]
	v_add_u32_e32 v4, v4, v9
	s_waitcnt vmcnt(1)
	v_subrev_u32_e32 v1, s22, v1
	s_waitcnt vmcnt(0)
	global_store_dword v[12:13], v7, off
	v_mad_u64_u32 v[12:13], s[4:5], v1, s8, v[2:3]
	global_store_dword v[14:15], v12, off
	s_andn2_b64 exec, exec, s[0:1]
	s_cbranch_execnz .LBB111_14
.LBB111_15:
	s_endpgm
	.section	.rodata,"a",@progbits
	.p2align	6, 0x0
	.amdhsa_kernel _ZN9rocsparseL33bsr2csr_block_per_row_8_32_kernelILj1024ELj8EfiiEEv20rocsparse_direction_T3_S2_21rocsparse_index_base_PKT1_PKT2_PKS2_S2_S3_PS4_PS7_PS2_
		.amdhsa_group_segment_fixed_size 0
		.amdhsa_private_segment_fixed_size 0
		.amdhsa_kernarg_size 72
		.amdhsa_user_sgpr_count 6
		.amdhsa_user_sgpr_private_segment_buffer 1
		.amdhsa_user_sgpr_dispatch_ptr 0
		.amdhsa_user_sgpr_queue_ptr 0
		.amdhsa_user_sgpr_kernarg_segment_ptr 1
		.amdhsa_user_sgpr_dispatch_id 0
		.amdhsa_user_sgpr_flat_scratch_init 0
		.amdhsa_user_sgpr_kernarg_preload_length 0
		.amdhsa_user_sgpr_kernarg_preload_offset 0
		.amdhsa_user_sgpr_private_segment_size 0
		.amdhsa_uses_dynamic_stack 0
		.amdhsa_system_sgpr_private_segment_wavefront_offset 0
		.amdhsa_system_sgpr_workgroup_id_x 1
		.amdhsa_system_sgpr_workgroup_id_y 0
		.amdhsa_system_sgpr_workgroup_id_z 0
		.amdhsa_system_sgpr_workgroup_info 0
		.amdhsa_system_vgpr_workitem_id 0
		.amdhsa_next_free_vgpr 36
		.amdhsa_next_free_sgpr 28
		.amdhsa_accum_offset 36
		.amdhsa_reserve_vcc 1
		.amdhsa_reserve_flat_scratch 0
		.amdhsa_float_round_mode_32 0
		.amdhsa_float_round_mode_16_64 0
		.amdhsa_float_denorm_mode_32 3
		.amdhsa_float_denorm_mode_16_64 3
		.amdhsa_dx10_clamp 1
		.amdhsa_ieee_mode 1
		.amdhsa_fp16_overflow 0
		.amdhsa_tg_split 0
		.amdhsa_exception_fp_ieee_invalid_op 0
		.amdhsa_exception_fp_denorm_src 0
		.amdhsa_exception_fp_ieee_div_zero 0
		.amdhsa_exception_fp_ieee_overflow 0
		.amdhsa_exception_fp_ieee_underflow 0
		.amdhsa_exception_fp_ieee_inexact 0
		.amdhsa_exception_int_div_zero 0
	.end_amdhsa_kernel
	.section	.text._ZN9rocsparseL33bsr2csr_block_per_row_8_32_kernelILj1024ELj8EfiiEEv20rocsparse_direction_T3_S2_21rocsparse_index_base_PKT1_PKT2_PKS2_S2_S3_PS4_PS7_PS2_,"axG",@progbits,_ZN9rocsparseL33bsr2csr_block_per_row_8_32_kernelILj1024ELj8EfiiEEv20rocsparse_direction_T3_S2_21rocsparse_index_base_PKT1_PKT2_PKS2_S2_S3_PS4_PS7_PS2_,comdat
.Lfunc_end111:
	.size	_ZN9rocsparseL33bsr2csr_block_per_row_8_32_kernelILj1024ELj8EfiiEEv20rocsparse_direction_T3_S2_21rocsparse_index_base_PKT1_PKT2_PKS2_S2_S3_PS4_PS7_PS2_, .Lfunc_end111-_ZN9rocsparseL33bsr2csr_block_per_row_8_32_kernelILj1024ELj8EfiiEEv20rocsparse_direction_T3_S2_21rocsparse_index_base_PKT1_PKT2_PKS2_S2_S3_PS4_PS7_PS2_
                                        ; -- End function
	.section	.AMDGPU.csdata,"",@progbits
; Kernel info:
; codeLenInByte = 1312
; NumSgprs: 32
; NumVgprs: 36
; NumAgprs: 0
; TotalNumVgprs: 36
; ScratchSize: 0
; MemoryBound: 0
; FloatMode: 240
; IeeeMode: 1
; LDSByteSize: 0 bytes/workgroup (compile time only)
; SGPRBlocks: 3
; VGPRBlocks: 4
; NumSGPRsForWavesPerEU: 32
; NumVGPRsForWavesPerEU: 36
; AccumOffset: 36
; Occupancy: 8
; WaveLimiterHint : 0
; COMPUTE_PGM_RSRC2:SCRATCH_EN: 0
; COMPUTE_PGM_RSRC2:USER_SGPR: 6
; COMPUTE_PGM_RSRC2:TRAP_HANDLER: 0
; COMPUTE_PGM_RSRC2:TGID_X_EN: 1
; COMPUTE_PGM_RSRC2:TGID_Y_EN: 0
; COMPUTE_PGM_RSRC2:TGID_Z_EN: 0
; COMPUTE_PGM_RSRC2:TIDIG_COMP_CNT: 0
; COMPUTE_PGM_RSRC3_GFX90A:ACCUM_OFFSET: 8
; COMPUTE_PGM_RSRC3_GFX90A:TG_SPLIT: 0
	.section	.text._ZN9rocsparseL33bsr2csr_block_per_row_8_32_kernelILj1024ELj16EfiiEEv20rocsparse_direction_T3_S2_21rocsparse_index_base_PKT1_PKT2_PKS2_S2_S3_PS4_PS7_PS2_,"axG",@progbits,_ZN9rocsparseL33bsr2csr_block_per_row_8_32_kernelILj1024ELj16EfiiEEv20rocsparse_direction_T3_S2_21rocsparse_index_base_PKT1_PKT2_PKS2_S2_S3_PS4_PS7_PS2_,comdat
	.globl	_ZN9rocsparseL33bsr2csr_block_per_row_8_32_kernelILj1024ELj16EfiiEEv20rocsparse_direction_T3_S2_21rocsparse_index_base_PKT1_PKT2_PKS2_S2_S3_PS4_PS7_PS2_ ; -- Begin function _ZN9rocsparseL33bsr2csr_block_per_row_8_32_kernelILj1024ELj16EfiiEEv20rocsparse_direction_T3_S2_21rocsparse_index_base_PKT1_PKT2_PKS2_S2_S3_PS4_PS7_PS2_
	.p2align	8
	.type	_ZN9rocsparseL33bsr2csr_block_per_row_8_32_kernelILj1024ELj16EfiiEEv20rocsparse_direction_T3_S2_21rocsparse_index_base_PKT1_PKT2_PKS2_S2_S3_PS4_PS7_PS2_,@function
_ZN9rocsparseL33bsr2csr_block_per_row_8_32_kernelILj1024ELj16EfiiEEv20rocsparse_direction_T3_S2_21rocsparse_index_base_PKT1_PKT2_PKS2_S2_S3_PS4_PS7_PS2_: ; @_ZN9rocsparseL33bsr2csr_block_per_row_8_32_kernelILj1024ELj16EfiiEEv20rocsparse_direction_T3_S2_21rocsparse_index_base_PKT1_PKT2_PKS2_S2_S3_PS4_PS7_PS2_
; %bb.0:
	s_load_dwordx2 s[2:3], s[4:5], 0x18
	s_load_dwordx2 s[8:9], s[4:5], 0x28
	;; [unrolled: 1-line block ×3, first 2 shown]
	s_ashr_i32 s7, s6, 31
	s_lshl_b64 s[10:11], s[6:7], 2
	s_waitcnt lgkmcnt(0)
	s_add_u32 s2, s2, s10
	v_or_b32_e32 v1, s6, v0
	s_addc_u32 s3, s3, s11
	v_cmp_eq_u32_e32 vcc, 0, v1
	s_and_saveexec_b64 s[10:11], vcc
	s_cbranch_execz .LBB112_2
; %bb.1:
	v_mov_b32_e32 v1, 0
	v_mov_b32_e32 v2, s9
	global_store_dword v1, v2, s[0:1]
.LBB112_2:
	s_or_b64 exec, exec, s[10:11]
	v_and_b32_e32 v4, 15, v0
	v_bfe_u32 v10, v0, 4, 4
	v_max_i32_e32 v1, v10, v4
	v_cmp_gt_i32_e32 vcc, s8, v1
	s_and_saveexec_b64 s[10:11], vcc
	s_cbranch_execz .LBB112_15
; %bb.3:
	s_load_dwordx2 s[18:19], s[2:3], 0x0
	s_load_dword s22, s[4:5], 0xc
	s_mul_i32 s23, s8, s8
	v_lshrrev_b32_e32 v5, 8, v0
	v_mov_b32_e32 v6, s1
	s_waitcnt lgkmcnt(0)
	s_sub_i32 s24, s18, s22
	s_sub_i32 s19, s19, s22
	;; [unrolled: 1-line block ×3, first 2 shown]
	s_mul_i32 s3, s7, s8
	s_mul_i32 s2, s24, s23
	v_mul_lo_u32 v0, s3, v10
	v_add_u32_e32 v1, s2, v0
	s_mul_i32 s2, s6, s8
	v_add_u32_e32 v2, s2, v10
	v_ashrrev_i32_e32 v3, 31, v2
	v_lshlrev_b64 v[2:3], 2, v[2:3]
	s_add_i32 s3, s3, s9
	v_add_co_u32_e32 v2, vcc, s0, v2
	v_add_u32_e32 v0, s3, v1
	v_addc_co_u32_e32 v3, vcc, v6, v3, vcc
	global_store_dword v[2:3], v0, off offset:4
	v_add_u32_e32 v0, s24, v5
	v_cmp_gt_i32_e32 vcc, s19, v0
	s_and_b64 exec, exec, vcc
	s_cbranch_execz .LBB112_15
; %bb.4:
	s_load_dwordx2 s[10:11], s[4:5], 0x20
	s_load_dwordx2 s[12:13], s[4:5], 0x30
	s_load_dword s0, s[4:5], 0x0
	s_load_dwordx2 s[14:15], s[4:5], 0x10
	s_load_dwordx2 s[16:17], s[4:5], 0x40
	v_add_u32_e32 v3, s18, v5
	v_subrev_u32_e32 v3, s22, v3
	s_waitcnt lgkmcnt(0)
	s_cmp_eq_u32 s0, 0
	v_mad_u64_u32 v[6:7], s[0:1], v4, s8, v[10:11]
	v_mad_u64_u32 v[8:9], s[0:1], v10, s8, v[4:5]
	s_cselect_b64 vcc, -1, 0
	v_add_u32_e32 v3, 4, v3
	s_not_b32 s0, s18
	v_max_i32_e32 v3, s19, v3
	s_add_i32 s0, s0, s22
	v_add_u32_e32 v3, s0, v3
	v_sub_u32_e32 v9, v3, v5
	s_movk_i32 s0, 0x63
	v_add_u32_e32 v2, s9, v4
	v_cmp_lt_u32_e64 s[0:1], s0, v9
	s_mov_b64 s[2:3], 0
	v_mul_lo_u32 v3, s7, v10
                                        ; implicit-def: $sgpr25
                                        ; implicit-def: $sgpr9
	s_and_saveexec_b64 s[4:5], s[0:1]
	s_xor_b64 s[20:21], exec, s[4:5]
	s_cbranch_execz .LBB112_10
; %bb.5:
	v_and_b32_e32 v3, -4, v9
	v_add_u32_e32 v3, v0, v3
	v_cmp_ge_i32_e64 s[0:1], v3, v0
	s_lshl_b32 s9, s8, 2
	s_mul_i32 s25, s24, s8
	v_mul_lo_u32 v3, s7, v10
	s_sub_i32 s6, 0, s9
	v_add3_u32 v5, v5, s25, v3
	v_mad_u64_u32 v[10:11], s[2:3], v5, s8, v[4:5]
	s_cmp_lt_i32 s9, 0
	s_cselect_b64 s[2:3], -1, 0
	s_and_b64 s[4:5], s[2:3], exec
	v_lshrrev_b32_e32 v7, 2, v9
	s_cselect_b32 s6, s6, s9
	v_mul_hi_u32 v5, s6, v7
	v_cmp_eq_u32_e64 s[4:5], 0, v5
	v_mul_lo_u32 v5, s6, v7
	v_add_u32_e32 v9, v10, v5
	v_sub_u32_e32 v5, v10, v5
	v_cmp_gt_i32_e64 s[6:7], v5, v10
	v_cndmask_b32_e64 v5, 0, 1, s[6:7]
	v_cmp_lt_i32_e64 s[6:7], v9, v10
	v_cndmask_b32_e64 v9, 0, 1, s[6:7]
	v_cndmask_b32_e64 v5, v9, v5, s[2:3]
	v_and_b32_e32 v5, 1, v5
	v_cmp_eq_u32_e64 s[2:3], 1, v5
	s_xor_b64 s[2:3], s[2:3], -1
	s_and_b64 s[2:3], s[2:3], s[4:5]
	s_mov_b64 s[6:7], -1
	s_and_b64 s[0:1], s[0:1], s[2:3]
	s_and_saveexec_b64 s[2:3], s[0:1]
	s_cbranch_execz .LBB112_9
; %bb.6:
	v_add_u32_e32 v5, 1, v7
	v_add_u32_e32 v10, v1, v4
	v_and_b32_e32 v7, 0x7ffffffe, v5
	v_add_u32_e32 v1, 4, v0
	v_cndmask_b32_e32 v12, v6, v8, vcc
	s_mov_b32 s6, s22
	s_mov_b32 s7, s24
	s_mov_b32 s26, s8
	s_mov_b32 s27, s23
	s_mov_b64 s[4:5], 0
	v_mov_b32_e32 v9, s11
	v_mov_b32_e32 v14, v10
	;; [unrolled: 1-line block ×8, first 2 shown]
	v_pk_mov_b32 v[20:21], v[0:1], v[0:1] op_sel:[0,1]
.LBB112_7:                              ; =>This Inner Loop Header: Depth=1
	v_ashrrev_i32_e32 v25, 31, v20
	v_mov_b32_e32 v24, v20
	v_mad_u64_u32 v[26:27], s[0:1], v20, s23, v[12:13]
	v_mad_u64_u32 v[28:29], s[0:1], v21, s27, v[18:19]
	v_lshlrev_b64 v[24:25], 2, v[24:25]
	v_ashrrev_i32_e32 v23, 31, v21
	v_mov_b32_e32 v22, v21
	v_add_co_u32_e64 v24, s[0:1], s10, v24
	v_lshlrev_b64 v[22:23], 2, v[22:23]
	v_addc_co_u32_e64 v25, s[0:1], v9, v25, s[0:1]
	v_ashrrev_i32_e32 v27, 31, v26
	v_add_co_u32_e64 v22, s[0:1], s10, v22
	v_addc_co_u32_e64 v23, s[0:1], v9, v23, s[0:1]
	v_lshlrev_b64 v[26:27], 2, v[26:27]
	v_ashrrev_i32_e32 v29, 31, v28
	global_load_dword v1, v[24:25], off
	global_load_dword v19, v[22:23], off
	v_add_co_u32_e64 v22, s[0:1], s14, v26
	v_lshlrev_b64 v[28:29], 2, v[28:29]
	v_addc_co_u32_e64 v23, s[0:1], v13, v27, s[0:1]
	v_add_co_u32_e64 v24, s[0:1], s14, v28
	v_addc_co_u32_e64 v25, s[0:1], v13, v29, s[0:1]
	global_load_dword v34, v[22:23], off
	global_load_dword v35, v[24:25], off
	v_subrev_u32_e32 v22, s24, v20
	v_subrev_u32_e32 v24, s7, v21
	v_mad_u64_u32 v[22:23], s[0:1], v22, s8, v[10:11]
	v_add_u32_e32 v17, -2, v17
	v_mad_u64_u32 v[24:25], s[0:1], v24, s26, v[14:15]
	v_ashrrev_i32_e32 v23, 31, v22
	v_cmp_eq_u32_e64 s[0:1], 0, v17
	v_lshlrev_b64 v[22:23], 2, v[22:23]
	v_ashrrev_i32_e32 v25, 31, v24
	s_or_b64 s[4:5], s[0:1], s[4:5]
	v_add_co_u32_e64 v26, s[0:1], s16, v22
	v_lshlrev_b64 v[24:25], 2, v[24:25]
	v_addc_co_u32_e64 v27, s[0:1], v11, v23, s[0:1]
	v_add_co_u32_e64 v28, s[0:1], s16, v24
	v_addc_co_u32_e64 v29, s[0:1], v11, v25, s[0:1]
	v_add_co_u32_e64 v22, s[0:1], s12, v22
	v_addc_co_u32_e64 v23, s[0:1], v15, v23, s[0:1]
	v_add_u32_e32 v21, 8, v21
	v_add_u32_e32 v20, 8, v20
	v_add_co_u32_e64 v24, s[0:1], s12, v24
	v_addc_co_u32_e64 v25, s[0:1], v15, v25, s[0:1]
	s_waitcnt vmcnt(3)
	v_subrev_u32_e32 v1, s22, v1
	s_waitcnt vmcnt(2)
	v_subrev_u32_e32 v19, s6, v19
	v_mad_u64_u32 v[30:31], s[0:1], v19, s26, v[16:17]
	v_mad_u64_u32 v[32:33], s[0:1], v1, s8, v[2:3]
	s_waitcnt vmcnt(1)
	global_store_dword v[22:23], v34, off
	s_waitcnt vmcnt(1)
	global_store_dword v[24:25], v35, off
	global_store_dword v[26:27], v32, off
	;; [unrolled: 1-line block ×3, first 2 shown]
	s_andn2_b64 exec, exec, s[4:5]
	s_cbranch_execnz .LBB112_7
; %bb.8:
	s_or_b64 exec, exec, s[4:5]
	v_cmp_ne_u32_e64 s[0:1], v5, v7
	v_lshl_add_u32 v0, v7, 2, v0
	s_orn2_b64 s[6:7], s[0:1], exec
.LBB112_9:
	s_or_b64 exec, exec, s[2:3]
	s_and_b64 s[2:3], s[6:7], exec
.LBB112_10:
	s_or_saveexec_b64 s[0:1], s[20:21]
	v_mov_b32_e32 v1, s25
	v_mov_b32_e32 v9, s9
	s_xor_b64 exec, exec, s[0:1]
; %bb.11:
	s_mul_i32 s4, s8, s24
	s_lshl_b32 s5, s8, 2
	v_mov_b32_e32 v1, s4
	v_mov_b32_e32 v9, s5
	s_or_b64 s[2:3], s[2:3], exec
; %bb.12:
	s_or_b64 exec, exec, s[0:1]
	s_and_b64 exec, exec, s[2:3]
	s_cbranch_execz .LBB112_15
; %bb.13:
	v_add_u32_e32 v5, s22, v0
	v_add3_u32 v1, v5, v1, v3
	v_cndmask_b32_e32 v6, v6, v8, vcc
	v_subrev_u32_e32 v1, s18, v1
	v_mad_u64_u32 v[6:7], s[0:1], v0, s23, v[6:7]
	v_mad_u64_u32 v[4:5], s[0:1], s8, v1, v[4:5]
	s_lshl_b32 s2, s23, 2
	s_mov_b64 s[0:1], 0
	v_mov_b32_e32 v3, s11
	v_mov_b32_e32 v8, s17
	;; [unrolled: 1-line block ×4, first 2 shown]
.LBB112_14:                             ; =>This Inner Loop Header: Depth=1
	v_ashrrev_i32_e32 v1, 31, v0
	v_lshlrev_b64 v[12:13], 2, v[0:1]
	v_add_co_u32_e32 v12, vcc, s10, v12
	v_addc_co_u32_e32 v13, vcc, v3, v13, vcc
	v_ashrrev_i32_e32 v7, 31, v6
	global_load_dword v1, v[12:13], off
	v_lshlrev_b64 v[12:13], 2, v[6:7]
	v_add_co_u32_e32 v12, vcc, s14, v12
	v_addc_co_u32_e32 v13, vcc, v10, v13, vcc
	global_load_dword v7, v[12:13], off
	v_ashrrev_i32_e32 v5, 31, v4
	v_lshlrev_b64 v[12:13], 2, v[4:5]
	v_add_co_u32_e32 v14, vcc, s16, v12
	v_addc_co_u32_e32 v15, vcc, v8, v13, vcc
	v_add_co_u32_e32 v12, vcc, s12, v12
	v_add_u32_e32 v0, 4, v0
	v_addc_co_u32_e32 v13, vcc, v11, v13, vcc
	v_cmp_le_i32_e32 vcc, s19, v0
	v_add_u32_e32 v6, s2, v6
	s_or_b64 s[0:1], vcc, s[0:1]
	v_add_u32_e32 v4, v4, v9
	s_waitcnt vmcnt(1)
	v_subrev_u32_e32 v1, s22, v1
	s_waitcnt vmcnt(0)
	global_store_dword v[12:13], v7, off
	v_mad_u64_u32 v[12:13], s[4:5], v1, s8, v[2:3]
	global_store_dword v[14:15], v12, off
	s_andn2_b64 exec, exec, s[0:1]
	s_cbranch_execnz .LBB112_14
.LBB112_15:
	s_endpgm
	.section	.rodata,"a",@progbits
	.p2align	6, 0x0
	.amdhsa_kernel _ZN9rocsparseL33bsr2csr_block_per_row_8_32_kernelILj1024ELj16EfiiEEv20rocsparse_direction_T3_S2_21rocsparse_index_base_PKT1_PKT2_PKS2_S2_S3_PS4_PS7_PS2_
		.amdhsa_group_segment_fixed_size 0
		.amdhsa_private_segment_fixed_size 0
		.amdhsa_kernarg_size 72
		.amdhsa_user_sgpr_count 6
		.amdhsa_user_sgpr_private_segment_buffer 1
		.amdhsa_user_sgpr_dispatch_ptr 0
		.amdhsa_user_sgpr_queue_ptr 0
		.amdhsa_user_sgpr_kernarg_segment_ptr 1
		.amdhsa_user_sgpr_dispatch_id 0
		.amdhsa_user_sgpr_flat_scratch_init 0
		.amdhsa_user_sgpr_kernarg_preload_length 0
		.amdhsa_user_sgpr_kernarg_preload_offset 0
		.amdhsa_user_sgpr_private_segment_size 0
		.amdhsa_uses_dynamic_stack 0
		.amdhsa_system_sgpr_private_segment_wavefront_offset 0
		.amdhsa_system_sgpr_workgroup_id_x 1
		.amdhsa_system_sgpr_workgroup_id_y 0
		.amdhsa_system_sgpr_workgroup_id_z 0
		.amdhsa_system_sgpr_workgroup_info 0
		.amdhsa_system_vgpr_workitem_id 0
		.amdhsa_next_free_vgpr 36
		.amdhsa_next_free_sgpr 28
		.amdhsa_accum_offset 36
		.amdhsa_reserve_vcc 1
		.amdhsa_reserve_flat_scratch 0
		.amdhsa_float_round_mode_32 0
		.amdhsa_float_round_mode_16_64 0
		.amdhsa_float_denorm_mode_32 3
		.amdhsa_float_denorm_mode_16_64 3
		.amdhsa_dx10_clamp 1
		.amdhsa_ieee_mode 1
		.amdhsa_fp16_overflow 0
		.amdhsa_tg_split 0
		.amdhsa_exception_fp_ieee_invalid_op 0
		.amdhsa_exception_fp_denorm_src 0
		.amdhsa_exception_fp_ieee_div_zero 0
		.amdhsa_exception_fp_ieee_overflow 0
		.amdhsa_exception_fp_ieee_underflow 0
		.amdhsa_exception_fp_ieee_inexact 0
		.amdhsa_exception_int_div_zero 0
	.end_amdhsa_kernel
	.section	.text._ZN9rocsparseL33bsr2csr_block_per_row_8_32_kernelILj1024ELj16EfiiEEv20rocsparse_direction_T3_S2_21rocsparse_index_base_PKT1_PKT2_PKS2_S2_S3_PS4_PS7_PS2_,"axG",@progbits,_ZN9rocsparseL33bsr2csr_block_per_row_8_32_kernelILj1024ELj16EfiiEEv20rocsparse_direction_T3_S2_21rocsparse_index_base_PKT1_PKT2_PKS2_S2_S3_PS4_PS7_PS2_,comdat
.Lfunc_end112:
	.size	_ZN9rocsparseL33bsr2csr_block_per_row_8_32_kernelILj1024ELj16EfiiEEv20rocsparse_direction_T3_S2_21rocsparse_index_base_PKT1_PKT2_PKS2_S2_S3_PS4_PS7_PS2_, .Lfunc_end112-_ZN9rocsparseL33bsr2csr_block_per_row_8_32_kernelILj1024ELj16EfiiEEv20rocsparse_direction_T3_S2_21rocsparse_index_base_PKT1_PKT2_PKS2_S2_S3_PS4_PS7_PS2_
                                        ; -- End function
	.section	.AMDGPU.csdata,"",@progbits
; Kernel info:
; codeLenInByte = 1312
; NumSgprs: 32
; NumVgprs: 36
; NumAgprs: 0
; TotalNumVgprs: 36
; ScratchSize: 0
; MemoryBound: 0
; FloatMode: 240
; IeeeMode: 1
; LDSByteSize: 0 bytes/workgroup (compile time only)
; SGPRBlocks: 3
; VGPRBlocks: 4
; NumSGPRsForWavesPerEU: 32
; NumVGPRsForWavesPerEU: 36
; AccumOffset: 36
; Occupancy: 8
; WaveLimiterHint : 0
; COMPUTE_PGM_RSRC2:SCRATCH_EN: 0
; COMPUTE_PGM_RSRC2:USER_SGPR: 6
; COMPUTE_PGM_RSRC2:TRAP_HANDLER: 0
; COMPUTE_PGM_RSRC2:TGID_X_EN: 1
; COMPUTE_PGM_RSRC2:TGID_Y_EN: 0
; COMPUTE_PGM_RSRC2:TGID_Z_EN: 0
; COMPUTE_PGM_RSRC2:TIDIG_COMP_CNT: 0
; COMPUTE_PGM_RSRC3_GFX90A:ACCUM_OFFSET: 8
; COMPUTE_PGM_RSRC3_GFX90A:TG_SPLIT: 0
	.section	.text._ZN9rocsparseL33bsr2csr_block_per_row_8_32_kernelILj1024ELj32EfiiEEv20rocsparse_direction_T3_S2_21rocsparse_index_base_PKT1_PKT2_PKS2_S2_S3_PS4_PS7_PS2_,"axG",@progbits,_ZN9rocsparseL33bsr2csr_block_per_row_8_32_kernelILj1024ELj32EfiiEEv20rocsparse_direction_T3_S2_21rocsparse_index_base_PKT1_PKT2_PKS2_S2_S3_PS4_PS7_PS2_,comdat
	.globl	_ZN9rocsparseL33bsr2csr_block_per_row_8_32_kernelILj1024ELj32EfiiEEv20rocsparse_direction_T3_S2_21rocsparse_index_base_PKT1_PKT2_PKS2_S2_S3_PS4_PS7_PS2_ ; -- Begin function _ZN9rocsparseL33bsr2csr_block_per_row_8_32_kernelILj1024ELj32EfiiEEv20rocsparse_direction_T3_S2_21rocsparse_index_base_PKT1_PKT2_PKS2_S2_S3_PS4_PS7_PS2_
	.p2align	8
	.type	_ZN9rocsparseL33bsr2csr_block_per_row_8_32_kernelILj1024ELj32EfiiEEv20rocsparse_direction_T3_S2_21rocsparse_index_base_PKT1_PKT2_PKS2_S2_S3_PS4_PS7_PS2_,@function
_ZN9rocsparseL33bsr2csr_block_per_row_8_32_kernelILj1024ELj32EfiiEEv20rocsparse_direction_T3_S2_21rocsparse_index_base_PKT1_PKT2_PKS2_S2_S3_PS4_PS7_PS2_: ; @_ZN9rocsparseL33bsr2csr_block_per_row_8_32_kernelILj1024ELj32EfiiEEv20rocsparse_direction_T3_S2_21rocsparse_index_base_PKT1_PKT2_PKS2_S2_S3_PS4_PS7_PS2_
; %bb.0:
	s_load_dwordx2 s[8:9], s[4:5], 0x18
	s_load_dwordx2 s[2:3], s[4:5], 0x28
	;; [unrolled: 1-line block ×3, first 2 shown]
	s_ashr_i32 s7, s6, 31
	s_lshl_b64 s[10:11], s[6:7], 2
	s_waitcnt lgkmcnt(0)
	s_add_u32 s8, s8, s10
	v_or_b32_e32 v1, s6, v0
	s_addc_u32 s9, s9, s11
	v_cmp_eq_u32_e32 vcc, 0, v1
	s_and_saveexec_b64 s[10:11], vcc
	s_cbranch_execz .LBB113_2
; %bb.1:
	v_mov_b32_e32 v1, 0
	v_mov_b32_e32 v2, s3
	global_store_dword v1, v2, s[0:1]
.LBB113_2:
	s_or_b64 exec, exec, s[10:11]
	v_and_b32_e32 v2, 31, v0
	v_lshrrev_b32_e32 v8, 5, v0
	v_max_i32_e32 v0, v8, v2
	v_cmp_gt_i32_e32 vcc, s2, v0
	s_and_saveexec_b64 s[10:11], vcc
	s_cbranch_execz .LBB113_18
; %bb.3:
	s_load_dwordx2 s[12:13], s[8:9], 0x0
	s_load_dword s22, s[4:5], 0xc
	s_mul_i32 s23, s2, s2
	s_mul_i32 s6, s6, s2
	v_mov_b32_e32 v4, s1
	s_waitcnt lgkmcnt(0)
	s_sub_i32 s14, s12, s22
	s_sub_i32 s24, s13, s22
	;; [unrolled: 1-line block ×3, first 2 shown]
	s_mul_i32 s7, s15, s2
	s_mul_i32 s25, s14, s23
	v_mul_lo_u32 v0, s7, v8
	s_add_i32 s7, s7, s3
	s_add_i32 s7, s7, s25
	v_add_u32_e32 v3, s7, v0
	v_add_u32_e32 v0, s6, v8
	v_ashrrev_i32_e32 v1, 31, v0
	v_lshlrev_b64 v[0:1], 2, v[0:1]
	v_add_co_u32_e32 v0, vcc, s0, v0
	v_addc_co_u32_e32 v1, vcc, v4, v1, vcc
	s_cmp_ge_i32 s12, s13
	global_store_dword v[0:1], v3, off offset:4
	s_cbranch_scc1 .LBB113_18
; %bb.4:
	s_load_dwordx2 s[16:17], s[4:5], 0x20
	s_load_dwordx2 s[6:7], s[4:5], 0x30
	s_load_dword s0, s[4:5], 0x0
	s_load_dwordx2 s[8:9], s[4:5], 0x10
	s_load_dwordx2 s[10:11], s[4:5], 0x40
	v_add_u32_e32 v0, s3, v2
	v_mad_u64_u32 v[4:5], s[4:5], v2, s2, v[8:9]
	s_waitcnt lgkmcnt(0)
	s_cmp_eq_u32 s0, 0
	s_cselect_b64 s[0:1], -1, 0
	s_sub_i32 s3, s12, s22
	v_mad_u64_u32 v[6:7], s[4:5], v8, s2, v[2:3]
	s_add_i32 s3, s3, 1
	s_max_i32 s4, s3, s24
	s_add_i32 s4, s4, s22
	s_sub_i32 s3, s4, s12
	s_cmp_gt_u32 s3, 7
	v_mul_lo_u32 v5, v8, s15
	s_cbranch_scc0 .LBB113_10
; %bb.5:
	s_cmp_eq_u32 s2, 1
	v_mul_lo_u32 v7, v8, s15
	s_cselect_b64 s[18:19], -1, 0
	s_not_b32 s5, s12
	v_add3_u32 v1, s12, v7, v2
	s_add_i32 s4, s4, s5
	v_subrev_u32_e32 v1, s22, v1
	v_add_u32_e32 v3, s4, v1
	v_cmp_ge_i32_e32 vcc, v3, v1
	s_and_b64 s[20:21], s[18:19], vcc
	s_mov_b64 s[18:19], -1
	v_mov_b32_e32 v8, s14
	v_mov_b32_e32 v1, s25
	s_and_saveexec_b64 s[4:5], s[20:21]
	s_cbranch_execz .LBB113_14
; %bb.6:
	s_and_b32 s13, s3, -2
	s_add_i32 s15, s14, 1
	v_cndmask_b32_e64 v8, v4, v6, s[0:1]
	s_mov_b32 s26, s22
	v_mov_b32_e32 v1, v0
	s_mov_b32 s27, s23
	v_mov_b32_e32 v3, v8
	v_add3_u32 v10, s14, v7, v2
	v_mov_b32_e32 v9, s11
	v_mov_b32_e32 v12, s9
	;; [unrolled: 1-line block ×3, first 2 shown]
	s_mov_b32 s18, s14
	s_mov_b32 s28, s13
	s_mov_b64 s[20:21], s[14:15]
.LBB113_7:                              ; =>This Inner Loop Header: Depth=1
	s_mul_i32 s19, s20, s23
	v_add_u32_e32 v14, s19, v8
	s_mul_i32 s15, s21, s27
	v_ashrrev_i32_e32 v15, 31, v14
	v_add_u32_e32 v16, s15, v3
	v_lshlrev_b64 v[14:15], 2, v[14:15]
	v_ashrrev_i32_e32 v17, 31, v16
	v_add_co_u32_e32 v14, vcc, s8, v14
	v_lshlrev_b64 v[16:17], 2, v[16:17]
	v_addc_co_u32_e32 v15, vcc, v12, v15, vcc
	v_add_co_u32_e32 v16, vcc, s8, v16
	v_addc_co_u32_e32 v17, vcc, v12, v17, vcc
	global_load_dword v18, v[14:15], off
	global_load_dword v19, v[16:17], off
	s_ashr_i32 s19, s18, 31
	s_lshl_b64 s[30:31], s[18:19], 2
	s_add_u32 s30, s16, s30
	s_addc_u32 s31, s17, s31
	s_load_dwordx2 s[30:31], s[30:31], 0x0
	v_ashrrev_i32_e32 v11, 31, v10
	v_lshlrev_b64 v[14:15], 2, v[10:11]
	v_add_co_u32_e32 v16, vcc, s10, v14
	v_addc_co_u32_e32 v17, vcc, v9, v15, vcc
	s_add_i32 s21, s21, 2
	s_add_i32 s20, s20, 2
	s_add_i32 s28, s28, -2
	s_add_i32 s18, s18, 2
	s_waitcnt lgkmcnt(0)
	s_sub_i32 s15, s30, s22
	s_sub_i32 s19, s31, s26
	v_add_u32_e32 v10, 2, v10
	v_add_co_u32_e32 v14, vcc, s6, v14
	v_add_u32_e32 v21, s19, v1
	v_add_u32_e32 v20, s15, v0
	s_cmp_lg_u32 s28, 0
	v_addc_co_u32_e32 v15, vcc, v13, v15, vcc
	global_store_dwordx2 v[16:17], v[20:21], off
	s_waitcnt vmcnt(1)
	global_store_dwordx2 v[14:15], v[18:19], off
	s_cbranch_scc1 .LBB113_7
; %bb.8:
	s_cmp_eq_u32 s3, s13
	s_cbranch_scc1 .LBB113_12
; %bb.9:
	s_add_i32 s3, s14, s13
	s_mul_i32 s13, s3, s23
	s_mov_b64 s[18:19], -1
	s_branch .LBB113_13
.LBB113_10:
	s_mov_b64 s[18:19], 0
                                        ; implicit-def: $vgpr8
                                        ; implicit-def: $vgpr1
                                        ; implicit-def: $vgpr7
	s_cbranch_execnz .LBB113_15
.LBB113_11:
	v_mov_b32_e32 v5, v7
	s_and_b64 exec, exec, s[18:19]
	s_cbranch_execnz .LBB113_16
	s_branch .LBB113_18
.LBB113_12:
	s_mov_b64 s[18:19], 0
                                        ; implicit-def: $sgpr3
                                        ; implicit-def: $sgpr13
                                        ; implicit-def: $vgpr7
.LBB113_13:
	v_mov_b32_e32 v8, s3
	v_mov_b32_e32 v1, s13
	s_orn2_b64 s[18:19], s[18:19], exec
.LBB113_14:
	s_or_b64 exec, exec, s[4:5]
	s_branch .LBB113_11
.LBB113_15:
	v_mov_b32_e32 v8, s14
	v_mov_b32_e32 v1, s25
	s_or_b64 s[18:19], s[18:19], exec
	s_and_b64 exec, exec, s[18:19]
	s_cbranch_execz .LBB113_18
.LBB113_16:
	v_cndmask_b32_e64 v3, v4, v6, s[0:1]
	s_mul_i32 s0, s2, s14
	s_add_i32 s0, s0, s22
	v_add_u32_e32 v4, v3, v1
	v_add3_u32 v1, s0, v8, v5
	v_ashrrev_i32_e32 v9, 31, v8
	v_subrev_u32_e32 v1, s12, v1
	v_lshlrev_b64 v[6:7], 2, v[8:9]
	v_mad_u64_u32 v[2:3], s[0:1], s2, v1, v[2:3]
	v_mov_b32_e32 v1, s17
	v_add_co_u32_e32 v6, vcc, s16, v6
	v_addc_co_u32_e32 v7, vcc, v1, v7, vcc
	s_mov_b64 s[4:5], 0
	v_mov_b32_e32 v1, s11
	v_mov_b32_e32 v9, s9
	;; [unrolled: 1-line block ×3, first 2 shown]
.LBB113_17:                             ; =>This Inner Loop Header: Depth=1
	v_ashrrev_i32_e32 v5, 31, v4
	global_load_dword v11, v[6:7], off
	v_lshlrev_b64 v[12:13], 2, v[4:5]
	v_add_co_u32_e32 v12, vcc, s8, v12
	v_addc_co_u32_e32 v13, vcc, v9, v13, vcc
	global_load_dword v5, v[12:13], off
	v_ashrrev_i32_e32 v3, 31, v2
	v_lshlrev_b64 v[12:13], 2, v[2:3]
	v_add_co_u32_e32 v6, vcc, 4, v6
	v_add_co_u32_e64 v14, s[0:1], s10, v12
	v_add_u32_e32 v8, 1, v8
	v_addc_co_u32_e32 v7, vcc, 0, v7, vcc
	v_addc_co_u32_e64 v15, s[0:1], v1, v13, s[0:1]
	v_cmp_le_i32_e32 vcc, s24, v8
	v_add_co_u32_e64 v12, s[0:1], s6, v12
	v_add_u32_e32 v4, s23, v4
	v_add_u32_e32 v2, s2, v2
	v_addc_co_u32_e64 v13, s[0:1], v10, v13, s[0:1]
	s_or_b64 s[4:5], vcc, s[4:5]
	s_waitcnt vmcnt(1)
	v_subrev_u32_e32 v3, s22, v11
	v_mad_u64_u32 v[16:17], s[0:1], v3, s2, v[0:1]
	global_store_dword v[14:15], v16, off
	s_waitcnt vmcnt(1)
	global_store_dword v[12:13], v5, off
	s_andn2_b64 exec, exec, s[4:5]
	s_cbranch_execnz .LBB113_17
.LBB113_18:
	s_endpgm
	.section	.rodata,"a",@progbits
	.p2align	6, 0x0
	.amdhsa_kernel _ZN9rocsparseL33bsr2csr_block_per_row_8_32_kernelILj1024ELj32EfiiEEv20rocsparse_direction_T3_S2_21rocsparse_index_base_PKT1_PKT2_PKS2_S2_S3_PS4_PS7_PS2_
		.amdhsa_group_segment_fixed_size 0
		.amdhsa_private_segment_fixed_size 0
		.amdhsa_kernarg_size 72
		.amdhsa_user_sgpr_count 6
		.amdhsa_user_sgpr_private_segment_buffer 1
		.amdhsa_user_sgpr_dispatch_ptr 0
		.amdhsa_user_sgpr_queue_ptr 0
		.amdhsa_user_sgpr_kernarg_segment_ptr 1
		.amdhsa_user_sgpr_dispatch_id 0
		.amdhsa_user_sgpr_flat_scratch_init 0
		.amdhsa_user_sgpr_kernarg_preload_length 0
		.amdhsa_user_sgpr_kernarg_preload_offset 0
		.amdhsa_user_sgpr_private_segment_size 0
		.amdhsa_uses_dynamic_stack 0
		.amdhsa_system_sgpr_private_segment_wavefront_offset 0
		.amdhsa_system_sgpr_workgroup_id_x 1
		.amdhsa_system_sgpr_workgroup_id_y 0
		.amdhsa_system_sgpr_workgroup_id_z 0
		.amdhsa_system_sgpr_workgroup_info 0
		.amdhsa_system_vgpr_workitem_id 0
		.amdhsa_next_free_vgpr 22
		.amdhsa_next_free_sgpr 32
		.amdhsa_accum_offset 24
		.amdhsa_reserve_vcc 1
		.amdhsa_reserve_flat_scratch 0
		.amdhsa_float_round_mode_32 0
		.amdhsa_float_round_mode_16_64 0
		.amdhsa_float_denorm_mode_32 3
		.amdhsa_float_denorm_mode_16_64 3
		.amdhsa_dx10_clamp 1
		.amdhsa_ieee_mode 1
		.amdhsa_fp16_overflow 0
		.amdhsa_tg_split 0
		.amdhsa_exception_fp_ieee_invalid_op 0
		.amdhsa_exception_fp_denorm_src 0
		.amdhsa_exception_fp_ieee_div_zero 0
		.amdhsa_exception_fp_ieee_overflow 0
		.amdhsa_exception_fp_ieee_underflow 0
		.amdhsa_exception_fp_ieee_inexact 0
		.amdhsa_exception_int_div_zero 0
	.end_amdhsa_kernel
	.section	.text._ZN9rocsparseL33bsr2csr_block_per_row_8_32_kernelILj1024ELj32EfiiEEv20rocsparse_direction_T3_S2_21rocsparse_index_base_PKT1_PKT2_PKS2_S2_S3_PS4_PS7_PS2_,"axG",@progbits,_ZN9rocsparseL33bsr2csr_block_per_row_8_32_kernelILj1024ELj32EfiiEEv20rocsparse_direction_T3_S2_21rocsparse_index_base_PKT1_PKT2_PKS2_S2_S3_PS4_PS7_PS2_,comdat
.Lfunc_end113:
	.size	_ZN9rocsparseL33bsr2csr_block_per_row_8_32_kernelILj1024ELj32EfiiEEv20rocsparse_direction_T3_S2_21rocsparse_index_base_PKT1_PKT2_PKS2_S2_S3_PS4_PS7_PS2_, .Lfunc_end113-_ZN9rocsparseL33bsr2csr_block_per_row_8_32_kernelILj1024ELj32EfiiEEv20rocsparse_direction_T3_S2_21rocsparse_index_base_PKT1_PKT2_PKS2_S2_S3_PS4_PS7_PS2_
                                        ; -- End function
	.section	.AMDGPU.csdata,"",@progbits
; Kernel info:
; codeLenInByte = 976
; NumSgprs: 36
; NumVgprs: 22
; NumAgprs: 0
; TotalNumVgprs: 22
; ScratchSize: 0
; MemoryBound: 0
; FloatMode: 240
; IeeeMode: 1
; LDSByteSize: 0 bytes/workgroup (compile time only)
; SGPRBlocks: 4
; VGPRBlocks: 2
; NumSGPRsForWavesPerEU: 36
; NumVGPRsForWavesPerEU: 22
; AccumOffset: 24
; Occupancy: 8
; WaveLimiterHint : 0
; COMPUTE_PGM_RSRC2:SCRATCH_EN: 0
; COMPUTE_PGM_RSRC2:USER_SGPR: 6
; COMPUTE_PGM_RSRC2:TRAP_HANDLER: 0
; COMPUTE_PGM_RSRC2:TGID_X_EN: 1
; COMPUTE_PGM_RSRC2:TGID_Y_EN: 0
; COMPUTE_PGM_RSRC2:TGID_Z_EN: 0
; COMPUTE_PGM_RSRC2:TIDIG_COMP_CNT: 0
; COMPUTE_PGM_RSRC3_GFX90A:ACCUM_OFFSET: 5
; COMPUTE_PGM_RSRC3_GFX90A:TG_SPLIT: 0
	.section	.text._ZN9rocsparseL35bsr2csr_block_per_row_33_256_kernelILj1024ELj64ELj32EfiiEEv20rocsparse_direction_T4_S2_21rocsparse_index_base_PKT2_PKT3_PKS2_S2_S3_PS4_PS7_PS2_,"axG",@progbits,_ZN9rocsparseL35bsr2csr_block_per_row_33_256_kernelILj1024ELj64ELj32EfiiEEv20rocsparse_direction_T4_S2_21rocsparse_index_base_PKT2_PKT3_PKS2_S2_S3_PS4_PS7_PS2_,comdat
	.globl	_ZN9rocsparseL35bsr2csr_block_per_row_33_256_kernelILj1024ELj64ELj32EfiiEEv20rocsparse_direction_T4_S2_21rocsparse_index_base_PKT2_PKT3_PKS2_S2_S3_PS4_PS7_PS2_ ; -- Begin function _ZN9rocsparseL35bsr2csr_block_per_row_33_256_kernelILj1024ELj64ELj32EfiiEEv20rocsparse_direction_T4_S2_21rocsparse_index_base_PKT2_PKT3_PKS2_S2_S3_PS4_PS7_PS2_
	.p2align	8
	.type	_ZN9rocsparseL35bsr2csr_block_per_row_33_256_kernelILj1024ELj64ELj32EfiiEEv20rocsparse_direction_T4_S2_21rocsparse_index_base_PKT2_PKT3_PKS2_S2_S3_PS4_PS7_PS2_,@function
_ZN9rocsparseL35bsr2csr_block_per_row_33_256_kernelILj1024ELj64ELj32EfiiEEv20rocsparse_direction_T4_S2_21rocsparse_index_base_PKT2_PKT3_PKS2_S2_S3_PS4_PS7_PS2_: ; @_ZN9rocsparseL35bsr2csr_block_per_row_33_256_kernelILj1024ELj64ELj32EfiiEEv20rocsparse_direction_T4_S2_21rocsparse_index_base_PKT2_PKT3_PKS2_S2_S3_PS4_PS7_PS2_
; %bb.0:
	s_load_dwordx2 s[0:1], s[4:5], 0x18
	s_load_dwordx2 s[8:9], s[4:5], 0x28
	;; [unrolled: 1-line block ×3, first 2 shown]
	s_ashr_i32 s7, s6, 31
	s_lshl_b64 s[2:3], s[6:7], 2
	s_waitcnt lgkmcnt(0)
	s_add_u32 s0, s0, s2
	s_addc_u32 s1, s1, s3
	s_load_dwordx2 s[22:23], s[0:1], 0x0
	v_or_b32_e32 v1, s6, v0
	v_cmp_eq_u32_e32 vcc, 0, v1
	s_and_saveexec_b64 s[0:1], vcc
	s_cbranch_execz .LBB114_2
; %bb.1:
	v_mov_b32_e32 v1, 0
	v_mov_b32_e32 v2, s9
	global_store_dword v1, v2, s[12:13]
.LBB114_2:
	s_or_b64 exec, exec, s[0:1]
	s_load_dword s24, s[4:5], 0xc
	v_lshrrev_b32_e32 v1, 5, v0
	s_mul_i32 s14, s6, s8
	s_waitcnt lgkmcnt(0)
	s_sub_i32 s10, s22, s24
	s_sub_i32 s25, s23, s24
	s_mul_i32 s11, s10, s8
	s_sub_i32 s18, s25, s10
	s_mul_i32 s0, s11, s8
	s_mul_i32 s15, s18, s8
	s_add_i32 s16, s0, s9
	s_add_i32 s16, s16, s15
	v_cmp_gt_i32_e64 s[0:1], s8, v1
	s_and_saveexec_b64 s[2:3], s[0:1]
	s_cbranch_execz .LBB114_4
; %bb.3:
	v_mul_lo_u32 v2, v1, s15
	v_add_u32_e32 v4, s16, v2
	v_add_u32_e32 v2, s14, v1
	v_ashrrev_i32_e32 v3, 31, v2
	v_lshlrev_b64 v[2:3], 2, v[2:3]
	v_mov_b32_e32 v5, s13
	v_add_co_u32_e32 v2, vcc, s12, v2
	v_addc_co_u32_e32 v3, vcc, v5, v3, vcc
	global_store_dword v[2:3], v4, off offset:4
.LBB114_4:
	s_or_b64 exec, exec, s[2:3]
	v_or_b32_e32 v2, 32, v1
	v_cmp_gt_i32_e64 s[2:3], s8, v2
	s_and_saveexec_b64 s[6:7], s[2:3]
	s_cbranch_execz .LBB114_6
; %bb.5:
	s_add_u32 s12, s12, 4
	s_addc_u32 s13, s13, 0
	v_mul_lo_u32 v2, v2, s15
	s_ashr_i32 s15, s14, 31
	v_add_u32_e32 v4, s16, v2
	v_mov_b32_e32 v3, s15
	v_add_co_u32_e32 v2, vcc, s14, v1
	v_addc_co_u32_e32 v3, vcc, 0, v3, vcc
	v_lshlrev_b64 v[2:3], 2, v[2:3]
	v_mov_b32_e32 v5, s13
	v_add_co_u32_e32 v2, vcc, s12, v2
	v_addc_co_u32_e32 v3, vcc, v5, v3, vcc
	global_store_dword v[2:3], v4, off offset:128
.LBB114_6:
	s_or_b64 exec, exec, s[6:7]
	s_cmp_lt_i32 s22, s23
	s_cbranch_scc0 .LBB114_17
; %bb.7:
	s_load_dwordx2 s[28:29], s[4:5], 0x20
	s_load_dwordx2 s[12:13], s[4:5], 0x30
	s_load_dword s6, s[4:5], 0x0
	s_load_dwordx2 s[14:15], s[4:5], 0x10
	s_load_dwordx2 s[16:17], s[4:5], 0x40
	v_and_b32_e32 v0, 31, v0
	v_mul_lo_u32 v7, v1, s18
	v_or_b32_e32 v2, 32, v0
	s_waitcnt lgkmcnt(0)
	s_cmp_eq_u32 s6, 0
	v_cmp_gt_i32_e64 s[4:5], s8, v0
	v_cmp_gt_i32_e64 s[6:7], s8, v2
	v_add_u32_e32 v8, s11, v7
	s_cselect_b64 vcc, -1, 0
	s_and_b64 s[18:19], s[0:1], s[4:5]
	s_and_b64 s[20:21], s[0:1], s[6:7]
	v_add_u32_e32 v4, s11, v1
	v_add_u32_e32 v6, s11, v0
	v_lshl_add_u32 v7, s23, 5, v8
	s_lshl_b32 s0, s22, 5
	s_ashr_i32 s11, s10, 31
	s_and_b64 s[4:5], s[2:3], s[4:5]
	s_and_b64 s[2:3], s[2:3], s[6:7]
	v_subrev_u32_e32 v7, s0, v7
	s_lshl_b64 s[0:1], s[10:11], 2
	v_add_u32_e32 v3, 32, v4
	v_add_u32_e32 v5, 32, v6
	s_add_u32 s6, s28, s0
	s_mul_i32 s26, s8, s8
	v_mul_lo_u32 v3, s8, v3
	v_mul_lo_u32 v4, s8, v4
	;; [unrolled: 1-line block ×6, first 2 shown]
	s_addc_u32 s7, s29, s1
	s_branch .LBB114_9
.LBB114_8:                              ;   in Loop: Header=BB114_9 Depth=1
	s_or_b64 exec, exec, s[22:23]
	s_add_i32 s10, s10, 1
	s_add_u32 s6, s6, 4
	s_addc_u32 s7, s7, 0
	v_add_u32_e32 v3, s26, v3
	v_add_u32_e32 v4, s26, v4
	;; [unrolled: 1-line block ×4, first 2 shown]
	s_cmp_ge_i32 s10, s25
	v_add_u32_e32 v8, s8, v8
	s_cbranch_scc1 .LBB114_17
.LBB114_9:                              ; =>This Inner Loop Header: Depth=1
	s_load_dword s0, s[6:7], 0x0
	s_waitcnt lgkmcnt(0)
	s_sub_i32 s0, s0, s24
	s_mul_i32 s11, s0, s8
	s_add_i32 s11, s11, s9
	v_add_u32_e32 v9, s11, v0
	s_and_saveexec_b64 s[22:23], s[18:19]
	s_cbranch_execz .LBB114_11
; %bb.10:                               ;   in Loop: Header=BB114_9 Depth=1
	v_add_u32_e32 v10, v0, v4
	v_add_u32_e32 v11, v6, v1
	v_cndmask_b32_e32 v10, v11, v10, vcc
	v_ashrrev_i32_e32 v11, 31, v10
	v_lshlrev_b64 v[10:11], 2, v[10:11]
	v_mov_b32_e32 v12, s15
	v_add_co_u32_e64 v10, s[0:1], s14, v10
	v_addc_co_u32_e64 v11, s[0:1], v12, v11, s[0:1]
	global_load_dword v14, v[10:11], off
	v_add_u32_e32 v10, v0, v8
	v_ashrrev_i32_e32 v11, 31, v10
	v_lshlrev_b64 v[10:11], 2, v[10:11]
	v_mov_b32_e32 v13, s17
	v_add_co_u32_e64 v12, s[0:1], s16, v10
	v_addc_co_u32_e64 v13, s[0:1], v13, v11, s[0:1]
	global_store_dword v[12:13], v9, off
	v_mov_b32_e32 v12, s13
	v_add_co_u32_e64 v10, s[0:1], s12, v10
	v_addc_co_u32_e64 v11, s[0:1], v12, v11, s[0:1]
	s_waitcnt vmcnt(1)
	global_store_dword v[10:11], v14, off
.LBB114_11:                             ;   in Loop: Header=BB114_9 Depth=1
	s_or_b64 exec, exec, s[22:23]
	v_add_u32_e32 v10, s11, v2
	v_add_u32_e32 v11, v5, v1
	s_and_saveexec_b64 s[22:23], s[20:21]
	s_cbranch_execnz .LBB114_14
; %bb.12:                               ;   in Loop: Header=BB114_9 Depth=1
	s_or_b64 exec, exec, s[22:23]
	v_add_u32_e32 v12, v0, v3
	s_and_saveexec_b64 s[22:23], s[4:5]
	s_cbranch_execnz .LBB114_15
.LBB114_13:                             ;   in Loop: Header=BB114_9 Depth=1
	s_or_b64 exec, exec, s[22:23]
	s_and_saveexec_b64 s[22:23], s[2:3]
	s_cbranch_execz .LBB114_8
	s_branch .LBB114_16
.LBB114_14:                             ;   in Loop: Header=BB114_9 Depth=1
	v_add3_u32 v12, v0, v4, 32
	v_cndmask_b32_e32 v12, v11, v12, vcc
	v_ashrrev_i32_e32 v13, 31, v12
	v_lshlrev_b64 v[12:13], 2, v[12:13]
	v_mov_b32_e32 v14, s15
	v_add_co_u32_e64 v12, s[0:1], s14, v12
	v_addc_co_u32_e64 v13, s[0:1], v14, v13, s[0:1]
	global_load_dword v16, v[12:13], off
	v_add3_u32 v12, v0, v8, 32
	v_ashrrev_i32_e32 v13, 31, v12
	v_lshlrev_b64 v[12:13], 2, v[12:13]
	v_mov_b32_e32 v15, s17
	v_add_co_u32_e64 v14, s[0:1], s16, v12
	v_addc_co_u32_e64 v15, s[0:1], v15, v13, s[0:1]
	global_store_dword v[14:15], v10, off
	v_mov_b32_e32 v14, s13
	v_add_co_u32_e64 v12, s[0:1], s12, v12
	v_addc_co_u32_e64 v13, s[0:1], v14, v13, s[0:1]
	s_waitcnt vmcnt(1)
	global_store_dword v[12:13], v16, off
	s_or_b64 exec, exec, s[22:23]
	v_add_u32_e32 v12, v0, v3
	s_and_saveexec_b64 s[22:23], s[4:5]
	s_cbranch_execz .LBB114_13
.LBB114_15:                             ;   in Loop: Header=BB114_9 Depth=1
	v_add3_u32 v13, v6, v1, 32
	v_cndmask_b32_e32 v14, v13, v12, vcc
	v_ashrrev_i32_e32 v15, 31, v14
	v_lshlrev_b64 v[14:15], 2, v[14:15]
	v_mov_b32_e32 v13, s15
	v_add_co_u32_e64 v14, s[0:1], s14, v14
	v_addc_co_u32_e64 v15, s[0:1], v13, v15, s[0:1]
	global_load_dword v13, v[14:15], off
	v_add_u32_e32 v14, v0, v7
	v_ashrrev_i32_e32 v15, 31, v14
	v_lshlrev_b64 v[14:15], 2, v[14:15]
	v_mov_b32_e32 v17, s17
	v_add_co_u32_e64 v16, s[0:1], s16, v14
	v_addc_co_u32_e64 v17, s[0:1], v17, v15, s[0:1]
	global_store_dword v[16:17], v9, off
	v_mov_b32_e32 v9, s13
	v_add_co_u32_e64 v14, s[0:1], s12, v14
	v_addc_co_u32_e64 v15, s[0:1], v9, v15, s[0:1]
	s_waitcnt vmcnt(1)
	global_store_dword v[14:15], v13, off
	s_or_b64 exec, exec, s[22:23]
	s_and_saveexec_b64 s[22:23], s[2:3]
	s_cbranch_execz .LBB114_8
.LBB114_16:                             ;   in Loop: Header=BB114_9 Depth=1
	v_cndmask_b32_e32 v9, v11, v12, vcc
	v_add_u32_e32 v12, 32, v9
	v_ashrrev_i32_e32 v13, 31, v12
	v_lshlrev_b64 v[12:13], 2, v[12:13]
	v_mov_b32_e32 v9, s15
	v_add_co_u32_e64 v12, s[0:1], s14, v12
	v_addc_co_u32_e64 v13, s[0:1], v9, v13, s[0:1]
	global_load_dword v9, v[12:13], off
	v_add3_u32 v12, v0, v7, 32
	v_ashrrev_i32_e32 v13, 31, v12
	v_lshlrev_b64 v[12:13], 2, v[12:13]
	v_mov_b32_e32 v11, s17
	v_add_co_u32_e64 v14, s[0:1], s16, v12
	v_addc_co_u32_e64 v15, s[0:1], v11, v13, s[0:1]
	global_store_dword v[14:15], v10, off
	v_mov_b32_e32 v11, s13
	v_add_co_u32_e64 v10, s[0:1], s12, v12
	v_addc_co_u32_e64 v11, s[0:1], v11, v13, s[0:1]
	s_waitcnt vmcnt(1)
	global_store_dword v[10:11], v9, off
	s_branch .LBB114_8
.LBB114_17:
	s_endpgm
	.section	.rodata,"a",@progbits
	.p2align	6, 0x0
	.amdhsa_kernel _ZN9rocsparseL35bsr2csr_block_per_row_33_256_kernelILj1024ELj64ELj32EfiiEEv20rocsparse_direction_T4_S2_21rocsparse_index_base_PKT2_PKT3_PKS2_S2_S3_PS4_PS7_PS2_
		.amdhsa_group_segment_fixed_size 0
		.amdhsa_private_segment_fixed_size 0
		.amdhsa_kernarg_size 72
		.amdhsa_user_sgpr_count 6
		.amdhsa_user_sgpr_private_segment_buffer 1
		.amdhsa_user_sgpr_dispatch_ptr 0
		.amdhsa_user_sgpr_queue_ptr 0
		.amdhsa_user_sgpr_kernarg_segment_ptr 1
		.amdhsa_user_sgpr_dispatch_id 0
		.amdhsa_user_sgpr_flat_scratch_init 0
		.amdhsa_user_sgpr_kernarg_preload_length 0
		.amdhsa_user_sgpr_kernarg_preload_offset 0
		.amdhsa_user_sgpr_private_segment_size 0
		.amdhsa_uses_dynamic_stack 0
		.amdhsa_system_sgpr_private_segment_wavefront_offset 0
		.amdhsa_system_sgpr_workgroup_id_x 1
		.amdhsa_system_sgpr_workgroup_id_y 0
		.amdhsa_system_sgpr_workgroup_id_z 0
		.amdhsa_system_sgpr_workgroup_info 0
		.amdhsa_system_vgpr_workitem_id 0
		.amdhsa_next_free_vgpr 18
		.amdhsa_next_free_sgpr 30
		.amdhsa_accum_offset 20
		.amdhsa_reserve_vcc 1
		.amdhsa_reserve_flat_scratch 0
		.amdhsa_float_round_mode_32 0
		.amdhsa_float_round_mode_16_64 0
		.amdhsa_float_denorm_mode_32 3
		.amdhsa_float_denorm_mode_16_64 3
		.amdhsa_dx10_clamp 1
		.amdhsa_ieee_mode 1
		.amdhsa_fp16_overflow 0
		.amdhsa_tg_split 0
		.amdhsa_exception_fp_ieee_invalid_op 0
		.amdhsa_exception_fp_denorm_src 0
		.amdhsa_exception_fp_ieee_div_zero 0
		.amdhsa_exception_fp_ieee_overflow 0
		.amdhsa_exception_fp_ieee_underflow 0
		.amdhsa_exception_fp_ieee_inexact 0
		.amdhsa_exception_int_div_zero 0
	.end_amdhsa_kernel
	.section	.text._ZN9rocsparseL35bsr2csr_block_per_row_33_256_kernelILj1024ELj64ELj32EfiiEEv20rocsparse_direction_T4_S2_21rocsparse_index_base_PKT2_PKT3_PKS2_S2_S3_PS4_PS7_PS2_,"axG",@progbits,_ZN9rocsparseL35bsr2csr_block_per_row_33_256_kernelILj1024ELj64ELj32EfiiEEv20rocsparse_direction_T4_S2_21rocsparse_index_base_PKT2_PKT3_PKS2_S2_S3_PS4_PS7_PS2_,comdat
.Lfunc_end114:
	.size	_ZN9rocsparseL35bsr2csr_block_per_row_33_256_kernelILj1024ELj64ELj32EfiiEEv20rocsparse_direction_T4_S2_21rocsparse_index_base_PKT2_PKT3_PKS2_S2_S3_PS4_PS7_PS2_, .Lfunc_end114-_ZN9rocsparseL35bsr2csr_block_per_row_33_256_kernelILj1024ELj64ELj32EfiiEEv20rocsparse_direction_T4_S2_21rocsparse_index_base_PKT2_PKT3_PKS2_S2_S3_PS4_PS7_PS2_
                                        ; -- End function
	.section	.AMDGPU.csdata,"",@progbits
; Kernel info:
; codeLenInByte = 1196
; NumSgprs: 34
; NumVgprs: 18
; NumAgprs: 0
; TotalNumVgprs: 18
; ScratchSize: 0
; MemoryBound: 0
; FloatMode: 240
; IeeeMode: 1
; LDSByteSize: 0 bytes/workgroup (compile time only)
; SGPRBlocks: 4
; VGPRBlocks: 2
; NumSGPRsForWavesPerEU: 34
; NumVGPRsForWavesPerEU: 18
; AccumOffset: 20
; Occupancy: 8
; WaveLimiterHint : 1
; COMPUTE_PGM_RSRC2:SCRATCH_EN: 0
; COMPUTE_PGM_RSRC2:USER_SGPR: 6
; COMPUTE_PGM_RSRC2:TRAP_HANDLER: 0
; COMPUTE_PGM_RSRC2:TGID_X_EN: 1
; COMPUTE_PGM_RSRC2:TGID_Y_EN: 0
; COMPUTE_PGM_RSRC2:TGID_Z_EN: 0
; COMPUTE_PGM_RSRC2:TIDIG_COMP_CNT: 0
; COMPUTE_PGM_RSRC3_GFX90A:ACCUM_OFFSET: 4
; COMPUTE_PGM_RSRC3_GFX90A:TG_SPLIT: 0
	.section	.text._ZN9rocsparseL35bsr2csr_block_per_row_33_256_kernelILj1024ELj128ELj32EfiiEEv20rocsparse_direction_T4_S2_21rocsparse_index_base_PKT2_PKT3_PKS2_S2_S3_PS4_PS7_PS2_,"axG",@progbits,_ZN9rocsparseL35bsr2csr_block_per_row_33_256_kernelILj1024ELj128ELj32EfiiEEv20rocsparse_direction_T4_S2_21rocsparse_index_base_PKT2_PKT3_PKS2_S2_S3_PS4_PS7_PS2_,comdat
	.globl	_ZN9rocsparseL35bsr2csr_block_per_row_33_256_kernelILj1024ELj128ELj32EfiiEEv20rocsparse_direction_T4_S2_21rocsparse_index_base_PKT2_PKT3_PKS2_S2_S3_PS4_PS7_PS2_ ; -- Begin function _ZN9rocsparseL35bsr2csr_block_per_row_33_256_kernelILj1024ELj128ELj32EfiiEEv20rocsparse_direction_T4_S2_21rocsparse_index_base_PKT2_PKT3_PKS2_S2_S3_PS4_PS7_PS2_
	.p2align	8
	.type	_ZN9rocsparseL35bsr2csr_block_per_row_33_256_kernelILj1024ELj128ELj32EfiiEEv20rocsparse_direction_T4_S2_21rocsparse_index_base_PKT2_PKT3_PKS2_S2_S3_PS4_PS7_PS2_,@function
_ZN9rocsparseL35bsr2csr_block_per_row_33_256_kernelILj1024ELj128ELj32EfiiEEv20rocsparse_direction_T4_S2_21rocsparse_index_base_PKT2_PKT3_PKS2_S2_S3_PS4_PS7_PS2_: ; @_ZN9rocsparseL35bsr2csr_block_per_row_33_256_kernelILj1024ELj128ELj32EfiiEEv20rocsparse_direction_T4_S2_21rocsparse_index_base_PKT2_PKT3_PKS2_S2_S3_PS4_PS7_PS2_
; %bb.0:
	s_load_dwordx2 s[0:1], s[4:5], 0x18
	s_load_dwordx2 s[16:17], s[4:5], 0x28
	;; [unrolled: 1-line block ×3, first 2 shown]
	s_ashr_i32 s7, s6, 31
	s_lshl_b64 s[8:9], s[6:7], 2
	s_waitcnt lgkmcnt(0)
	s_add_u32 s0, s0, s8
	s_addc_u32 s1, s1, s9
	s_load_dwordx2 s[48:49], s[0:1], 0x0
	v_or_b32_e32 v1, s6, v0
	v_cmp_eq_u32_e32 vcc, 0, v1
	s_and_saveexec_b64 s[0:1], vcc
	s_cbranch_execz .LBB115_2
; %bb.1:
	v_mov_b32_e32 v1, 0
	v_mov_b32_e32 v2, s17
	global_store_dword v1, v2, s[2:3]
.LBB115_2:
	s_or_b64 exec, exec, s[0:1]
	s_load_dword s33, s[4:5], 0xc
	v_lshrrev_b32_e32 v6, 5, v0
	s_mul_i32 s13, s6, s16
	s_waitcnt lgkmcnt(0)
	s_sub_i32 s18, s48, s33
	s_sub_i32 s50, s49, s33
	s_mul_i32 s19, s18, s16
	s_sub_i32 s12, s50, s18
	s_mul_i32 s0, s19, s16
	s_mul_i32 s14, s12, s16
	s_add_i32 s15, s0, s17
	s_add_i32 s15, s15, s14
	v_cmp_gt_i32_e64 s[0:1], s16, v6
	s_and_saveexec_b64 s[6:7], s[0:1]
	s_cbranch_execz .LBB115_4
; %bb.3:
	v_add_u32_e32 v2, s13, v6
	v_ashrrev_i32_e32 v3, 31, v2
	v_lshlrev_b64 v[2:3], 2, v[2:3]
	v_mul_lo_u32 v1, v6, s14
	v_mov_b32_e32 v4, s3
	v_add_co_u32_e32 v2, vcc, s2, v2
	v_add_u32_e32 v1, s15, v1
	v_addc_co_u32_e32 v3, vcc, v4, v3, vcc
	global_store_dword v[2:3], v1, off offset:4
.LBB115_4:
	s_or_b64 exec, exec, s[6:7]
	s_add_u32 s20, s2, 4
	v_or_b32_e32 v1, 32, v6
	s_addc_u32 s21, s3, 0
	v_cmp_gt_i32_e64 s[2:3], s16, v1
	s_and_saveexec_b64 s[6:7], s[2:3]
	s_cbranch_execz .LBB115_6
; %bb.5:
	s_ashr_i32 s8, s13, 31
	v_mov_b32_e32 v3, s8
	v_add_co_u32_e32 v2, vcc, s13, v6
	v_addc_co_u32_e32 v3, vcc, 0, v3, vcc
	v_lshlrev_b64 v[2:3], 2, v[2:3]
	v_mul_lo_u32 v1, v1, s14
	v_mov_b32_e32 v4, s21
	v_add_co_u32_e32 v2, vcc, s20, v2
	v_add_u32_e32 v1, s15, v1
	v_addc_co_u32_e32 v3, vcc, v4, v3, vcc
	global_store_dword v[2:3], v1, off offset:128
.LBB115_6:
	s_or_b64 exec, exec, s[6:7]
	v_or_b32_e32 v1, 64, v6
	v_cmp_gt_i32_e64 s[6:7], s16, v1
	s_and_saveexec_b64 s[8:9], s[6:7]
	s_cbranch_execz .LBB115_8
; %bb.7:
	s_ashr_i32 s10, s13, 31
	v_mov_b32_e32 v3, s10
	v_add_co_u32_e32 v2, vcc, s13, v6
	v_addc_co_u32_e32 v3, vcc, 0, v3, vcc
	v_lshlrev_b64 v[2:3], 2, v[2:3]
	v_mul_lo_u32 v1, v1, s14
	v_mov_b32_e32 v4, s21
	v_add_co_u32_e32 v2, vcc, s20, v2
	v_add_u32_e32 v1, s15, v1
	v_addc_co_u32_e32 v3, vcc, v4, v3, vcc
	global_store_dword v[2:3], v1, off offset:256
.LBB115_8:
	s_or_b64 exec, exec, s[8:9]
	v_or_b32_e32 v1, 0x60, v6
	v_cmp_gt_i32_e64 s[8:9], s16, v1
	s_and_saveexec_b64 s[10:11], s[8:9]
	s_cbranch_execz .LBB115_10
; %bb.9:
	v_mul_lo_u32 v1, v1, s14
	s_ashr_i32 s14, s13, 31
	v_mov_b32_e32 v3, s14
	v_add_co_u32_e32 v2, vcc, s13, v6
	v_addc_co_u32_e32 v3, vcc, 0, v3, vcc
	v_lshlrev_b64 v[2:3], 2, v[2:3]
	v_mov_b32_e32 v4, s21
	v_add_co_u32_e32 v2, vcc, s20, v2
	v_add_u32_e32 v1, s15, v1
	v_addc_co_u32_e32 v3, vcc, v4, v3, vcc
	global_store_dword v[2:3], v1, off offset:384
.LBB115_10:
	s_or_b64 exec, exec, s[10:11]
	s_cmp_lt_i32 s48, s49
	s_cbranch_scc0 .LBB115_45
; %bb.11:
	s_load_dwordx2 s[54:55], s[4:5], 0x20
	s_load_dwordx2 s[20:21], s[4:5], 0x30
	;; [unrolled: 1-line block ×3, first 2 shown]
	s_load_dword s10, s[4:5], 0x0
	s_load_dwordx2 s[24:25], s[4:5], 0x40
	v_and_b32_e32 v8, 31, v0
	v_add_u32_e32 v0, s19, v6
	v_add_u32_e32 v1, 32, v0
	v_or_b32_e32 v9, 32, v8
	v_or_b32_e32 v10, 64, v8
	;; [unrolled: 1-line block ×3, first 2 shown]
	v_mul_lo_u32 v12, s16, v1
	v_add_u32_e32 v1, 64, v0
	v_add_u32_e32 v7, s19, v8
	s_waitcnt lgkmcnt(0)
	s_cmp_eq_u32 s10, 0
	v_mul_lo_u32 v16, v6, s12
	v_cmp_gt_i32_e64 s[4:5], s16, v8
	v_cmp_gt_i32_e64 s[10:11], s16, v9
	;; [unrolled: 1-line block ×4, first 2 shown]
	v_mul_lo_u32 v13, s16, v1
	v_add_u32_e32 v1, 0x60, v0
	v_mul_lo_u32 v15, s16, v0
	v_add_u32_e32 v0, 0x60, v7
	s_cselect_b64 vcc, -1, 0
	s_and_b64 s[26:27], s[0:1], s[4:5]
	s_and_b64 s[28:29], s[0:1], s[10:11]
	;; [unrolled: 1-line block ×4, first 2 shown]
	v_mul_lo_u32 v14, s16, v1
	v_mad_u64_u32 v[0:1], s[0:1], s16, v0, v[6:7]
	v_add_u32_e32 v1, 64, v7
	v_mad_u64_u32 v[2:3], s[0:1], s16, v1, v[6:7]
	v_add_u32_e32 v1, 32, v7
	v_mad_u64_u32 v[4:5], s[0:1], s16, v1, v[6:7]
	v_mad_u64_u32 v[6:7], s[0:1], s16, v7, v[6:7]
	v_add_u32_e32 v7, s19, v16
	v_lshl_add_u32 v1, s49, 5, v7
	s_lshl_b32 s0, s48, 5
	v_subrev_u32_e32 v1, s0, v1
	v_lshl_add_u32 v3, s49, 6, v7
	s_lshl_b32 s0, s48, 6
	v_subrev_u32_e32 v3, s0, v3
	s_mul_i32 s0, s49, 0x60
	v_add_u32_e32 v5, s0, v7
	s_mul_i32 s0, s48, 0x60
	s_ashr_i32 s19, s18, 31
	s_and_b64 s[36:37], s[2:3], s[4:5]
	s_and_b64 s[38:39], s[2:3], s[10:11]
	;; [unrolled: 1-line block ×12, first 2 shown]
	v_subrev_u32_e32 v5, s0, v5
	s_lshl_b64 s[0:1], s[18:19], 2
	s_add_u32 s14, s54, s0
	s_mul_i32 s51, s16, s16
	s_mov_b32 s52, 0
	s_movk_i32 s53, 0x60
	v_mul_lo_u32 v1, s16, v1
	v_mul_lo_u32 v3, s16, v3
	;; [unrolled: 1-line block ×4, first 2 shown]
	s_addc_u32 s15, s55, s1
	s_branch .LBB115_13
.LBB115_12:                             ;   in Loop: Header=BB115_13 Depth=1
	s_or_b64 exec, exec, s[48:49]
	s_add_i32 s18, s18, 1
	s_add_i32 s52, s52, s51
	s_add_u32 s14, s14, 4
	s_addc_u32 s15, s15, 0
	v_add_u32_e32 v12, s51, v12
	v_add_u32_e32 v13, s51, v13
	;; [unrolled: 1-line block ×7, first 2 shown]
	s_cmp_ge_i32 s18, s50
	v_add_u32_e32 v7, s16, v7
	s_cbranch_scc1 .LBB115_45
.LBB115_13:                             ; =>This Inner Loop Header: Depth=1
	s_load_dword s0, s[14:15], 0x0
	v_add_u32_e32 v20, s52, v6
	s_waitcnt lgkmcnt(0)
	s_sub_i32 s0, s0, s33
	s_mul_i32 s19, s0, s16
	s_add_i32 s19, s19, s17
	v_add_u32_e32 v16, s19, v8
	s_and_saveexec_b64 s[48:49], s[26:27]
	s_cbranch_execz .LBB115_15
; %bb.14:                               ;   in Loop: Header=BB115_13 Depth=1
	v_add_u32_e32 v17, v8, v15
	v_cndmask_b32_e32 v18, v20, v17, vcc
	v_ashrrev_i32_e32 v19, 31, v18
	v_lshlrev_b64 v[18:19], 2, v[18:19]
	v_mov_b32_e32 v17, s23
	v_add_co_u32_e64 v18, s[0:1], s22, v18
	v_addc_co_u32_e64 v19, s[0:1], v17, v19, s[0:1]
	global_load_dword v17, v[18:19], off
	v_add_u32_e32 v18, v8, v7
	v_ashrrev_i32_e32 v19, 31, v18
	v_lshlrev_b64 v[18:19], 2, v[18:19]
	v_mov_b32_e32 v21, s25
	v_add_co_u32_e64 v22, s[0:1], s24, v18
	v_addc_co_u32_e64 v23, s[0:1], v21, v19, s[0:1]
	v_mov_b32_e32 v21, s21
	v_add_co_u32_e64 v18, s[0:1], s20, v18
	v_addc_co_u32_e64 v19, s[0:1], v21, v19, s[0:1]
	global_store_dword v[22:23], v16, off
	s_waitcnt vmcnt(1)
	global_store_dword v[18:19], v17, off
.LBB115_15:                             ;   in Loop: Header=BB115_13 Depth=1
	s_or_b64 exec, exec, s[48:49]
	v_add_u32_e32 v17, s19, v9
	v_add_u32_e32 v21, s52, v4
	s_and_saveexec_b64 s[48:49], s[28:29]
	s_cbranch_execz .LBB115_17
; %bb.16:                               ;   in Loop: Header=BB115_13 Depth=1
	v_add3_u32 v18, v8, v15, 32
	v_cndmask_b32_e32 v18, v21, v18, vcc
	v_ashrrev_i32_e32 v19, 31, v18
	v_lshlrev_b64 v[18:19], 2, v[18:19]
	v_mov_b32_e32 v22, s23
	v_add_co_u32_e64 v18, s[0:1], s22, v18
	v_addc_co_u32_e64 v19, s[0:1], v22, v19, s[0:1]
	global_load_dword v24, v[18:19], off
	v_add3_u32 v18, v8, v7, 32
	v_ashrrev_i32_e32 v19, 31, v18
	v_lshlrev_b64 v[18:19], 2, v[18:19]
	v_mov_b32_e32 v23, s25
	v_add_co_u32_e64 v22, s[0:1], s24, v18
	v_addc_co_u32_e64 v23, s[0:1], v23, v19, s[0:1]
	global_store_dword v[22:23], v17, off
	v_mov_b32_e32 v22, s21
	v_add_co_u32_e64 v18, s[0:1], s20, v18
	v_addc_co_u32_e64 v19, s[0:1], v22, v19, s[0:1]
	s_waitcnt vmcnt(1)
	global_store_dword v[18:19], v24, off
.LBB115_17:                             ;   in Loop: Header=BB115_13 Depth=1
	s_or_b64 exec, exec, s[48:49]
	v_add_u32_e32 v18, s19, v10
	v_add_u32_e32 v22, s52, v2
	s_and_saveexec_b64 s[48:49], s[30:31]
	s_cbranch_execz .LBB115_19
; %bb.18:                               ;   in Loop: Header=BB115_13 Depth=1
	v_add3_u32 v19, v8, v15, 64
	v_cndmask_b32_e32 v24, v22, v19, vcc
	v_ashrrev_i32_e32 v25, 31, v24
	v_lshlrev_b64 v[24:25], 2, v[24:25]
	v_mov_b32_e32 v19, s23
	v_add_co_u32_e64 v24, s[0:1], s22, v24
	v_addc_co_u32_e64 v25, s[0:1], v19, v25, s[0:1]
	global_load_dword v19, v[24:25], off
	v_add3_u32 v24, v8, v7, 64
	v_ashrrev_i32_e32 v25, 31, v24
	v_lshlrev_b64 v[24:25], 2, v[24:25]
	v_mov_b32_e32 v23, s25
	v_add_co_u32_e64 v26, s[0:1], s24, v24
	v_addc_co_u32_e64 v27, s[0:1], v23, v25, s[0:1]
	v_mov_b32_e32 v23, s21
	v_add_co_u32_e64 v24, s[0:1], s20, v24
	v_addc_co_u32_e64 v25, s[0:1], v23, v25, s[0:1]
	global_store_dword v[26:27], v18, off
	s_waitcnt vmcnt(1)
	global_store_dword v[24:25], v19, off
.LBB115_19:                             ;   in Loop: Header=BB115_13 Depth=1
	s_or_b64 exec, exec, s[48:49]
	v_add_u32_e32 v19, s19, v11
	v_add_u32_e32 v23, s52, v0
	s_and_saveexec_b64 s[48:49], s[34:35]
	s_cbranch_execnz .LBB115_32
; %bb.20:                               ;   in Loop: Header=BB115_13 Depth=1
	s_or_b64 exec, exec, s[48:49]
	v_add_u32_e32 v24, v8, v12
	s_and_saveexec_b64 s[48:49], s[36:37]
	s_cbranch_execnz .LBB115_33
.LBB115_21:                             ;   in Loop: Header=BB115_13 Depth=1
	s_or_b64 exec, exec, s[48:49]
	s_and_saveexec_b64 s[48:49], s[38:39]
	s_cbranch_execnz .LBB115_34
.LBB115_22:                             ;   in Loop: Header=BB115_13 Depth=1
	s_or_b64 exec, exec, s[48:49]
	s_and_saveexec_b64 s[48:49], s[40:41]
	s_cbranch_execnz .LBB115_35
.LBB115_23:                             ;   in Loop: Header=BB115_13 Depth=1
	s_or_b64 exec, exec, s[48:49]
	s_and_saveexec_b64 s[48:49], s[2:3]
	s_cbranch_execnz .LBB115_36
.LBB115_24:                             ;   in Loop: Header=BB115_13 Depth=1
	s_or_b64 exec, exec, s[48:49]
	v_add_u32_e32 v24, v8, v13
	s_and_saveexec_b64 s[48:49], s[42:43]
	s_cbranch_execnz .LBB115_37
.LBB115_25:                             ;   in Loop: Header=BB115_13 Depth=1
	s_or_b64 exec, exec, s[48:49]
	s_and_saveexec_b64 s[48:49], s[44:45]
	s_cbranch_execnz .LBB115_38
.LBB115_26:                             ;   in Loop: Header=BB115_13 Depth=1
	s_or_b64 exec, exec, s[48:49]
	s_and_saveexec_b64 s[48:49], s[46:47]
	s_cbranch_execnz .LBB115_39
.LBB115_27:                             ;   in Loop: Header=BB115_13 Depth=1
	s_or_b64 exec, exec, s[48:49]
	s_and_saveexec_b64 s[48:49], s[6:7]
	s_cbranch_execnz .LBB115_40
.LBB115_28:                             ;   in Loop: Header=BB115_13 Depth=1
	s_or_b64 exec, exec, s[48:49]
	v_add_u32_e32 v24, v8, v14
	s_and_saveexec_b64 s[48:49], s[4:5]
	s_cbranch_execnz .LBB115_41
.LBB115_29:                             ;   in Loop: Header=BB115_13 Depth=1
	s_or_b64 exec, exec, s[48:49]
	s_and_saveexec_b64 s[48:49], s[10:11]
	s_cbranch_execnz .LBB115_42
.LBB115_30:                             ;   in Loop: Header=BB115_13 Depth=1
	s_or_b64 exec, exec, s[48:49]
	s_and_saveexec_b64 s[48:49], s[12:13]
	s_cbranch_execnz .LBB115_43
.LBB115_31:                             ;   in Loop: Header=BB115_13 Depth=1
	s_or_b64 exec, exec, s[48:49]
	s_and_saveexec_b64 s[48:49], s[8:9]
	s_cbranch_execz .LBB115_12
	s_branch .LBB115_44
.LBB115_32:                             ;   in Loop: Header=BB115_13 Depth=1
	v_add3_u32 v24, v8, v15, s53
	v_cndmask_b32_e32 v24, v23, v24, vcc
	v_ashrrev_i32_e32 v25, 31, v24
	v_lshlrev_b64 v[24:25], 2, v[24:25]
	v_mov_b32_e32 v26, s23
	v_add_co_u32_e64 v24, s[0:1], s22, v24
	v_addc_co_u32_e64 v25, s[0:1], v26, v25, s[0:1]
	global_load_dword v28, v[24:25], off
	v_add3_u32 v24, v8, v7, s53
	v_ashrrev_i32_e32 v25, 31, v24
	v_lshlrev_b64 v[24:25], 2, v[24:25]
	v_mov_b32_e32 v27, s25
	v_add_co_u32_e64 v26, s[0:1], s24, v24
	v_addc_co_u32_e64 v27, s[0:1], v27, v25, s[0:1]
	global_store_dword v[26:27], v19, off
	v_mov_b32_e32 v26, s21
	v_add_co_u32_e64 v24, s[0:1], s20, v24
	v_addc_co_u32_e64 v25, s[0:1], v26, v25, s[0:1]
	s_waitcnt vmcnt(1)
	global_store_dword v[24:25], v28, off
	s_or_b64 exec, exec, s[48:49]
	v_add_u32_e32 v24, v8, v12
	s_and_saveexec_b64 s[48:49], s[36:37]
	s_cbranch_execz .LBB115_21
.LBB115_33:                             ;   in Loop: Header=BB115_13 Depth=1
	v_add3_u32 v25, v6, s52, 32
	v_cndmask_b32_e32 v26, v25, v24, vcc
	v_ashrrev_i32_e32 v27, 31, v26
	v_lshlrev_b64 v[26:27], 2, v[26:27]
	v_mov_b32_e32 v25, s23
	v_add_co_u32_e64 v26, s[0:1], s22, v26
	v_addc_co_u32_e64 v27, s[0:1], v25, v27, s[0:1]
	global_load_dword v25, v[26:27], off
	v_add_u32_e32 v26, v8, v1
	v_ashrrev_i32_e32 v27, 31, v26
	v_lshlrev_b64 v[26:27], 2, v[26:27]
	v_mov_b32_e32 v29, s25
	v_add_co_u32_e64 v28, s[0:1], s24, v26
	v_addc_co_u32_e64 v29, s[0:1], v29, v27, s[0:1]
	global_store_dword v[28:29], v16, off
	v_mov_b32_e32 v28, s21
	v_add_co_u32_e64 v26, s[0:1], s20, v26
	v_addc_co_u32_e64 v27, s[0:1], v28, v27, s[0:1]
	s_waitcnt vmcnt(1)
	global_store_dword v[26:27], v25, off
	s_or_b64 exec, exec, s[48:49]
	s_and_saveexec_b64 s[48:49], s[38:39]
	s_cbranch_execz .LBB115_22
.LBB115_34:                             ;   in Loop: Header=BB115_13 Depth=1
	v_cndmask_b32_e32 v24, v21, v24, vcc
	v_add_u32_e32 v24, 32, v24
	v_ashrrev_i32_e32 v25, 31, v24
	v_lshlrev_b64 v[24:25], 2, v[24:25]
	v_mov_b32_e32 v26, s23
	v_add_co_u32_e64 v24, s[0:1], s22, v24
	v_addc_co_u32_e64 v25, s[0:1], v26, v25, s[0:1]
	global_load_dword v28, v[24:25], off
	v_add3_u32 v24, v8, v1, 32
	v_ashrrev_i32_e32 v25, 31, v24
	v_lshlrev_b64 v[24:25], 2, v[24:25]
	v_mov_b32_e32 v27, s25
	v_add_co_u32_e64 v26, s[0:1], s24, v24
	v_addc_co_u32_e64 v27, s[0:1], v27, v25, s[0:1]
	global_store_dword v[26:27], v17, off
	v_mov_b32_e32 v26, s21
	v_add_co_u32_e64 v24, s[0:1], s20, v24
	v_addc_co_u32_e64 v25, s[0:1], v26, v25, s[0:1]
	s_waitcnt vmcnt(1)
	global_store_dword v[24:25], v28, off
	s_or_b64 exec, exec, s[48:49]
	s_and_saveexec_b64 s[48:49], s[40:41]
	s_cbranch_execz .LBB115_23
.LBB115_35:                             ;   in Loop: Header=BB115_13 Depth=1
	v_add3_u32 v24, v8, v12, 64
	v_add3_u32 v25, v2, s52, 32
	v_cndmask_b32_e32 v24, v25, v24, vcc
	v_ashrrev_i32_e32 v25, 31, v24
	v_lshlrev_b64 v[24:25], 2, v[24:25]
	v_mov_b32_e32 v26, s23
	v_add_co_u32_e64 v24, s[0:1], s22, v24
	v_addc_co_u32_e64 v25, s[0:1], v26, v25, s[0:1]
	global_load_dword v28, v[24:25], off
	v_add3_u32 v24, v8, v1, 64
	v_ashrrev_i32_e32 v25, 31, v24
	v_lshlrev_b64 v[24:25], 2, v[24:25]
	v_mov_b32_e32 v27, s25
	v_add_co_u32_e64 v26, s[0:1], s24, v24
	v_addc_co_u32_e64 v27, s[0:1], v27, v25, s[0:1]
	global_store_dword v[26:27], v18, off
	v_mov_b32_e32 v26, s21
	v_add_co_u32_e64 v24, s[0:1], s20, v24
	v_addc_co_u32_e64 v25, s[0:1], v26, v25, s[0:1]
	s_waitcnt vmcnt(1)
	global_store_dword v[24:25], v28, off
	s_or_b64 exec, exec, s[48:49]
	s_and_saveexec_b64 s[48:49], s[2:3]
	s_cbranch_execz .LBB115_24
.LBB115_36:                             ;   in Loop: Header=BB115_13 Depth=1
	v_add3_u32 v24, v8, v12, s53
	v_add3_u32 v25, v0, s52, 32
	v_cndmask_b32_e32 v24, v25, v24, vcc
	v_ashrrev_i32_e32 v25, 31, v24
	v_lshlrev_b64 v[24:25], 2, v[24:25]
	v_mov_b32_e32 v26, s23
	v_add_co_u32_e64 v24, s[0:1], s22, v24
	v_addc_co_u32_e64 v25, s[0:1], v26, v25, s[0:1]
	global_load_dword v28, v[24:25], off
	v_add3_u32 v24, v8, v1, s53
	v_ashrrev_i32_e32 v25, 31, v24
	v_lshlrev_b64 v[24:25], 2, v[24:25]
	v_mov_b32_e32 v27, s25
	v_add_co_u32_e64 v26, s[0:1], s24, v24
	v_addc_co_u32_e64 v27, s[0:1], v27, v25, s[0:1]
	global_store_dword v[26:27], v19, off
	v_mov_b32_e32 v26, s21
	v_add_co_u32_e64 v24, s[0:1], s20, v24
	v_addc_co_u32_e64 v25, s[0:1], v26, v25, s[0:1]
	s_waitcnt vmcnt(1)
	global_store_dword v[24:25], v28, off
	s_or_b64 exec, exec, s[48:49]
	v_add_u32_e32 v24, v8, v13
	s_and_saveexec_b64 s[48:49], s[42:43]
	s_cbranch_execz .LBB115_25
.LBB115_37:                             ;   in Loop: Header=BB115_13 Depth=1
	v_add3_u32 v25, v6, s52, 64
	v_cndmask_b32_e32 v26, v25, v24, vcc
	v_ashrrev_i32_e32 v27, 31, v26
	v_lshlrev_b64 v[26:27], 2, v[26:27]
	v_mov_b32_e32 v25, s23
	v_add_co_u32_e64 v26, s[0:1], s22, v26
	v_addc_co_u32_e64 v27, s[0:1], v25, v27, s[0:1]
	global_load_dword v25, v[26:27], off
	v_add_u32_e32 v26, v8, v3
	v_ashrrev_i32_e32 v27, 31, v26
	v_lshlrev_b64 v[26:27], 2, v[26:27]
	v_mov_b32_e32 v29, s25
	v_add_co_u32_e64 v28, s[0:1], s24, v26
	v_addc_co_u32_e64 v29, s[0:1], v29, v27, s[0:1]
	global_store_dword v[28:29], v16, off
	v_mov_b32_e32 v28, s21
	v_add_co_u32_e64 v26, s[0:1], s20, v26
	v_addc_co_u32_e64 v27, s[0:1], v28, v27, s[0:1]
	s_waitcnt vmcnt(1)
	global_store_dword v[26:27], v25, off
	s_or_b64 exec, exec, s[48:49]
	s_and_saveexec_b64 s[48:49], s[44:45]
	s_cbranch_execz .LBB115_26
.LBB115_38:                             ;   in Loop: Header=BB115_13 Depth=1
	v_add3_u32 v25, v8, v13, 32
	v_add3_u32 v26, v4, s52, 64
	v_cndmask_b32_e32 v26, v26, v25, vcc
	v_ashrrev_i32_e32 v27, 31, v26
	v_lshlrev_b64 v[26:27], 2, v[26:27]
	v_mov_b32_e32 v25, s23
	v_add_co_u32_e64 v26, s[0:1], s22, v26
	v_addc_co_u32_e64 v27, s[0:1], v25, v27, s[0:1]
	global_load_dword v25, v[26:27], off
	v_add3_u32 v26, v8, v3, 32
	v_ashrrev_i32_e32 v27, 31, v26
	v_lshlrev_b64 v[26:27], 2, v[26:27]
	v_mov_b32_e32 v29, s25
	v_add_co_u32_e64 v28, s[0:1], s24, v26
	v_addc_co_u32_e64 v29, s[0:1], v29, v27, s[0:1]
	global_store_dword v[28:29], v17, off
	v_mov_b32_e32 v28, s21
	v_add_co_u32_e64 v26, s[0:1], s20, v26
	v_addc_co_u32_e64 v27, s[0:1], v28, v27, s[0:1]
	s_waitcnt vmcnt(1)
	global_store_dword v[26:27], v25, off
	s_or_b64 exec, exec, s[48:49]
	s_and_saveexec_b64 s[48:49], s[46:47]
	s_cbranch_execz .LBB115_27
.LBB115_39:                             ;   in Loop: Header=BB115_13 Depth=1
	v_cndmask_b32_e32 v24, v22, v24, vcc
	v_add_u32_e32 v24, 64, v24
	v_ashrrev_i32_e32 v25, 31, v24
	v_lshlrev_b64 v[24:25], 2, v[24:25]
	v_mov_b32_e32 v26, s23
	v_add_co_u32_e64 v24, s[0:1], s22, v24
	v_addc_co_u32_e64 v25, s[0:1], v26, v25, s[0:1]
	global_load_dword v28, v[24:25], off
	v_add3_u32 v24, v8, v3, 64
	v_ashrrev_i32_e32 v25, 31, v24
	v_lshlrev_b64 v[24:25], 2, v[24:25]
	v_mov_b32_e32 v27, s25
	v_add_co_u32_e64 v26, s[0:1], s24, v24
	v_addc_co_u32_e64 v27, s[0:1], v27, v25, s[0:1]
	global_store_dword v[26:27], v18, off
	v_mov_b32_e32 v26, s21
	v_add_co_u32_e64 v24, s[0:1], s20, v24
	v_addc_co_u32_e64 v25, s[0:1], v26, v25, s[0:1]
	s_waitcnt vmcnt(1)
	global_store_dword v[24:25], v28, off
	s_or_b64 exec, exec, s[48:49]
	s_and_saveexec_b64 s[48:49], s[6:7]
	s_cbranch_execz .LBB115_28
.LBB115_40:                             ;   in Loop: Header=BB115_13 Depth=1
	v_add3_u32 v24, v8, v13, s53
	v_add3_u32 v25, v0, s52, 64
	v_cndmask_b32_e32 v24, v25, v24, vcc
	v_ashrrev_i32_e32 v25, 31, v24
	v_lshlrev_b64 v[24:25], 2, v[24:25]
	v_mov_b32_e32 v26, s23
	v_add_co_u32_e64 v24, s[0:1], s22, v24
	v_addc_co_u32_e64 v25, s[0:1], v26, v25, s[0:1]
	global_load_dword v28, v[24:25], off
	v_add3_u32 v24, v8, v3, s53
	v_ashrrev_i32_e32 v25, 31, v24
	v_lshlrev_b64 v[24:25], 2, v[24:25]
	v_mov_b32_e32 v27, s25
	v_add_co_u32_e64 v26, s[0:1], s24, v24
	v_addc_co_u32_e64 v27, s[0:1], v27, v25, s[0:1]
	global_store_dword v[26:27], v19, off
	v_mov_b32_e32 v26, s21
	v_add_co_u32_e64 v24, s[0:1], s20, v24
	v_addc_co_u32_e64 v25, s[0:1], v26, v25, s[0:1]
	s_waitcnt vmcnt(1)
	global_store_dword v[24:25], v28, off
	s_or_b64 exec, exec, s[48:49]
	v_add_u32_e32 v24, v8, v14
	s_and_saveexec_b64 s[48:49], s[4:5]
	s_cbranch_execz .LBB115_29
.LBB115_41:                             ;   in Loop: Header=BB115_13 Depth=1
	v_add_u32_e32 v20, 0x60, v20
	v_cndmask_b32_e32 v26, v20, v24, vcc
	v_ashrrev_i32_e32 v27, 31, v26
	v_lshlrev_b64 v[26:27], 2, v[26:27]
	v_mov_b32_e32 v20, s23
	v_add_co_u32_e64 v26, s[0:1], s22, v26
	v_addc_co_u32_e64 v27, s[0:1], v20, v27, s[0:1]
	global_load_dword v20, v[26:27], off
	v_add_u32_e32 v26, v8, v5
	v_ashrrev_i32_e32 v27, 31, v26
	v_lshlrev_b64 v[26:27], 2, v[26:27]
	v_mov_b32_e32 v25, s25
	v_add_co_u32_e64 v28, s[0:1], s24, v26
	v_addc_co_u32_e64 v29, s[0:1], v25, v27, s[0:1]
	global_store_dword v[28:29], v16, off
	v_mov_b32_e32 v16, s21
	v_add_co_u32_e64 v26, s[0:1], s20, v26
	v_addc_co_u32_e64 v27, s[0:1], v16, v27, s[0:1]
	s_waitcnt vmcnt(1)
	global_store_dword v[26:27], v20, off
	s_or_b64 exec, exec, s[48:49]
	s_and_saveexec_b64 s[48:49], s[10:11]
	s_cbranch_execz .LBB115_30
.LBB115_42:                             ;   in Loop: Header=BB115_13 Depth=1
	v_add3_u32 v16, v8, v14, 32
	v_add_u32_e32 v20, 0x60, v21
	v_cndmask_b32_e32 v20, v20, v16, vcc
	v_ashrrev_i32_e32 v21, 31, v20
	v_lshlrev_b64 v[20:21], 2, v[20:21]
	v_mov_b32_e32 v16, s23
	v_add_co_u32_e64 v20, s[0:1], s22, v20
	v_addc_co_u32_e64 v21, s[0:1], v16, v21, s[0:1]
	global_load_dword v25, v[20:21], off
	v_add3_u32 v20, v8, v5, 32
	v_ashrrev_i32_e32 v21, 31, v20
	v_lshlrev_b64 v[20:21], 2, v[20:21]
	v_mov_b32_e32 v16, s25
	v_add_co_u32_e64 v26, s[0:1], s24, v20
	v_addc_co_u32_e64 v27, s[0:1], v16, v21, s[0:1]
	global_store_dword v[26:27], v17, off
	v_mov_b32_e32 v17, s21
	v_add_co_u32_e64 v16, s[0:1], s20, v20
	v_addc_co_u32_e64 v17, s[0:1], v17, v21, s[0:1]
	s_waitcnt vmcnt(1)
	global_store_dword v[16:17], v25, off
	s_or_b64 exec, exec, s[48:49]
	s_and_saveexec_b64 s[48:49], s[12:13]
	s_cbranch_execz .LBB115_31
.LBB115_43:                             ;   in Loop: Header=BB115_13 Depth=1
	v_add3_u32 v16, v8, v14, 64
	v_add_u32_e32 v17, 0x60, v22
	v_cndmask_b32_e32 v16, v17, v16, vcc
	v_ashrrev_i32_e32 v17, 31, v16
	v_lshlrev_b64 v[16:17], 2, v[16:17]
	v_mov_b32_e32 v20, s23
	v_add_co_u32_e64 v16, s[0:1], s22, v16
	v_addc_co_u32_e64 v17, s[0:1], v20, v17, s[0:1]
	global_load_dword v22, v[16:17], off
	v_add3_u32 v16, v8, v5, 64
	v_ashrrev_i32_e32 v17, 31, v16
	v_lshlrev_b64 v[16:17], 2, v[16:17]
	v_mov_b32_e32 v21, s25
	v_add_co_u32_e64 v20, s[0:1], s24, v16
	v_addc_co_u32_e64 v21, s[0:1], v21, v17, s[0:1]
	global_store_dword v[20:21], v18, off
	v_mov_b32_e32 v18, s21
	v_add_co_u32_e64 v16, s[0:1], s20, v16
	v_addc_co_u32_e64 v17, s[0:1], v18, v17, s[0:1]
	s_waitcnt vmcnt(1)
	global_store_dword v[16:17], v22, off
	s_or_b64 exec, exec, s[48:49]
	s_and_saveexec_b64 s[48:49], s[8:9]
	s_cbranch_execz .LBB115_12
.LBB115_44:                             ;   in Loop: Header=BB115_13 Depth=1
	v_cndmask_b32_e32 v16, v23, v24, vcc
	v_add_u32_e32 v16, 0x60, v16
	v_ashrrev_i32_e32 v17, 31, v16
	v_lshlrev_b64 v[16:17], 2, v[16:17]
	v_mov_b32_e32 v18, s23
	v_add_co_u32_e64 v16, s[0:1], s22, v16
	v_addc_co_u32_e64 v17, s[0:1], v18, v17, s[0:1]
	global_load_dword v18, v[16:17], off
	v_add3_u32 v16, v8, v5, s53
	v_ashrrev_i32_e32 v17, 31, v16
	v_lshlrev_b64 v[16:17], 2, v[16:17]
	v_mov_b32_e32 v21, s25
	v_add_co_u32_e64 v20, s[0:1], s24, v16
	v_addc_co_u32_e64 v21, s[0:1], v21, v17, s[0:1]
	global_store_dword v[20:21], v19, off
	v_mov_b32_e32 v19, s21
	v_add_co_u32_e64 v16, s[0:1], s20, v16
	v_addc_co_u32_e64 v17, s[0:1], v19, v17, s[0:1]
	s_waitcnt vmcnt(1)
	global_store_dword v[16:17], v18, off
	s_branch .LBB115_12
.LBB115_45:
	s_endpgm
	.section	.rodata,"a",@progbits
	.p2align	6, 0x0
	.amdhsa_kernel _ZN9rocsparseL35bsr2csr_block_per_row_33_256_kernelILj1024ELj128ELj32EfiiEEv20rocsparse_direction_T4_S2_21rocsparse_index_base_PKT2_PKT3_PKS2_S2_S3_PS4_PS7_PS2_
		.amdhsa_group_segment_fixed_size 0
		.amdhsa_private_segment_fixed_size 0
		.amdhsa_kernarg_size 72
		.amdhsa_user_sgpr_count 6
		.amdhsa_user_sgpr_private_segment_buffer 1
		.amdhsa_user_sgpr_dispatch_ptr 0
		.amdhsa_user_sgpr_queue_ptr 0
		.amdhsa_user_sgpr_kernarg_segment_ptr 1
		.amdhsa_user_sgpr_dispatch_id 0
		.amdhsa_user_sgpr_flat_scratch_init 0
		.amdhsa_user_sgpr_kernarg_preload_length 0
		.amdhsa_user_sgpr_kernarg_preload_offset 0
		.amdhsa_user_sgpr_private_segment_size 0
		.amdhsa_uses_dynamic_stack 0
		.amdhsa_system_sgpr_private_segment_wavefront_offset 0
		.amdhsa_system_sgpr_workgroup_id_x 1
		.amdhsa_system_sgpr_workgroup_id_y 0
		.amdhsa_system_sgpr_workgroup_id_z 0
		.amdhsa_system_sgpr_workgroup_info 0
		.amdhsa_system_vgpr_workitem_id 0
		.amdhsa_next_free_vgpr 30
		.amdhsa_next_free_sgpr 56
		.amdhsa_accum_offset 32
		.amdhsa_reserve_vcc 1
		.amdhsa_reserve_flat_scratch 0
		.amdhsa_float_round_mode_32 0
		.amdhsa_float_round_mode_16_64 0
		.amdhsa_float_denorm_mode_32 3
		.amdhsa_float_denorm_mode_16_64 3
		.amdhsa_dx10_clamp 1
		.amdhsa_ieee_mode 1
		.amdhsa_fp16_overflow 0
		.amdhsa_tg_split 0
		.amdhsa_exception_fp_ieee_invalid_op 0
		.amdhsa_exception_fp_denorm_src 0
		.amdhsa_exception_fp_ieee_div_zero 0
		.amdhsa_exception_fp_ieee_overflow 0
		.amdhsa_exception_fp_ieee_underflow 0
		.amdhsa_exception_fp_ieee_inexact 0
		.amdhsa_exception_int_div_zero 0
	.end_amdhsa_kernel
	.section	.text._ZN9rocsparseL35bsr2csr_block_per_row_33_256_kernelILj1024ELj128ELj32EfiiEEv20rocsparse_direction_T4_S2_21rocsparse_index_base_PKT2_PKT3_PKS2_S2_S3_PS4_PS7_PS2_,"axG",@progbits,_ZN9rocsparseL35bsr2csr_block_per_row_33_256_kernelILj1024ELj128ELj32EfiiEEv20rocsparse_direction_T4_S2_21rocsparse_index_base_PKT2_PKT3_PKS2_S2_S3_PS4_PS7_PS2_,comdat
.Lfunc_end115:
	.size	_ZN9rocsparseL35bsr2csr_block_per_row_33_256_kernelILj1024ELj128ELj32EfiiEEv20rocsparse_direction_T4_S2_21rocsparse_index_base_PKT2_PKT3_PKS2_S2_S3_PS4_PS7_PS2_, .Lfunc_end115-_ZN9rocsparseL35bsr2csr_block_per_row_33_256_kernelILj1024ELj128ELj32EfiiEEv20rocsparse_direction_T4_S2_21rocsparse_index_base_PKT2_PKT3_PKS2_S2_S3_PS4_PS7_PS2_
                                        ; -- End function
	.section	.AMDGPU.csdata,"",@progbits
; Kernel info:
; codeLenInByte = 3488
; NumSgprs: 60
; NumVgprs: 30
; NumAgprs: 0
; TotalNumVgprs: 30
; ScratchSize: 0
; MemoryBound: 0
; FloatMode: 240
; IeeeMode: 1
; LDSByteSize: 0 bytes/workgroup (compile time only)
; SGPRBlocks: 7
; VGPRBlocks: 3
; NumSGPRsForWavesPerEU: 60
; NumVGPRsForWavesPerEU: 30
; AccumOffset: 32
; Occupancy: 8
; WaveLimiterHint : 1
; COMPUTE_PGM_RSRC2:SCRATCH_EN: 0
; COMPUTE_PGM_RSRC2:USER_SGPR: 6
; COMPUTE_PGM_RSRC2:TRAP_HANDLER: 0
; COMPUTE_PGM_RSRC2:TGID_X_EN: 1
; COMPUTE_PGM_RSRC2:TGID_Y_EN: 0
; COMPUTE_PGM_RSRC2:TGID_Z_EN: 0
; COMPUTE_PGM_RSRC2:TIDIG_COMP_CNT: 0
; COMPUTE_PGM_RSRC3_GFX90A:ACCUM_OFFSET: 7
; COMPUTE_PGM_RSRC3_GFX90A:TG_SPLIT: 0
	.section	.text._ZN9rocsparseL35bsr2csr_block_per_row_33_256_kernelILj1024ELj256ELj32EfiiEEv20rocsparse_direction_T4_S2_21rocsparse_index_base_PKT2_PKT3_PKS2_S2_S3_PS4_PS7_PS2_,"axG",@progbits,_ZN9rocsparseL35bsr2csr_block_per_row_33_256_kernelILj1024ELj256ELj32EfiiEEv20rocsparse_direction_T4_S2_21rocsparse_index_base_PKT2_PKT3_PKS2_S2_S3_PS4_PS7_PS2_,comdat
	.globl	_ZN9rocsparseL35bsr2csr_block_per_row_33_256_kernelILj1024ELj256ELj32EfiiEEv20rocsparse_direction_T4_S2_21rocsparse_index_base_PKT2_PKT3_PKS2_S2_S3_PS4_PS7_PS2_ ; -- Begin function _ZN9rocsparseL35bsr2csr_block_per_row_33_256_kernelILj1024ELj256ELj32EfiiEEv20rocsparse_direction_T4_S2_21rocsparse_index_base_PKT2_PKT3_PKS2_S2_S3_PS4_PS7_PS2_
	.p2align	8
	.type	_ZN9rocsparseL35bsr2csr_block_per_row_33_256_kernelILj1024ELj256ELj32EfiiEEv20rocsparse_direction_T4_S2_21rocsparse_index_base_PKT2_PKT3_PKS2_S2_S3_PS4_PS7_PS2_,@function
_ZN9rocsparseL35bsr2csr_block_per_row_33_256_kernelILj1024ELj256ELj32EfiiEEv20rocsparse_direction_T4_S2_21rocsparse_index_base_PKT2_PKT3_PKS2_S2_S3_PS4_PS7_PS2_: ; @_ZN9rocsparseL35bsr2csr_block_per_row_33_256_kernelILj1024ELj256ELj32EfiiEEv20rocsparse_direction_T4_S2_21rocsparse_index_base_PKT2_PKT3_PKS2_S2_S3_PS4_PS7_PS2_
; %bb.0:
	s_load_dwordx2 s[0:1], s[4:5], 0x18
	s_load_dwordx2 s[36:37], s[4:5], 0x28
	;; [unrolled: 1-line block ×3, first 2 shown]
	s_ashr_i32 s7, s6, 31
	s_lshl_b64 s[8:9], s[6:7], 2
	s_waitcnt lgkmcnt(0)
	s_add_u32 s0, s0, s8
	s_addc_u32 s1, s1, s9
	s_load_dwordx2 s[88:89], s[0:1], 0x0
	v_or_b32_e32 v1, s6, v0
	v_cmp_eq_u32_e32 vcc, 0, v1
	s_and_saveexec_b64 s[0:1], vcc
	s_cbranch_execz .LBB116_2
; %bb.1:
	v_mov_b32_e32 v1, 0
	v_mov_b32_e32 v2, s37
	global_store_dword v1, v2, s[2:3]
.LBB116_2:
	s_or_b64 exec, exec, s[0:1]
	s_load_dword s0, s[4:5], 0xc
                                        ; implicit-def: $vgpr55 : SGPR spill to VGPR lane
	v_lshrrev_b32_e32 v18, 5, v0
	s_mul_i32 s20, s6, s36
	s_waitcnt lgkmcnt(0)
	s_sub_i32 s38, s88, s0
	v_writelane_b32 v55, s0, 0
	s_sub_i32 s0, s89, s0
	s_mul_i32 s33, s38, s36
	s_mov_b32 s95, s0
	s_sub_i32 s90, s0, s38
	s_mul_i32 s0, s33, s36
	s_mul_i32 s21, s90, s36
	s_add_i32 s22, s0, s37
	s_add_i32 s22, s22, s21
	v_cmp_gt_i32_e64 s[0:1], s36, v18
	s_and_saveexec_b64 s[6:7], s[0:1]
	s_cbranch_execz .LBB116_4
; %bb.3:
	v_add_u32_e32 v2, s20, v18
	v_ashrrev_i32_e32 v3, 31, v2
	v_lshlrev_b64 v[2:3], 2, v[2:3]
	v_mul_lo_u32 v1, v18, s21
	v_mov_b32_e32 v4, s3
	v_add_co_u32_e32 v2, vcc, s2, v2
	v_add_u32_e32 v1, s22, v1
	v_addc_co_u32_e32 v3, vcc, v4, v3, vcc
	global_store_dword v[2:3], v1, off offset:4
.LBB116_4:
	s_or_b64 exec, exec, s[6:7]
	s_add_u32 s23, s2, 4
	v_or_b32_e32 v1, 32, v18
	s_addc_u32 s24, s3, 0
	v_cmp_gt_i32_e64 s[2:3], s36, v1
	s_and_saveexec_b64 s[6:7], s[2:3]
	s_cbranch_execz .LBB116_6
; %bb.5:
	s_ashr_i32 s8, s20, 31
	v_mov_b32_e32 v3, s8
	v_add_co_u32_e32 v2, vcc, s20, v18
	v_addc_co_u32_e32 v3, vcc, 0, v3, vcc
	v_lshlrev_b64 v[2:3], 2, v[2:3]
	v_mul_lo_u32 v1, v1, s21
	v_mov_b32_e32 v4, s24
	v_add_co_u32_e32 v2, vcc, s23, v2
	v_add_u32_e32 v1, s22, v1
	v_addc_co_u32_e32 v3, vcc, v4, v3, vcc
	global_store_dword v[2:3], v1, off offset:128
.LBB116_6:
	s_or_b64 exec, exec, s[6:7]
	v_or_b32_e32 v1, 64, v18
	v_cmp_gt_i32_e64 s[6:7], s36, v1
	s_and_saveexec_b64 s[8:9], s[6:7]
	s_cbranch_execz .LBB116_8
; %bb.7:
	s_ashr_i32 s10, s20, 31
	v_mov_b32_e32 v3, s10
	v_add_co_u32_e32 v2, vcc, s20, v18
	v_addc_co_u32_e32 v3, vcc, 0, v3, vcc
	v_lshlrev_b64 v[2:3], 2, v[2:3]
	v_mul_lo_u32 v1, v1, s21
	v_mov_b32_e32 v4, s24
	v_add_co_u32_e32 v2, vcc, s23, v2
	v_add_u32_e32 v1, s22, v1
	v_addc_co_u32_e32 v3, vcc, v4, v3, vcc
	global_store_dword v[2:3], v1, off offset:256
.LBB116_8:
	s_or_b64 exec, exec, s[8:9]
	v_or_b32_e32 v1, 0x60, v18
	;; [unrolled: 18-line block ×6, first 2 shown]
	v_cmp_gt_i32_e64 s[16:17], s36, v1
	s_and_saveexec_b64 s[18:19], s[16:17]
	s_cbranch_execz .LBB116_18
; %bb.17:
	v_mul_lo_u32 v1, v1, s21
	s_ashr_i32 s21, s20, 31
	v_mov_b32_e32 v3, s21
	v_add_co_u32_e32 v2, vcc, s20, v18
	v_addc_co_u32_e32 v3, vcc, 0, v3, vcc
	v_lshlrev_b64 v[2:3], 2, v[2:3]
	v_mov_b32_e32 v4, s24
	v_add_co_u32_e32 v2, vcc, s23, v2
	v_add_u32_e32 v1, s22, v1
	v_addc_co_u32_e32 v3, vcc, v4, v3, vcc
	global_store_dword v[2:3], v1, off offset:896
.LBB116_18:
	s_or_b64 exec, exec, s[18:19]
	s_cmp_lt_i32 s88, s89
	s_cbranch_scc0 .LBB116_149
; %bb.19:
	s_load_dword s22, s[4:5], 0x0
	v_and_b32_e32 v0, 31, v0
	v_or_b32_e32 v1, 32, v0
	v_add_u32_e32 v19, s33, v0
	v_add_u32_e32 v32, s33, v18
	v_cmp_gt_i32_e64 s[18:19], s36, v0
	s_waitcnt lgkmcnt(0)
	s_cmp_eq_u32 s22, 0
	v_mad_u64_u32 v[2:3], s[44:45], s36, v19, v[18:19]
	v_mad_u64_u32 v[4:5], s[44:45], s36, v32, v[0:1]
	s_cselect_b64 vcc, -1, 0
	s_and_b64 s[44:45], s[0:1], s[18:19]
	v_cmp_gt_i32_e64 s[20:21], s36, v1
	v_writelane_b32 v55, s44, 1
	v_or_b32_e32 v34, 64, v0
	v_writelane_b32 v55, s45, 2
	s_and_b64 s[44:45], s[0:1], s[20:21]
	v_cmp_gt_i32_e64 s[22:23], s36, v34
	v_writelane_b32 v55, s44, 3
	v_or_b32_e32 v35, 0x60, v0
	v_writelane_b32 v55, s45, 4
	;; [unrolled: 5-line block ×6, first 2 shown]
	s_and_b64 s[44:45], s[0:1], s[30:31]
	v_cmp_gt_i32_e64 s[34:35], s36, v39
	v_writelane_b32 v55, s44, 13
	v_writelane_b32 v55, s45, 14
	s_and_b64 s[0:1], s[0:1], s[34:35]
	v_writelane_b32 v55, s0, 15
	v_writelane_b32 v55, s1, 16
	s_and_b64 s[0:1], s[2:3], s[18:19]
	;; [unrolled: 3-line block ×21, first 2 shown]
	v_writelane_b32 v55, s0, 55
	v_writelane_b32 v55, s1, 56
	s_load_dwordx2 s[0:1], s[4:5], 0x20
	s_ashr_i32 s39, s38, 31
	s_and_b64 s[44:45], s[8:9], s[26:27]
	s_and_b64 s[46:47], s[8:9], s[28:29]
	;; [unrolled: 1-line block ×36, first 2 shown]
	s_lshl_b32 s91, s88, 7
	s_lshl_b32 s92, s88, 6
	;; [unrolled: 1-line block ×3, first 2 shown]
	s_lshl_b64 s[34:35], s[38:39], 2
	v_mul_lo_u32 v3, v18, s90
	s_waitcnt lgkmcnt(0)
	s_add_u32 s34, s0, s34
	v_add_u32_e32 v40, s33, v3
	s_mul_i32 s0, s89, 0xe0
	v_add_u32_e32 v3, s0, v40
	s_mul_i32 s0, s88, 0xe0
	v_subrev_u32_e32 v3, s0, v3
	s_mul_i32 s0, s89, 0xc0
	v_add_u32_e32 v5, s0, v40
	s_mul_i32 s0, s88, 0xc0
	v_subrev_u32_e32 v5, s0, v5
	;; [unrolled: 4-line block ×3, first 2 shown]
	v_lshl_add_u32 v6, s89, 7, v40
	s_mul_i32 s0, s89, 0x60
	v_subrev_u32_e32 v42, s91, v6
	v_add_u32_e32 v6, s0, v40
	s_mul_i32 s0, s88, 0x60
	v_lshl_add_u32 v7, s89, 6, v40
	v_subrev_u32_e32 v43, s0, v6
	v_add_u32_e32 v6, 0xe0, v19
	s_addc_u32 s35, s1, s35
	v_subrev_u32_e32 v44, s92, v7
	v_mad_u64_u32 v[6:7], s[0:1], s36, v6, v[18:19]
	v_lshl_add_u32 v8, s89, 5, v40
	v_add_u32_e32 v7, 0xc0, v19
	v_subrev_u32_e32 v45, s93, v8
	v_mad_u64_u32 v[8:9], s[0:1], s36, v7, v[18:19]
	v_add_u32_e32 v7, 0xa0, v19
	v_mad_u64_u32 v[10:11], s[0:1], s36, v7, v[18:19]
	v_add_u32_e32 v7, 0x80, v19
	;; [unrolled: 2-line block ×8, first 2 shown]
	s_load_dwordx2 s[40:41], s[4:5], 0x30
	s_load_dwordx2 s[42:43], s[4:5], 0x10
	v_mad_u64_u32 v[24:25], s[0:1], s36, v7, v[0:1]
	s_load_dwordx2 s[4:5], s[4:5], 0x40
	v_add_u32_e32 v7, 0x80, v32
	v_mad_u64_u32 v[26:27], s[0:1], s36, v7, v[0:1]
	v_add_u32_e32 v7, 0xa0, v32
	v_mad_u64_u32 v[28:29], s[0:1], s36, v7, v[0:1]
	;; [unrolled: 2-line block ×4, first 2 shown]
	v_mul_lo_u32 v3, s36, v3
	v_mul_lo_u32 v5, s36, v5
	v_mul_lo_u32 v7, s36, v41
	v_mul_lo_u32 v9, s36, v42
	v_mul_lo_u32 v11, s36, v43
	v_mul_lo_u32 v13, s36, v44
	v_mul_lo_u32 v15, s36, v45
	v_mul_lo_u32 v17, s36, v40
	v_cndmask_b32_e32 v19, v2, v4, vcc
	s_mov_b32 s39, 0
	s_movk_i32 s33, 0x60
	s_movk_i32 s90, 0x80
	;; [unrolled: 1-line block ×5, first 2 shown]
	s_branch .LBB116_21
.LBB116_20:                             ;   in Loop: Header=BB116_21 Depth=1
	s_or_b64 exec, exec, s[88:89]
	s_mul_i32 s0, s36, s36
	s_add_i32 s38, s38, 1
	s_add_i32 s39, s39, s0
	s_add_u32 s34, s34, 4
	s_addc_u32 s35, s35, 0
	v_add_u32_e32 v3, s36, v3
	v_add_u32_e32 v5, s36, v5
	;; [unrolled: 1-line block ×7, first 2 shown]
	s_cmp_ge_i32 s38, s95
	v_add_u32_e32 v17, s36, v17
	s_cbranch_scc1 .LBB116_149
.LBB116_21:                             ; =>This Inner Loop Header: Depth=1
	s_load_dword s0, s[34:35], 0x0
	v_readlane_b32 s1, v55, 0
	s_waitcnt lgkmcnt(0)
	s_sub_i32 s0, s0, s1
	s_mul_i32 s94, s0, s36
	s_add_i32 s94, s94, s37
	v_add_u32_e32 v21, s94, v0
	s_mov_b64 s[88:89], exec
	v_readlane_b32 s0, v55, 1
	v_readlane_b32 s1, v55, 2
	s_and_b64 s[0:1], s[88:89], s[0:1]
	s_mov_b64 exec, s[0:1]
	s_cbranch_execz .LBB116_23
; %bb.22:                               ;   in Loop: Header=BB116_21 Depth=1
	v_add_u32_e32 v40, s39, v19
	v_ashrrev_i32_e32 v41, 31, v40
	v_lshlrev_b64 v[40:41], 2, v[40:41]
	v_mov_b32_e32 v23, s43
	v_add_co_u32_e64 v40, s[0:1], s42, v40
	v_addc_co_u32_e64 v41, s[0:1], v23, v41, s[0:1]
	global_load_dword v23, v[40:41], off
	v_add_u32_e32 v40, v0, v17
	v_ashrrev_i32_e32 v41, 31, v40
	v_lshlrev_b64 v[40:41], 2, v[40:41]
	v_mov_b32_e32 v25, s5
	v_add_co_u32_e64 v42, s[0:1], s4, v40
	v_addc_co_u32_e64 v43, s[0:1], v25, v41, s[0:1]
	v_mov_b32_e32 v25, s41
	v_add_co_u32_e64 v40, s[0:1], s40, v40
	v_addc_co_u32_e64 v41, s[0:1], v25, v41, s[0:1]
	global_store_dword v[42:43], v21, off
	s_waitcnt vmcnt(1)
	global_store_dword v[40:41], v23, off
.LBB116_23:                             ;   in Loop: Header=BB116_21 Depth=1
	s_or_b64 exec, exec, s[88:89]
	v_add_u32_e32 v23, s94, v1
	v_add_u32_e32 v41, s39, v18
	s_mov_b64 s[88:89], exec
	v_readlane_b32 s0, v55, 3
	v_readlane_b32 s1, v55, 4
	s_and_b64 s[0:1], s[88:89], s[0:1]
	s_mov_b64 exec, s[0:1]
	s_cbranch_execz .LBB116_25
; %bb.24:                               ;   in Loop: Header=BB116_21 Depth=1
	v_add3_u32 v25, v4, s39, 32
	v_cndmask_b32_e32 v42, v41, v25, vcc
	v_ashrrev_i32_e32 v43, 31, v42
	v_lshlrev_b64 v[42:43], 2, v[42:43]
	v_mov_b32_e32 v25, s43
	v_add_co_u32_e64 v42, s[0:1], s42, v42
	v_addc_co_u32_e64 v43, s[0:1], v25, v43, s[0:1]
	global_load_dword v25, v[42:43], off
	v_add3_u32 v42, v0, v17, 32
	v_ashrrev_i32_e32 v43, 31, v42
	v_lshlrev_b64 v[42:43], 2, v[42:43]
	v_mov_b32_e32 v27, s5
	v_add_co_u32_e64 v44, s[0:1], s4, v42
	v_addc_co_u32_e64 v45, s[0:1], v27, v43, s[0:1]
	v_mov_b32_e32 v27, s41
	v_add_co_u32_e64 v42, s[0:1], s40, v42
	v_addc_co_u32_e64 v43, s[0:1], v27, v43, s[0:1]
	global_store_dword v[44:45], v23, off
	s_waitcnt vmcnt(1)
	global_store_dword v[42:43], v25, off
.LBB116_25:                             ;   in Loop: Header=BB116_21 Depth=1
	s_or_b64 exec, exec, s[88:89]
	v_add_u32_e32 v25, s94, v34
	v_add_u32_e32 v42, s39, v16
	s_mov_b64 s[88:89], exec
	v_readlane_b32 s0, v55, 5
	v_readlane_b32 s1, v55, 6
	s_and_b64 s[0:1], s[88:89], s[0:1]
	s_mov_b64 exec, s[0:1]
	s_cbranch_execz .LBB116_27
; %bb.26:                               ;   in Loop: Header=BB116_21 Depth=1
	v_add3_u32 v27, v4, s39, 64
	v_cndmask_b32_e32 v44, v42, v27, vcc
	v_ashrrev_i32_e32 v45, 31, v44
	v_lshlrev_b64 v[44:45], 2, v[44:45]
	v_mov_b32_e32 v27, s43
	v_add_co_u32_e64 v44, s[0:1], s42, v44
	v_addc_co_u32_e64 v45, s[0:1], v27, v45, s[0:1]
	global_load_dword v27, v[44:45], off
	v_add3_u32 v44, v0, v17, 64
	v_ashrrev_i32_e32 v45, 31, v44
	v_lshlrev_b64 v[44:45], 2, v[44:45]
	v_mov_b32_e32 v29, s5
	v_add_co_u32_e64 v46, s[0:1], s4, v44
	v_addc_co_u32_e64 v47, s[0:1], v29, v45, s[0:1]
	v_mov_b32_e32 v29, s41
	v_add_co_u32_e64 v44, s[0:1], s40, v44
	v_addc_co_u32_e64 v45, s[0:1], v29, v45, s[0:1]
	global_store_dword v[46:47], v25, off
	s_waitcnt vmcnt(1)
	global_store_dword v[44:45], v27, off
.LBB116_27:                             ;   in Loop: Header=BB116_21 Depth=1
	s_or_b64 exec, exec, s[88:89]
	v_add_u32_e32 v27, s94, v35
	v_add_u32_e32 v48, s39, v4
	;; [unrolled: 1-line block ×3, first 2 shown]
	s_mov_b64 s[88:89], exec
	v_readlane_b32 s0, v55, 7
	v_readlane_b32 s1, v55, 8
	s_and_b64 s[0:1], s[88:89], s[0:1]
	s_mov_b64 exec, s[0:1]
	s_cbranch_execz .LBB116_29
; %bb.28:                               ;   in Loop: Header=BB116_21 Depth=1
	v_add_u32_e32 v29, 0x60, v48
	v_cndmask_b32_e32 v44, v43, v29, vcc
	v_ashrrev_i32_e32 v45, 31, v44
	v_lshlrev_b64 v[44:45], 2, v[44:45]
	v_mov_b32_e32 v29, s43
	v_add_co_u32_e64 v44, s[0:1], s42, v44
	v_addc_co_u32_e64 v45, s[0:1], v29, v45, s[0:1]
	global_load_dword v29, v[44:45], off
	v_add3_u32 v44, v0, v17, s33
	v_ashrrev_i32_e32 v45, 31, v44
	v_lshlrev_b64 v[44:45], 2, v[44:45]
	v_mov_b32_e32 v31, s5
	v_add_co_u32_e64 v46, s[0:1], s4, v44
	v_addc_co_u32_e64 v47, s[0:1], v31, v45, s[0:1]
	v_mov_b32_e32 v31, s41
	v_add_co_u32_e64 v44, s[0:1], s40, v44
	v_addc_co_u32_e64 v45, s[0:1], v31, v45, s[0:1]
	global_store_dword v[46:47], v27, off
	s_waitcnt vmcnt(1)
	global_store_dword v[44:45], v29, off
.LBB116_29:                             ;   in Loop: Header=BB116_21 Depth=1
	s_or_b64 exec, exec, s[88:89]
	v_add_u32_e32 v29, s94, v36
	v_add_u32_e32 v44, s39, v12
	s_mov_b64 s[88:89], exec
	v_readlane_b32 s0, v55, 9
	v_readlane_b32 s1, v55, 10
	s_and_b64 s[0:1], s[88:89], s[0:1]
	s_mov_b64 exec, s[0:1]
	s_cbranch_execz .LBB116_31
; %bb.30:                               ;   in Loop: Header=BB116_21 Depth=1
	v_add_u32_e32 v31, 0x80, v48
	v_cndmask_b32_e32 v46, v44, v31, vcc
	v_ashrrev_i32_e32 v47, 31, v46
	v_lshlrev_b64 v[46:47], 2, v[46:47]
	v_mov_b32_e32 v31, s43
	v_add_co_u32_e64 v46, s[0:1], s42, v46
	v_addc_co_u32_e64 v47, s[0:1], v31, v47, s[0:1]
	global_load_dword v31, v[46:47], off
	v_add3_u32 v46, v0, v17, s90
	v_ashrrev_i32_e32 v47, 31, v46
	v_lshlrev_b64 v[46:47], 2, v[46:47]
	v_mov_b32_e32 v33, s5
	v_add_co_u32_e64 v50, s[0:1], s4, v46
	v_addc_co_u32_e64 v51, s[0:1], v33, v47, s[0:1]
	v_mov_b32_e32 v33, s41
	v_add_co_u32_e64 v46, s[0:1], s40, v46
	v_addc_co_u32_e64 v47, s[0:1], v33, v47, s[0:1]
	global_store_dword v[50:51], v29, off
	s_waitcnt vmcnt(1)
	global_store_dword v[46:47], v31, off
.LBB116_31:                             ;   in Loop: Header=BB116_21 Depth=1
	s_or_b64 exec, exec, s[88:89]
	v_add_u32_e32 v31, s94, v37
	v_add_u32_e32 v45, s39, v10
	;; [unrolled: 31-line block ×4, first 2 shown]
	s_mov_b64 s[88:89], exec
	v_readlane_b32 s0, v55, 15
	v_readlane_b32 s1, v55, 16
	s_and_b64 s[0:1], s[88:89], s[0:1]
	s_mov_b64 exec, s[0:1]
	s_cbranch_execz .LBB116_37
; %bb.36:                               ;   in Loop: Header=BB116_21 Depth=1
	v_add_u32_e32 v48, 0xe0, v48
	v_cndmask_b32_e32 v48, v47, v48, vcc
	v_ashrrev_i32_e32 v49, 31, v48
	v_lshlrev_b64 v[48:49], 2, v[48:49]
	v_mov_b32_e32 v50, s43
	v_add_co_u32_e64 v48, s[0:1], s42, v48
	v_addc_co_u32_e64 v49, s[0:1], v50, v49, s[0:1]
	global_load_dword v52, v[48:49], off
	v_add3_u32 v48, v0, v17, s93
	v_ashrrev_i32_e32 v49, 31, v48
	v_lshlrev_b64 v[48:49], 2, v[48:49]
	v_mov_b32_e32 v51, s5
	v_add_co_u32_e64 v50, s[0:1], s4, v48
	v_addc_co_u32_e64 v51, s[0:1], v51, v49, s[0:1]
	global_store_dword v[50:51], v40, off
	v_mov_b32_e32 v50, s41
	v_add_co_u32_e64 v48, s[0:1], s40, v48
	v_addc_co_u32_e64 v49, s[0:1], v50, v49, s[0:1]
	s_waitcnt vmcnt(1)
	global_store_dword v[48:49], v52, off
.LBB116_37:                             ;   in Loop: Header=BB116_21 Depth=1
	s_or_b64 exec, exec, s[88:89]
	v_add_u32_e32 v48, s39, v20
	s_mov_b64 s[88:89], exec
	v_readlane_b32 s0, v55, 17
	v_readlane_b32 s1, v55, 18
	s_and_b64 s[0:1], s[88:89], s[0:1]
	s_mov_b64 exec, s[0:1]
	s_cbranch_execz .LBB116_39
; %bb.38:                               ;   in Loop: Header=BB116_21 Depth=1
	v_add3_u32 v49, v2, s39, 32
	v_cndmask_b32_e32 v50, v49, v48, vcc
	v_ashrrev_i32_e32 v51, 31, v50
	v_lshlrev_b64 v[50:51], 2, v[50:51]
	v_mov_b32_e32 v49, s43
	v_add_co_u32_e64 v50, s[0:1], s42, v50
	v_addc_co_u32_e64 v51, s[0:1], v49, v51, s[0:1]
	global_load_dword v49, v[50:51], off
	v_add_u32_e32 v50, v0, v15
	v_ashrrev_i32_e32 v51, 31, v50
	v_lshlrev_b64 v[50:51], 2, v[50:51]
	v_mov_b32_e32 v53, s5
	v_add_co_u32_e64 v52, s[0:1], s4, v50
	v_addc_co_u32_e64 v53, s[0:1], v53, v51, s[0:1]
	global_store_dword v[52:53], v21, off
	v_mov_b32_e32 v52, s41
	v_add_co_u32_e64 v50, s[0:1], s40, v50
	v_addc_co_u32_e64 v51, s[0:1], v52, v51, s[0:1]
	s_waitcnt vmcnt(1)
	global_store_dword v[50:51], v49, off
.LBB116_39:                             ;   in Loop: Header=BB116_21 Depth=1
	s_or_b64 exec, exec, s[88:89]
	s_mov_b64 s[88:89], exec
	v_readlane_b32 s0, v55, 19
	v_readlane_b32 s1, v55, 20
	s_and_b64 s[0:1], s[88:89], s[0:1]
	s_mov_b64 exec, s[0:1]
	s_cbranch_execz .LBB116_41
; %bb.40:                               ;   in Loop: Header=BB116_21 Depth=1
	v_cndmask_b32_e32 v49, v18, v20, vcc
	v_add3_u32 v50, v49, s39, 32
	v_ashrrev_i32_e32 v51, 31, v50
	v_lshlrev_b64 v[50:51], 2, v[50:51]
	v_mov_b32_e32 v49, s43
	v_add_co_u32_e64 v50, s[0:1], s42, v50
	v_addc_co_u32_e64 v51, s[0:1], v49, v51, s[0:1]
	global_load_dword v49, v[50:51], off
	v_add3_u32 v50, v0, v15, 32
	v_ashrrev_i32_e32 v51, 31, v50
	v_lshlrev_b64 v[50:51], 2, v[50:51]
	v_mov_b32_e32 v53, s5
	v_add_co_u32_e64 v52, s[0:1], s4, v50
	v_addc_co_u32_e64 v53, s[0:1], v53, v51, s[0:1]
	global_store_dword v[52:53], v23, off
	v_mov_b32_e32 v52, s41
	v_add_co_u32_e64 v50, s[0:1], s40, v50
	v_addc_co_u32_e64 v51, s[0:1], v52, v51, s[0:1]
	s_waitcnt vmcnt(1)
	global_store_dword v[50:51], v49, off
.LBB116_41:                             ;   in Loop: Header=BB116_21 Depth=1
	s_or_b64 exec, exec, s[88:89]
	s_mov_b64 s[88:89], exec
	v_readlane_b32 s0, v55, 21
	v_readlane_b32 s1, v55, 22
	s_and_b64 s[0:1], s[88:89], s[0:1]
	s_mov_b64 exec, s[0:1]
	s_cbranch_execz .LBB116_43
; %bb.42:                               ;   in Loop: Header=BB116_21 Depth=1
	v_add3_u32 v49, v20, s39, 64
	v_add3_u32 v50, v16, s39, 32
	v_cndmask_b32_e32 v50, v50, v49, vcc
	v_ashrrev_i32_e32 v51, 31, v50
	v_lshlrev_b64 v[50:51], 2, v[50:51]
	v_mov_b32_e32 v49, s43
	v_add_co_u32_e64 v50, s[0:1], s42, v50
	v_addc_co_u32_e64 v51, s[0:1], v49, v51, s[0:1]
	global_load_dword v49, v[50:51], off
	v_add3_u32 v50, v0, v15, 64
	v_ashrrev_i32_e32 v51, 31, v50
	v_lshlrev_b64 v[50:51], 2, v[50:51]
	v_mov_b32_e32 v53, s5
	v_add_co_u32_e64 v52, s[0:1], s4, v50
	v_addc_co_u32_e64 v53, s[0:1], v53, v51, s[0:1]
	global_store_dword v[52:53], v25, off
	v_mov_b32_e32 v52, s41
	v_add_co_u32_e64 v50, s[0:1], s40, v50
	v_addc_co_u32_e64 v51, s[0:1], v52, v51, s[0:1]
	s_waitcnt vmcnt(1)
	global_store_dword v[50:51], v49, off
.LBB116_43:                             ;   in Loop: Header=BB116_21 Depth=1
	s_or_b64 exec, exec, s[88:89]
	s_mov_b64 s[88:89], exec
	v_readlane_b32 s0, v55, 23
	v_readlane_b32 s1, v55, 24
	s_and_b64 s[0:1], s[88:89], s[0:1]
	s_mov_b64 exec, s[0:1]
	s_cbranch_execz .LBB116_45
; %bb.44:                               ;   in Loop: Header=BB116_21 Depth=1
	v_add_u32_e32 v49, 0x60, v48
	v_add3_u32 v50, v14, s39, 32
	v_cndmask_b32_e32 v50, v50, v49, vcc
	v_ashrrev_i32_e32 v51, 31, v50
	v_lshlrev_b64 v[50:51], 2, v[50:51]
	v_mov_b32_e32 v49, s43
	v_add_co_u32_e64 v50, s[0:1], s42, v50
	v_addc_co_u32_e64 v51, s[0:1], v49, v51, s[0:1]
	global_load_dword v49, v[50:51], off
	v_add3_u32 v50, v0, v15, s33
	v_ashrrev_i32_e32 v51, 31, v50
	v_lshlrev_b64 v[50:51], 2, v[50:51]
	v_mov_b32_e32 v53, s5
	v_add_co_u32_e64 v52, s[0:1], s4, v50
	v_addc_co_u32_e64 v53, s[0:1], v53, v51, s[0:1]
	global_store_dword v[52:53], v27, off
	v_mov_b32_e32 v52, s41
	v_add_co_u32_e64 v50, s[0:1], s40, v50
	v_addc_co_u32_e64 v51, s[0:1], v52, v51, s[0:1]
	s_waitcnt vmcnt(1)
	global_store_dword v[50:51], v49, off
.LBB116_45:                             ;   in Loop: Header=BB116_21 Depth=1
	s_or_b64 exec, exec, s[88:89]
	s_mov_b64 s[88:89], exec
	v_readlane_b32 s0, v55, 25
	v_readlane_b32 s1, v55, 26
	s_and_b64 s[0:1], s[88:89], s[0:1]
	s_mov_b64 exec, s[0:1]
	s_cbranch_execz .LBB116_47
; %bb.46:                               ;   in Loop: Header=BB116_21 Depth=1
	v_add_u32_e32 v49, 0x80, v48
	v_add3_u32 v50, v12, s39, 32
	v_cndmask_b32_e32 v50, v50, v49, vcc
	v_ashrrev_i32_e32 v51, 31, v50
	v_lshlrev_b64 v[50:51], 2, v[50:51]
	v_mov_b32_e32 v49, s43
	v_add_co_u32_e64 v50, s[0:1], s42, v50
	v_addc_co_u32_e64 v51, s[0:1], v49, v51, s[0:1]
	global_load_dword v49, v[50:51], off
	v_add3_u32 v50, v0, v15, s90
	v_ashrrev_i32_e32 v51, 31, v50
	v_lshlrev_b64 v[50:51], 2, v[50:51]
	v_mov_b32_e32 v53, s5
	v_add_co_u32_e64 v52, s[0:1], s4, v50
	v_addc_co_u32_e64 v53, s[0:1], v53, v51, s[0:1]
	global_store_dword v[52:53], v29, off
	v_mov_b32_e32 v52, s41
	v_add_co_u32_e64 v50, s[0:1], s40, v50
	v_addc_co_u32_e64 v51, s[0:1], v52, v51, s[0:1]
	s_waitcnt vmcnt(1)
	global_store_dword v[50:51], v49, off
.LBB116_47:                             ;   in Loop: Header=BB116_21 Depth=1
	;; [unrolled: 30-line block ×5, first 2 shown]
	s_or_b64 exec, exec, s[88:89]
	v_add_u32_e32 v48, s39, v22
	s_mov_b64 s[88:89], exec
	v_readlane_b32 s0, v55, 33
	v_readlane_b32 s1, v55, 34
	s_and_b64 s[0:1], s[88:89], s[0:1]
	s_mov_b64 exec, s[0:1]
	s_cbranch_execz .LBB116_55
; %bb.54:                               ;   in Loop: Header=BB116_21 Depth=1
	v_add3_u32 v49, v2, s39, 64
	v_cndmask_b32_e32 v50, v49, v48, vcc
	v_ashrrev_i32_e32 v51, 31, v50
	v_lshlrev_b64 v[50:51], 2, v[50:51]
	v_mov_b32_e32 v49, s43
	v_add_co_u32_e64 v50, s[0:1], s42, v50
	v_addc_co_u32_e64 v51, s[0:1], v49, v51, s[0:1]
	global_load_dword v49, v[50:51], off
	v_add_u32_e32 v50, v0, v13
	v_ashrrev_i32_e32 v51, 31, v50
	v_lshlrev_b64 v[50:51], 2, v[50:51]
	v_mov_b32_e32 v53, s5
	v_add_co_u32_e64 v52, s[0:1], s4, v50
	v_addc_co_u32_e64 v53, s[0:1], v53, v51, s[0:1]
	global_store_dword v[52:53], v21, off
	v_mov_b32_e32 v52, s41
	v_add_co_u32_e64 v50, s[0:1], s40, v50
	v_addc_co_u32_e64 v51, s[0:1], v52, v51, s[0:1]
	s_waitcnt vmcnt(1)
	global_store_dword v[50:51], v49, off
.LBB116_55:                             ;   in Loop: Header=BB116_21 Depth=1
	s_or_b64 exec, exec, s[88:89]
	s_mov_b64 s[88:89], exec
	v_readlane_b32 s0, v55, 35
	v_readlane_b32 s1, v55, 36
	s_and_b64 s[0:1], s[88:89], s[0:1]
	s_mov_b64 exec, s[0:1]
	s_cbranch_execz .LBB116_57
; %bb.56:                               ;   in Loop: Header=BB116_21 Depth=1
	v_add3_u32 v49, v22, s39, 32
	v_add3_u32 v50, v18, s39, 64
	v_cndmask_b32_e32 v50, v50, v49, vcc
	v_ashrrev_i32_e32 v51, 31, v50
	v_lshlrev_b64 v[50:51], 2, v[50:51]
	v_mov_b32_e32 v49, s43
	v_add_co_u32_e64 v50, s[0:1], s42, v50
	v_addc_co_u32_e64 v51, s[0:1], v49, v51, s[0:1]
	global_load_dword v49, v[50:51], off
	v_add3_u32 v50, v0, v13, 32
	v_ashrrev_i32_e32 v51, 31, v50
	v_lshlrev_b64 v[50:51], 2, v[50:51]
	v_mov_b32_e32 v53, s5
	v_add_co_u32_e64 v52, s[0:1], s4, v50
	v_addc_co_u32_e64 v53, s[0:1], v53, v51, s[0:1]
	global_store_dword v[52:53], v23, off
	v_mov_b32_e32 v52, s41
	v_add_co_u32_e64 v50, s[0:1], s40, v50
	v_addc_co_u32_e64 v51, s[0:1], v52, v51, s[0:1]
	s_waitcnt vmcnt(1)
	global_store_dword v[50:51], v49, off
.LBB116_57:                             ;   in Loop: Header=BB116_21 Depth=1
	s_or_b64 exec, exec, s[88:89]
	s_mov_b64 s[88:89], exec
	v_readlane_b32 s0, v55, 37
	v_readlane_b32 s1, v55, 38
	s_and_b64 s[0:1], s[88:89], s[0:1]
	s_mov_b64 exec, s[0:1]
	s_cbranch_execz .LBB116_59
; %bb.58:                               ;   in Loop: Header=BB116_21 Depth=1
	v_cndmask_b32_e32 v49, v16, v22, vcc
	v_add3_u32 v50, v49, s39, 64
	v_ashrrev_i32_e32 v51, 31, v50
	v_lshlrev_b64 v[50:51], 2, v[50:51]
	v_mov_b32_e32 v49, s43
	v_add_co_u32_e64 v50, s[0:1], s42, v50
	v_addc_co_u32_e64 v51, s[0:1], v49, v51, s[0:1]
	global_load_dword v49, v[50:51], off
	v_add3_u32 v50, v0, v13, 64
	v_ashrrev_i32_e32 v51, 31, v50
	v_lshlrev_b64 v[50:51], 2, v[50:51]
	v_mov_b32_e32 v53, s5
	v_add_co_u32_e64 v52, s[0:1], s4, v50
	v_addc_co_u32_e64 v53, s[0:1], v53, v51, s[0:1]
	global_store_dword v[52:53], v25, off
	v_mov_b32_e32 v52, s41
	v_add_co_u32_e64 v50, s[0:1], s40, v50
	v_addc_co_u32_e64 v51, s[0:1], v52, v51, s[0:1]
	s_waitcnt vmcnt(1)
	global_store_dword v[50:51], v49, off
.LBB116_59:                             ;   in Loop: Header=BB116_21 Depth=1
	s_or_b64 exec, exec, s[88:89]
	s_mov_b64 s[88:89], exec
	v_readlane_b32 s0, v55, 39
	v_readlane_b32 s1, v55, 40
	s_and_b64 s[0:1], s[88:89], s[0:1]
	s_mov_b64 exec, s[0:1]
	s_cbranch_execz .LBB116_61
; %bb.60:                               ;   in Loop: Header=BB116_21 Depth=1
	v_add_u32_e32 v49, 0x60, v48
	v_add3_u32 v50, v14, s39, 64
	v_cndmask_b32_e32 v50, v50, v49, vcc
	v_ashrrev_i32_e32 v51, 31, v50
	v_lshlrev_b64 v[50:51], 2, v[50:51]
	v_mov_b32_e32 v49, s43
	v_add_co_u32_e64 v50, s[0:1], s42, v50
	v_addc_co_u32_e64 v51, s[0:1], v49, v51, s[0:1]
	global_load_dword v49, v[50:51], off
	v_add3_u32 v50, v0, v13, s33
	v_ashrrev_i32_e32 v51, 31, v50
	v_lshlrev_b64 v[50:51], 2, v[50:51]
	v_mov_b32_e32 v53, s5
	v_add_co_u32_e64 v52, s[0:1], s4, v50
	v_addc_co_u32_e64 v53, s[0:1], v53, v51, s[0:1]
	global_store_dword v[52:53], v27, off
	v_mov_b32_e32 v52, s41
	v_add_co_u32_e64 v50, s[0:1], s40, v50
	v_addc_co_u32_e64 v51, s[0:1], v52, v51, s[0:1]
	s_waitcnt vmcnt(1)
	global_store_dword v[50:51], v49, off
.LBB116_61:                             ;   in Loop: Header=BB116_21 Depth=1
	s_or_b64 exec, exec, s[88:89]
	s_mov_b64 s[88:89], exec
	v_readlane_b32 s0, v55, 41
	v_readlane_b32 s1, v55, 42
	s_and_b64 s[0:1], s[88:89], s[0:1]
	s_mov_b64 exec, s[0:1]
	s_cbranch_execz .LBB116_63
; %bb.62:                               ;   in Loop: Header=BB116_21 Depth=1
	v_add_u32_e32 v49, 0x80, v48
	v_add3_u32 v50, v12, s39, 64
	v_cndmask_b32_e32 v50, v50, v49, vcc
	v_ashrrev_i32_e32 v51, 31, v50
	v_lshlrev_b64 v[50:51], 2, v[50:51]
	v_mov_b32_e32 v49, s43
	v_add_co_u32_e64 v50, s[0:1], s42, v50
	v_addc_co_u32_e64 v51, s[0:1], v49, v51, s[0:1]
	global_load_dword v49, v[50:51], off
	v_add3_u32 v50, v0, v13, s90
	v_ashrrev_i32_e32 v51, 31, v50
	v_lshlrev_b64 v[50:51], 2, v[50:51]
	v_mov_b32_e32 v53, s5
	v_add_co_u32_e64 v52, s[0:1], s4, v50
	v_addc_co_u32_e64 v53, s[0:1], v53, v51, s[0:1]
	global_store_dword v[52:53], v29, off
	v_mov_b32_e32 v52, s41
	v_add_co_u32_e64 v50, s[0:1], s40, v50
	v_addc_co_u32_e64 v51, s[0:1], v52, v51, s[0:1]
	s_waitcnt vmcnt(1)
	global_store_dword v[50:51], v49, off
.LBB116_63:                             ;   in Loop: Header=BB116_21 Depth=1
	;; [unrolled: 30-line block ×5, first 2 shown]
	s_or_b64 exec, exec, s[88:89]
	v_add_u32_e32 v49, s39, v24
	v_add_u32_e32 v48, s39, v2
	s_mov_b64 s[88:89], exec
	v_readlane_b32 s0, v55, 49
	v_readlane_b32 s1, v55, 50
	s_and_b64 s[0:1], s[88:89], s[0:1]
	s_mov_b64 exec, s[0:1]
	s_cbranch_execz .LBB116_71
; %bb.70:                               ;   in Loop: Header=BB116_21 Depth=1
	v_add_u32_e32 v50, 0x60, v48
	v_cndmask_b32_e32 v50, v50, v49, vcc
	v_ashrrev_i32_e32 v51, 31, v50
	v_lshlrev_b64 v[50:51], 2, v[50:51]
	v_mov_b32_e32 v52, s43
	v_add_co_u32_e64 v50, s[0:1], s42, v50
	v_addc_co_u32_e64 v51, s[0:1], v52, v51, s[0:1]
	global_load_dword v54, v[50:51], off
	v_add_u32_e32 v50, v0, v11
	v_ashrrev_i32_e32 v51, 31, v50
	v_lshlrev_b64 v[50:51], 2, v[50:51]
	v_mov_b32_e32 v53, s5
	v_add_co_u32_e64 v52, s[0:1], s4, v50
	v_addc_co_u32_e64 v53, s[0:1], v53, v51, s[0:1]
	global_store_dword v[52:53], v21, off
	v_mov_b32_e32 v52, s41
	v_add_co_u32_e64 v50, s[0:1], s40, v50
	v_addc_co_u32_e64 v51, s[0:1], v52, v51, s[0:1]
	s_waitcnt vmcnt(1)
	global_store_dword v[50:51], v54, off
.LBB116_71:                             ;   in Loop: Header=BB116_21 Depth=1
	s_or_b64 exec, exec, s[88:89]
	s_mov_b64 s[88:89], exec
	v_readlane_b32 s0, v55, 51
	v_readlane_b32 s1, v55, 52
	s_and_b64 s[0:1], s[88:89], s[0:1]
	s_mov_b64 exec, s[0:1]
	s_cbranch_execz .LBB116_73
; %bb.72:                               ;   in Loop: Header=BB116_21 Depth=1
	v_add3_u32 v50, v24, s39, 32
	v_add_u32_e32 v51, 0x60, v41
	v_cndmask_b32_e32 v50, v51, v50, vcc
	v_ashrrev_i32_e32 v51, 31, v50
	v_lshlrev_b64 v[50:51], 2, v[50:51]
	v_mov_b32_e32 v52, s43
	v_add_co_u32_e64 v50, s[0:1], s42, v50
	v_addc_co_u32_e64 v51, s[0:1], v52, v51, s[0:1]
	global_load_dword v54, v[50:51], off
	v_add3_u32 v50, v0, v11, 32
	v_ashrrev_i32_e32 v51, 31, v50
	v_lshlrev_b64 v[50:51], 2, v[50:51]
	v_mov_b32_e32 v53, s5
	v_add_co_u32_e64 v52, s[0:1], s4, v50
	v_addc_co_u32_e64 v53, s[0:1], v53, v51, s[0:1]
	global_store_dword v[52:53], v23, off
	v_mov_b32_e32 v52, s41
	v_add_co_u32_e64 v50, s[0:1], s40, v50
	v_addc_co_u32_e64 v51, s[0:1], v52, v51, s[0:1]
	s_waitcnt vmcnt(1)
	global_store_dword v[50:51], v54, off
.LBB116_73:                             ;   in Loop: Header=BB116_21 Depth=1
	s_or_b64 exec, exec, s[88:89]
	s_mov_b64 s[88:89], exec
	v_readlane_b32 s0, v55, 53
	v_readlane_b32 s1, v55, 54
	s_and_b64 s[0:1], s[88:89], s[0:1]
	s_mov_b64 exec, s[0:1]
	s_cbranch_execz .LBB116_75
; %bb.74:                               ;   in Loop: Header=BB116_21 Depth=1
	v_add3_u32 v50, v24, s39, 64
	v_add_u32_e32 v51, 0x60, v42
	v_cndmask_b32_e32 v50, v51, v50, vcc
	v_ashrrev_i32_e32 v51, 31, v50
	v_lshlrev_b64 v[50:51], 2, v[50:51]
	v_mov_b32_e32 v52, s43
	v_add_co_u32_e64 v50, s[0:1], s42, v50
	v_addc_co_u32_e64 v51, s[0:1], v52, v51, s[0:1]
	global_load_dword v54, v[50:51], off
	v_add3_u32 v50, v0, v11, 64
	v_ashrrev_i32_e32 v51, 31, v50
	v_lshlrev_b64 v[50:51], 2, v[50:51]
	v_mov_b32_e32 v53, s5
	v_add_co_u32_e64 v52, s[0:1], s4, v50
	v_addc_co_u32_e64 v53, s[0:1], v53, v51, s[0:1]
	global_store_dword v[52:53], v25, off
	v_mov_b32_e32 v52, s41
	v_add_co_u32_e64 v50, s[0:1], s40, v50
	v_addc_co_u32_e64 v51, s[0:1], v52, v51, s[0:1]
	s_waitcnt vmcnt(1)
	global_store_dword v[50:51], v54, off
.LBB116_75:                             ;   in Loop: Header=BB116_21 Depth=1
	s_or_b64 exec, exec, s[88:89]
	s_mov_b64 s[88:89], exec
	v_readlane_b32 s0, v55, 55
	v_readlane_b32 s1, v55, 56
	s_and_b64 s[0:1], s[88:89], s[0:1]
	s_mov_b64 exec, s[0:1]
	s_cbranch_execnz .LBB116_112
; %bb.76:                               ;   in Loop: Header=BB116_21 Depth=1
	s_or_b64 exec, exec, s[88:89]
	s_and_saveexec_b64 s[88:89], s[44:45]
	s_cbranch_execnz .LBB116_113
.LBB116_77:                             ;   in Loop: Header=BB116_21 Depth=1
	s_or_b64 exec, exec, s[88:89]
	s_and_saveexec_b64 s[88:89], s[46:47]
	s_cbranch_execnz .LBB116_114
.LBB116_78:                             ;   in Loop: Header=BB116_21 Depth=1
	s_or_b64 exec, exec, s[88:89]
	s_and_saveexec_b64 s[88:89], s[48:49]
	s_cbranch_execnz .LBB116_115
.LBB116_79:                             ;   in Loop: Header=BB116_21 Depth=1
	s_or_b64 exec, exec, s[88:89]
	s_and_saveexec_b64 s[88:89], s[8:9]
	s_cbranch_execnz .LBB116_116
.LBB116_80:                             ;   in Loop: Header=BB116_21 Depth=1
	s_or_b64 exec, exec, s[88:89]
	v_add_u32_e32 v49, s39, v26
	s_and_saveexec_b64 s[88:89], s[50:51]
	s_cbranch_execnz .LBB116_117
.LBB116_81:                             ;   in Loop: Header=BB116_21 Depth=1
	s_or_b64 exec, exec, s[88:89]
	s_and_saveexec_b64 s[88:89], s[52:53]
	s_cbranch_execnz .LBB116_118
.LBB116_82:                             ;   in Loop: Header=BB116_21 Depth=1
	s_or_b64 exec, exec, s[88:89]
	s_and_saveexec_b64 s[88:89], s[54:55]
	s_cbranch_execnz .LBB116_119
.LBB116_83:                             ;   in Loop: Header=BB116_21 Depth=1
	s_or_b64 exec, exec, s[88:89]
	s_and_saveexec_b64 s[88:89], s[56:57]
	s_cbranch_execnz .LBB116_120
.LBB116_84:                             ;   in Loop: Header=BB116_21 Depth=1
	s_or_b64 exec, exec, s[88:89]
	s_and_saveexec_b64 s[88:89], s[58:59]
	s_cbranch_execnz .LBB116_121
.LBB116_85:                             ;   in Loop: Header=BB116_21 Depth=1
	s_or_b64 exec, exec, s[88:89]
	s_and_saveexec_b64 s[88:89], s[60:61]
	s_cbranch_execnz .LBB116_122
.LBB116_86:                             ;   in Loop: Header=BB116_21 Depth=1
	s_or_b64 exec, exec, s[88:89]
	s_and_saveexec_b64 s[88:89], s[62:63]
	s_cbranch_execnz .LBB116_123
.LBB116_87:                             ;   in Loop: Header=BB116_21 Depth=1
	s_or_b64 exec, exec, s[88:89]
	s_and_saveexec_b64 s[88:89], s[10:11]
	s_cbranch_execnz .LBB116_124
.LBB116_88:                             ;   in Loop: Header=BB116_21 Depth=1
	s_or_b64 exec, exec, s[88:89]
	v_add_u32_e32 v49, s39, v28
	s_and_saveexec_b64 s[88:89], s[64:65]
	s_cbranch_execnz .LBB116_125
.LBB116_89:                             ;   in Loop: Header=BB116_21 Depth=1
	s_or_b64 exec, exec, s[88:89]
	s_and_saveexec_b64 s[88:89], s[66:67]
	s_cbranch_execnz .LBB116_126
.LBB116_90:                             ;   in Loop: Header=BB116_21 Depth=1
	s_or_b64 exec, exec, s[88:89]
	s_and_saveexec_b64 s[88:89], s[68:69]
	s_cbranch_execnz .LBB116_127
.LBB116_91:                             ;   in Loop: Header=BB116_21 Depth=1
	s_or_b64 exec, exec, s[88:89]
	s_and_saveexec_b64 s[88:89], s[70:71]
	s_cbranch_execnz .LBB116_128
.LBB116_92:                             ;   in Loop: Header=BB116_21 Depth=1
	s_or_b64 exec, exec, s[88:89]
	s_and_saveexec_b64 s[88:89], s[72:73]
	s_cbranch_execnz .LBB116_129
.LBB116_93:                             ;   in Loop: Header=BB116_21 Depth=1
	s_or_b64 exec, exec, s[88:89]
	s_and_saveexec_b64 s[88:89], s[2:3]
	s_cbranch_execnz .LBB116_130
.LBB116_94:                             ;   in Loop: Header=BB116_21 Depth=1
	s_or_b64 exec, exec, s[88:89]
	s_and_saveexec_b64 s[88:89], s[74:75]
	s_cbranch_execnz .LBB116_131
.LBB116_95:                             ;   in Loop: Header=BB116_21 Depth=1
	s_or_b64 exec, exec, s[88:89]
	s_and_saveexec_b64 s[88:89], s[12:13]
	s_cbranch_execnz .LBB116_132
.LBB116_96:                             ;   in Loop: Header=BB116_21 Depth=1
	s_or_b64 exec, exec, s[88:89]
	v_add_u32_e32 v49, s39, v30
	s_and_saveexec_b64 s[88:89], s[76:77]
	s_cbranch_execnz .LBB116_133
.LBB116_97:                             ;   in Loop: Header=BB116_21 Depth=1
	s_or_b64 exec, exec, s[88:89]
	s_and_saveexec_b64 s[88:89], s[78:79]
	s_cbranch_execnz .LBB116_134
.LBB116_98:                             ;   in Loop: Header=BB116_21 Depth=1
	s_or_b64 exec, exec, s[88:89]
	s_and_saveexec_b64 s[88:89], s[80:81]
	s_cbranch_execnz .LBB116_135
.LBB116_99:                             ;   in Loop: Header=BB116_21 Depth=1
	s_or_b64 exec, exec, s[88:89]
	s_and_saveexec_b64 s[88:89], s[82:83]
	s_cbranch_execnz .LBB116_136
.LBB116_100:                            ;   in Loop: Header=BB116_21 Depth=1
	s_or_b64 exec, exec, s[88:89]
	s_and_saveexec_b64 s[88:89], s[84:85]
	s_cbranch_execnz .LBB116_137
.LBB116_101:                            ;   in Loop: Header=BB116_21 Depth=1
	s_or_b64 exec, exec, s[88:89]
	s_and_saveexec_b64 s[88:89], s[86:87]
	s_cbranch_execnz .LBB116_138
.LBB116_102:                            ;   in Loop: Header=BB116_21 Depth=1
	s_or_b64 exec, exec, s[88:89]
	s_and_saveexec_b64 s[88:89], s[6:7]
	s_cbranch_execnz .LBB116_139
.LBB116_103:                            ;   in Loop: Header=BB116_21 Depth=1
	s_or_b64 exec, exec, s[88:89]
	s_and_saveexec_b64 s[88:89], s[14:15]
	s_cbranch_execnz .LBB116_140
.LBB116_104:                            ;   in Loop: Header=BB116_21 Depth=1
	s_or_b64 exec, exec, s[88:89]
	v_add_u32_e32 v47, s39, v32
	s_and_saveexec_b64 s[88:89], s[18:19]
	s_cbranch_execnz .LBB116_141
.LBB116_105:                            ;   in Loop: Header=BB116_21 Depth=1
	s_or_b64 exec, exec, s[88:89]
	s_and_saveexec_b64 s[88:89], s[20:21]
	s_cbranch_execnz .LBB116_142
.LBB116_106:                            ;   in Loop: Header=BB116_21 Depth=1
	s_or_b64 exec, exec, s[88:89]
	s_and_saveexec_b64 s[88:89], s[22:23]
	s_cbranch_execnz .LBB116_143
.LBB116_107:                            ;   in Loop: Header=BB116_21 Depth=1
	s_or_b64 exec, exec, s[88:89]
	s_and_saveexec_b64 s[88:89], s[24:25]
	s_cbranch_execnz .LBB116_144
.LBB116_108:                            ;   in Loop: Header=BB116_21 Depth=1
	s_or_b64 exec, exec, s[88:89]
	s_and_saveexec_b64 s[88:89], s[26:27]
	s_cbranch_execnz .LBB116_145
.LBB116_109:                            ;   in Loop: Header=BB116_21 Depth=1
	s_or_b64 exec, exec, s[88:89]
	s_and_saveexec_b64 s[88:89], s[28:29]
	s_cbranch_execnz .LBB116_146
.LBB116_110:                            ;   in Loop: Header=BB116_21 Depth=1
	s_or_b64 exec, exec, s[88:89]
	s_and_saveexec_b64 s[88:89], s[30:31]
	s_cbranch_execnz .LBB116_147
.LBB116_111:                            ;   in Loop: Header=BB116_21 Depth=1
	s_or_b64 exec, exec, s[88:89]
	s_and_saveexec_b64 s[88:89], s[16:17]
	s_cbranch_execz .LBB116_20
	s_branch .LBB116_148
.LBB116_112:                            ;   in Loop: Header=BB116_21 Depth=1
	v_cndmask_b32_e32 v50, v14, v24, vcc
	v_add_u32_e32 v50, s39, v50
	v_add_u32_e32 v50, 0x60, v50
	v_ashrrev_i32_e32 v51, 31, v50
	v_lshlrev_b64 v[50:51], 2, v[50:51]
	v_mov_b32_e32 v52, s43
	v_add_co_u32_e64 v50, s[0:1], s42, v50
	v_addc_co_u32_e64 v51, s[0:1], v52, v51, s[0:1]
	global_load_dword v54, v[50:51], off
	v_add3_u32 v50, v0, v11, s33
	v_ashrrev_i32_e32 v51, 31, v50
	v_lshlrev_b64 v[50:51], 2, v[50:51]
	v_mov_b32_e32 v53, s5
	v_add_co_u32_e64 v52, s[0:1], s4, v50
	v_addc_co_u32_e64 v53, s[0:1], v53, v51, s[0:1]
	global_store_dword v[52:53], v27, off
	v_mov_b32_e32 v52, s41
	v_add_co_u32_e64 v50, s[0:1], s40, v50
	v_addc_co_u32_e64 v51, s[0:1], v52, v51, s[0:1]
	s_waitcnt vmcnt(1)
	global_store_dword v[50:51], v54, off
	s_or_b64 exec, exec, s[88:89]
	s_and_saveexec_b64 s[88:89], s[44:45]
	s_cbranch_execz .LBB116_77
.LBB116_113:                            ;   in Loop: Header=BB116_21 Depth=1
	v_add_u32_e32 v50, 0x80, v49
	v_add_u32_e32 v51, 0x60, v44
	v_cndmask_b32_e32 v50, v51, v50, vcc
	v_ashrrev_i32_e32 v51, 31, v50
	v_lshlrev_b64 v[50:51], 2, v[50:51]
	v_mov_b32_e32 v52, s43
	v_add_co_u32_e64 v50, s[0:1], s42, v50
	v_addc_co_u32_e64 v51, s[0:1], v52, v51, s[0:1]
	global_load_dword v54, v[50:51], off
	v_add3_u32 v50, v0, v11, s90
	v_ashrrev_i32_e32 v51, 31, v50
	v_lshlrev_b64 v[50:51], 2, v[50:51]
	v_mov_b32_e32 v53, s5
	v_add_co_u32_e64 v52, s[0:1], s4, v50
	v_addc_co_u32_e64 v53, s[0:1], v53, v51, s[0:1]
	global_store_dword v[52:53], v29, off
	v_mov_b32_e32 v52, s41
	v_add_co_u32_e64 v50, s[0:1], s40, v50
	v_addc_co_u32_e64 v51, s[0:1], v52, v51, s[0:1]
	s_waitcnt vmcnt(1)
	global_store_dword v[50:51], v54, off
	s_or_b64 exec, exec, s[88:89]
	s_and_saveexec_b64 s[88:89], s[46:47]
	s_cbranch_execz .LBB116_78
.LBB116_114:                            ;   in Loop: Header=BB116_21 Depth=1
	v_add_u32_e32 v50, 0xa0, v49
	v_add_u32_e32 v51, 0x60, v45
	v_cndmask_b32_e32 v50, v51, v50, vcc
	v_ashrrev_i32_e32 v51, 31, v50
	v_lshlrev_b64 v[50:51], 2, v[50:51]
	v_mov_b32_e32 v52, s43
	v_add_co_u32_e64 v50, s[0:1], s42, v50
	v_addc_co_u32_e64 v51, s[0:1], v52, v51, s[0:1]
	global_load_dword v54, v[50:51], off
	v_add3_u32 v50, v0, v11, s91
	v_ashrrev_i32_e32 v51, 31, v50
	v_lshlrev_b64 v[50:51], 2, v[50:51]
	v_mov_b32_e32 v53, s5
	v_add_co_u32_e64 v52, s[0:1], s4, v50
	v_addc_co_u32_e64 v53, s[0:1], v53, v51, s[0:1]
	global_store_dword v[52:53], v31, off
	v_mov_b32_e32 v52, s41
	v_add_co_u32_e64 v50, s[0:1], s40, v50
	v_addc_co_u32_e64 v51, s[0:1], v52, v51, s[0:1]
	s_waitcnt vmcnt(1)
	global_store_dword v[50:51], v54, off
	s_or_b64 exec, exec, s[88:89]
	s_and_saveexec_b64 s[88:89], s[48:49]
	s_cbranch_execz .LBB116_79
.LBB116_115:                            ;   in Loop: Header=BB116_21 Depth=1
	v_add_u32_e32 v50, 0xc0, v49
	v_add_u32_e32 v51, 0x60, v46
	v_cndmask_b32_e32 v50, v51, v50, vcc
	v_ashrrev_i32_e32 v51, 31, v50
	v_lshlrev_b64 v[50:51], 2, v[50:51]
	v_mov_b32_e32 v52, s43
	v_add_co_u32_e64 v50, s[0:1], s42, v50
	v_addc_co_u32_e64 v51, s[0:1], v52, v51, s[0:1]
	global_load_dword v54, v[50:51], off
	v_add3_u32 v50, v0, v11, s92
	v_ashrrev_i32_e32 v51, 31, v50
	v_lshlrev_b64 v[50:51], 2, v[50:51]
	v_mov_b32_e32 v53, s5
	v_add_co_u32_e64 v52, s[0:1], s4, v50
	v_addc_co_u32_e64 v53, s[0:1], v53, v51, s[0:1]
	global_store_dword v[52:53], v33, off
	v_mov_b32_e32 v52, s41
	v_add_co_u32_e64 v50, s[0:1], s40, v50
	v_addc_co_u32_e64 v51, s[0:1], v52, v51, s[0:1]
	s_waitcnt vmcnt(1)
	global_store_dword v[50:51], v54, off
	s_or_b64 exec, exec, s[88:89]
	s_and_saveexec_b64 s[88:89], s[8:9]
	s_cbranch_execz .LBB116_80
.LBB116_116:                            ;   in Loop: Header=BB116_21 Depth=1
	v_add_u32_e32 v49, 0xe0, v49
	v_add_u32_e32 v50, 0x60, v47
	v_cndmask_b32_e32 v50, v50, v49, vcc
	v_ashrrev_i32_e32 v51, 31, v50
	v_lshlrev_b64 v[50:51], 2, v[50:51]
	v_mov_b32_e32 v49, s43
	v_add_co_u32_e64 v50, s[0:1], s42, v50
	v_addc_co_u32_e64 v51, s[0:1], v49, v51, s[0:1]
	global_load_dword v49, v[50:51], off
	v_add3_u32 v50, v0, v11, s93
	v_ashrrev_i32_e32 v51, 31, v50
	v_lshlrev_b64 v[50:51], 2, v[50:51]
	v_mov_b32_e32 v53, s5
	v_add_co_u32_e64 v52, s[0:1], s4, v50
	v_addc_co_u32_e64 v53, s[0:1], v53, v51, s[0:1]
	global_store_dword v[52:53], v40, off
	v_mov_b32_e32 v52, s41
	v_add_co_u32_e64 v50, s[0:1], s40, v50
	v_addc_co_u32_e64 v51, s[0:1], v52, v51, s[0:1]
	s_waitcnt vmcnt(1)
	global_store_dword v[50:51], v49, off
	s_or_b64 exec, exec, s[88:89]
	v_add_u32_e32 v49, s39, v26
	s_and_saveexec_b64 s[88:89], s[50:51]
	s_cbranch_execz .LBB116_81
.LBB116_117:                            ;   in Loop: Header=BB116_21 Depth=1
	v_add_u32_e32 v50, 0x80, v48
	v_cndmask_b32_e32 v50, v50, v49, vcc
	v_ashrrev_i32_e32 v51, 31, v50
	v_lshlrev_b64 v[50:51], 2, v[50:51]
	v_mov_b32_e32 v52, s43
	v_add_co_u32_e64 v50, s[0:1], s42, v50
	v_addc_co_u32_e64 v51, s[0:1], v52, v51, s[0:1]
	global_load_dword v54, v[50:51], off
	v_add_u32_e32 v50, v0, v9
	v_ashrrev_i32_e32 v51, 31, v50
	v_lshlrev_b64 v[50:51], 2, v[50:51]
	v_mov_b32_e32 v53, s5
	v_add_co_u32_e64 v52, s[0:1], s4, v50
	v_addc_co_u32_e64 v53, s[0:1], v53, v51, s[0:1]
	global_store_dword v[52:53], v21, off
	v_mov_b32_e32 v52, s41
	v_add_co_u32_e64 v50, s[0:1], s40, v50
	v_addc_co_u32_e64 v51, s[0:1], v52, v51, s[0:1]
	s_waitcnt vmcnt(1)
	global_store_dword v[50:51], v54, off
	s_or_b64 exec, exec, s[88:89]
	s_and_saveexec_b64 s[88:89], s[52:53]
	s_cbranch_execz .LBB116_82
.LBB116_118:                            ;   in Loop: Header=BB116_21 Depth=1
	v_add3_u32 v50, v26, s39, 32
	v_add_u32_e32 v51, 0x80, v41
	v_cndmask_b32_e32 v50, v51, v50, vcc
	v_ashrrev_i32_e32 v51, 31, v50
	v_lshlrev_b64 v[50:51], 2, v[50:51]
	v_mov_b32_e32 v52, s43
	v_add_co_u32_e64 v50, s[0:1], s42, v50
	v_addc_co_u32_e64 v51, s[0:1], v52, v51, s[0:1]
	global_load_dword v54, v[50:51], off
	v_add3_u32 v50, v0, v9, 32
	v_ashrrev_i32_e32 v51, 31, v50
	v_lshlrev_b64 v[50:51], 2, v[50:51]
	v_mov_b32_e32 v53, s5
	v_add_co_u32_e64 v52, s[0:1], s4, v50
	v_addc_co_u32_e64 v53, s[0:1], v53, v51, s[0:1]
	global_store_dword v[52:53], v23, off
	v_mov_b32_e32 v52, s41
	v_add_co_u32_e64 v50, s[0:1], s40, v50
	v_addc_co_u32_e64 v51, s[0:1], v52, v51, s[0:1]
	s_waitcnt vmcnt(1)
	global_store_dword v[50:51], v54, off
	s_or_b64 exec, exec, s[88:89]
	s_and_saveexec_b64 s[88:89], s[54:55]
	s_cbranch_execz .LBB116_83
.LBB116_119:                            ;   in Loop: Header=BB116_21 Depth=1
	v_add3_u32 v50, v26, s39, 64
	v_add_u32_e32 v51, 0x80, v42
	v_cndmask_b32_e32 v50, v51, v50, vcc
	v_ashrrev_i32_e32 v51, 31, v50
	v_lshlrev_b64 v[50:51], 2, v[50:51]
	v_mov_b32_e32 v52, s43
	v_add_co_u32_e64 v50, s[0:1], s42, v50
	v_addc_co_u32_e64 v51, s[0:1], v52, v51, s[0:1]
	global_load_dword v54, v[50:51], off
	v_add3_u32 v50, v0, v9, 64
	v_ashrrev_i32_e32 v51, 31, v50
	v_lshlrev_b64 v[50:51], 2, v[50:51]
	v_mov_b32_e32 v53, s5
	v_add_co_u32_e64 v52, s[0:1], s4, v50
	v_addc_co_u32_e64 v53, s[0:1], v53, v51, s[0:1]
	global_store_dword v[52:53], v25, off
	v_mov_b32_e32 v52, s41
	v_add_co_u32_e64 v50, s[0:1], s40, v50
	v_addc_co_u32_e64 v51, s[0:1], v52, v51, s[0:1]
	s_waitcnt vmcnt(1)
	global_store_dword v[50:51], v54, off
	s_or_b64 exec, exec, s[88:89]
	s_and_saveexec_b64 s[88:89], s[56:57]
	s_cbranch_execz .LBB116_84
.LBB116_120:                            ;   in Loop: Header=BB116_21 Depth=1
	v_add_u32_e32 v50, 0x60, v49
	v_add_u32_e32 v51, 0x80, v43
	v_cndmask_b32_e32 v50, v51, v50, vcc
	v_ashrrev_i32_e32 v51, 31, v50
	v_lshlrev_b64 v[50:51], 2, v[50:51]
	v_mov_b32_e32 v52, s43
	v_add_co_u32_e64 v50, s[0:1], s42, v50
	v_addc_co_u32_e64 v51, s[0:1], v52, v51, s[0:1]
	global_load_dword v54, v[50:51], off
	v_add3_u32 v50, v0, v9, s33
	v_ashrrev_i32_e32 v51, 31, v50
	v_lshlrev_b64 v[50:51], 2, v[50:51]
	v_mov_b32_e32 v53, s5
	v_add_co_u32_e64 v52, s[0:1], s4, v50
	v_addc_co_u32_e64 v53, s[0:1], v53, v51, s[0:1]
	global_store_dword v[52:53], v27, off
	v_mov_b32_e32 v52, s41
	v_add_co_u32_e64 v50, s[0:1], s40, v50
	v_addc_co_u32_e64 v51, s[0:1], v52, v51, s[0:1]
	s_waitcnt vmcnt(1)
	global_store_dword v[50:51], v54, off
	s_or_b64 exec, exec, s[88:89]
	s_and_saveexec_b64 s[88:89], s[58:59]
	s_cbranch_execz .LBB116_85
.LBB116_121:                            ;   in Loop: Header=BB116_21 Depth=1
	v_cndmask_b32_e32 v50, v12, v26, vcc
	v_add_u32_e32 v50, s39, v50
	v_add_u32_e32 v50, 0x80, v50
	v_ashrrev_i32_e32 v51, 31, v50
	v_lshlrev_b64 v[50:51], 2, v[50:51]
	v_mov_b32_e32 v52, s43
	v_add_co_u32_e64 v50, s[0:1], s42, v50
	v_addc_co_u32_e64 v51, s[0:1], v52, v51, s[0:1]
	global_load_dword v54, v[50:51], off
	v_add3_u32 v50, v0, v9, s90
	v_ashrrev_i32_e32 v51, 31, v50
	v_lshlrev_b64 v[50:51], 2, v[50:51]
	v_mov_b32_e32 v53, s5
	v_add_co_u32_e64 v52, s[0:1], s4, v50
	v_addc_co_u32_e64 v53, s[0:1], v53, v51, s[0:1]
	global_store_dword v[52:53], v29, off
	v_mov_b32_e32 v52, s41
	v_add_co_u32_e64 v50, s[0:1], s40, v50
	v_addc_co_u32_e64 v51, s[0:1], v52, v51, s[0:1]
	s_waitcnt vmcnt(1)
	global_store_dword v[50:51], v54, off
	s_or_b64 exec, exec, s[88:89]
	s_and_saveexec_b64 s[88:89], s[60:61]
	s_cbranch_execz .LBB116_86
.LBB116_122:                            ;   in Loop: Header=BB116_21 Depth=1
	v_add_u32_e32 v50, 0xa0, v49
	v_add_u32_e32 v51, 0x80, v45
	v_cndmask_b32_e32 v50, v51, v50, vcc
	v_ashrrev_i32_e32 v51, 31, v50
	v_lshlrev_b64 v[50:51], 2, v[50:51]
	v_mov_b32_e32 v52, s43
	v_add_co_u32_e64 v50, s[0:1], s42, v50
	v_addc_co_u32_e64 v51, s[0:1], v52, v51, s[0:1]
	global_load_dword v54, v[50:51], off
	v_add3_u32 v50, v0, v9, s91
	v_ashrrev_i32_e32 v51, 31, v50
	v_lshlrev_b64 v[50:51], 2, v[50:51]
	v_mov_b32_e32 v53, s5
	v_add_co_u32_e64 v52, s[0:1], s4, v50
	v_addc_co_u32_e64 v53, s[0:1], v53, v51, s[0:1]
	global_store_dword v[52:53], v31, off
	v_mov_b32_e32 v52, s41
	v_add_co_u32_e64 v50, s[0:1], s40, v50
	v_addc_co_u32_e64 v51, s[0:1], v52, v51, s[0:1]
	s_waitcnt vmcnt(1)
	global_store_dword v[50:51], v54, off
	s_or_b64 exec, exec, s[88:89]
	s_and_saveexec_b64 s[88:89], s[62:63]
	s_cbranch_execz .LBB116_87
.LBB116_123:                            ;   in Loop: Header=BB116_21 Depth=1
	v_add_u32_e32 v50, 0xc0, v49
	v_add_u32_e32 v51, 0x80, v46
	v_cndmask_b32_e32 v50, v51, v50, vcc
	v_ashrrev_i32_e32 v51, 31, v50
	v_lshlrev_b64 v[50:51], 2, v[50:51]
	v_mov_b32_e32 v52, s43
	v_add_co_u32_e64 v50, s[0:1], s42, v50
	v_addc_co_u32_e64 v51, s[0:1], v52, v51, s[0:1]
	global_load_dword v54, v[50:51], off
	v_add3_u32 v50, v0, v9, s92
	v_ashrrev_i32_e32 v51, 31, v50
	v_lshlrev_b64 v[50:51], 2, v[50:51]
	v_mov_b32_e32 v53, s5
	v_add_co_u32_e64 v52, s[0:1], s4, v50
	v_addc_co_u32_e64 v53, s[0:1], v53, v51, s[0:1]
	global_store_dword v[52:53], v33, off
	v_mov_b32_e32 v52, s41
	v_add_co_u32_e64 v50, s[0:1], s40, v50
	v_addc_co_u32_e64 v51, s[0:1], v52, v51, s[0:1]
	s_waitcnt vmcnt(1)
	global_store_dword v[50:51], v54, off
	s_or_b64 exec, exec, s[88:89]
	s_and_saveexec_b64 s[88:89], s[10:11]
	s_cbranch_execz .LBB116_88
.LBB116_124:                            ;   in Loop: Header=BB116_21 Depth=1
	v_add_u32_e32 v49, 0xe0, v49
	v_add_u32_e32 v50, 0x80, v47
	v_cndmask_b32_e32 v50, v50, v49, vcc
	v_ashrrev_i32_e32 v51, 31, v50
	v_lshlrev_b64 v[50:51], 2, v[50:51]
	v_mov_b32_e32 v49, s43
	v_add_co_u32_e64 v50, s[0:1], s42, v50
	v_addc_co_u32_e64 v51, s[0:1], v49, v51, s[0:1]
	global_load_dword v49, v[50:51], off
	v_add3_u32 v50, v0, v9, s93
	v_ashrrev_i32_e32 v51, 31, v50
	v_lshlrev_b64 v[50:51], 2, v[50:51]
	v_mov_b32_e32 v53, s5
	v_add_co_u32_e64 v52, s[0:1], s4, v50
	v_addc_co_u32_e64 v53, s[0:1], v53, v51, s[0:1]
	global_store_dword v[52:53], v40, off
	v_mov_b32_e32 v52, s41
	v_add_co_u32_e64 v50, s[0:1], s40, v50
	v_addc_co_u32_e64 v51, s[0:1], v52, v51, s[0:1]
	s_waitcnt vmcnt(1)
	global_store_dword v[50:51], v49, off
	s_or_b64 exec, exec, s[88:89]
	v_add_u32_e32 v49, s39, v28
	s_and_saveexec_b64 s[88:89], s[64:65]
	s_cbranch_execz .LBB116_89
.LBB116_125:                            ;   in Loop: Header=BB116_21 Depth=1
	v_add_u32_e32 v50, 0xa0, v48
	v_cndmask_b32_e32 v50, v50, v49, vcc
	v_ashrrev_i32_e32 v51, 31, v50
	v_lshlrev_b64 v[50:51], 2, v[50:51]
	v_mov_b32_e32 v52, s43
	v_add_co_u32_e64 v50, s[0:1], s42, v50
	v_addc_co_u32_e64 v51, s[0:1], v52, v51, s[0:1]
	global_load_dword v54, v[50:51], off
	v_add_u32_e32 v50, v0, v7
	v_ashrrev_i32_e32 v51, 31, v50
	v_lshlrev_b64 v[50:51], 2, v[50:51]
	v_mov_b32_e32 v53, s5
	v_add_co_u32_e64 v52, s[0:1], s4, v50
	v_addc_co_u32_e64 v53, s[0:1], v53, v51, s[0:1]
	global_store_dword v[52:53], v21, off
	v_mov_b32_e32 v52, s41
	v_add_co_u32_e64 v50, s[0:1], s40, v50
	v_addc_co_u32_e64 v51, s[0:1], v52, v51, s[0:1]
	s_waitcnt vmcnt(1)
	global_store_dword v[50:51], v54, off
	s_or_b64 exec, exec, s[88:89]
	s_and_saveexec_b64 s[88:89], s[66:67]
	s_cbranch_execz .LBB116_90
.LBB116_126:                            ;   in Loop: Header=BB116_21 Depth=1
	v_add3_u32 v50, v28, s39, 32
	v_add_u32_e32 v51, 0xa0, v41
	v_cndmask_b32_e32 v50, v51, v50, vcc
	v_ashrrev_i32_e32 v51, 31, v50
	v_lshlrev_b64 v[50:51], 2, v[50:51]
	v_mov_b32_e32 v52, s43
	v_add_co_u32_e64 v50, s[0:1], s42, v50
	v_addc_co_u32_e64 v51, s[0:1], v52, v51, s[0:1]
	global_load_dword v54, v[50:51], off
	v_add3_u32 v50, v0, v7, 32
	v_ashrrev_i32_e32 v51, 31, v50
	v_lshlrev_b64 v[50:51], 2, v[50:51]
	v_mov_b32_e32 v53, s5
	v_add_co_u32_e64 v52, s[0:1], s4, v50
	v_addc_co_u32_e64 v53, s[0:1], v53, v51, s[0:1]
	global_store_dword v[52:53], v23, off
	v_mov_b32_e32 v52, s41
	v_add_co_u32_e64 v50, s[0:1], s40, v50
	v_addc_co_u32_e64 v51, s[0:1], v52, v51, s[0:1]
	s_waitcnt vmcnt(1)
	global_store_dword v[50:51], v54, off
	s_or_b64 exec, exec, s[88:89]
	s_and_saveexec_b64 s[88:89], s[68:69]
	s_cbranch_execz .LBB116_91
.LBB116_127:                            ;   in Loop: Header=BB116_21 Depth=1
	v_add3_u32 v50, v28, s39, 64
	v_add_u32_e32 v51, 0xa0, v42
	v_cndmask_b32_e32 v50, v51, v50, vcc
	v_ashrrev_i32_e32 v51, 31, v50
	v_lshlrev_b64 v[50:51], 2, v[50:51]
	v_mov_b32_e32 v52, s43
	v_add_co_u32_e64 v50, s[0:1], s42, v50
	v_addc_co_u32_e64 v51, s[0:1], v52, v51, s[0:1]
	global_load_dword v54, v[50:51], off
	v_add3_u32 v50, v0, v7, 64
	v_ashrrev_i32_e32 v51, 31, v50
	v_lshlrev_b64 v[50:51], 2, v[50:51]
	v_mov_b32_e32 v53, s5
	v_add_co_u32_e64 v52, s[0:1], s4, v50
	v_addc_co_u32_e64 v53, s[0:1], v53, v51, s[0:1]
	global_store_dword v[52:53], v25, off
	v_mov_b32_e32 v52, s41
	v_add_co_u32_e64 v50, s[0:1], s40, v50
	v_addc_co_u32_e64 v51, s[0:1], v52, v51, s[0:1]
	s_waitcnt vmcnt(1)
	global_store_dword v[50:51], v54, off
	s_or_b64 exec, exec, s[88:89]
	s_and_saveexec_b64 s[88:89], s[70:71]
	s_cbranch_execz .LBB116_92
.LBB116_128:                            ;   in Loop: Header=BB116_21 Depth=1
	v_add_u32_e32 v50, 0x60, v49
	v_add_u32_e32 v51, 0xa0, v43
	v_cndmask_b32_e32 v50, v51, v50, vcc
	v_ashrrev_i32_e32 v51, 31, v50
	v_lshlrev_b64 v[50:51], 2, v[50:51]
	v_mov_b32_e32 v52, s43
	v_add_co_u32_e64 v50, s[0:1], s42, v50
	v_addc_co_u32_e64 v51, s[0:1], v52, v51, s[0:1]
	global_load_dword v54, v[50:51], off
	v_add3_u32 v50, v0, v7, s33
	v_ashrrev_i32_e32 v51, 31, v50
	v_lshlrev_b64 v[50:51], 2, v[50:51]
	v_mov_b32_e32 v53, s5
	v_add_co_u32_e64 v52, s[0:1], s4, v50
	v_addc_co_u32_e64 v53, s[0:1], v53, v51, s[0:1]
	global_store_dword v[52:53], v27, off
	v_mov_b32_e32 v52, s41
	v_add_co_u32_e64 v50, s[0:1], s40, v50
	v_addc_co_u32_e64 v51, s[0:1], v52, v51, s[0:1]
	s_waitcnt vmcnt(1)
	global_store_dword v[50:51], v54, off
	s_or_b64 exec, exec, s[88:89]
	s_and_saveexec_b64 s[88:89], s[72:73]
	s_cbranch_execz .LBB116_93
.LBB116_129:                            ;   in Loop: Header=BB116_21 Depth=1
	v_add_u32_e32 v50, 0x80, v49
	v_add_u32_e32 v51, 0xa0, v44
	v_cndmask_b32_e32 v50, v51, v50, vcc
	v_ashrrev_i32_e32 v51, 31, v50
	v_lshlrev_b64 v[50:51], 2, v[50:51]
	v_mov_b32_e32 v52, s43
	v_add_co_u32_e64 v50, s[0:1], s42, v50
	v_addc_co_u32_e64 v51, s[0:1], v52, v51, s[0:1]
	global_load_dword v54, v[50:51], off
	v_add3_u32 v50, v0, v7, s90
	v_ashrrev_i32_e32 v51, 31, v50
	v_lshlrev_b64 v[50:51], 2, v[50:51]
	v_mov_b32_e32 v53, s5
	v_add_co_u32_e64 v52, s[0:1], s4, v50
	v_addc_co_u32_e64 v53, s[0:1], v53, v51, s[0:1]
	global_store_dword v[52:53], v29, off
	v_mov_b32_e32 v52, s41
	v_add_co_u32_e64 v50, s[0:1], s40, v50
	v_addc_co_u32_e64 v51, s[0:1], v52, v51, s[0:1]
	s_waitcnt vmcnt(1)
	global_store_dword v[50:51], v54, off
	s_or_b64 exec, exec, s[88:89]
	s_and_saveexec_b64 s[88:89], s[2:3]
	s_cbranch_execz .LBB116_94
.LBB116_130:                            ;   in Loop: Header=BB116_21 Depth=1
	v_cndmask_b32_e32 v50, v10, v28, vcc
	v_add_u32_e32 v50, s39, v50
	v_add_u32_e32 v50, 0xa0, v50
	v_ashrrev_i32_e32 v51, 31, v50
	v_lshlrev_b64 v[50:51], 2, v[50:51]
	v_mov_b32_e32 v52, s43
	v_add_co_u32_e64 v50, s[0:1], s42, v50
	v_addc_co_u32_e64 v51, s[0:1], v52, v51, s[0:1]
	global_load_dword v54, v[50:51], off
	v_add3_u32 v50, v0, v7, s91
	v_ashrrev_i32_e32 v51, 31, v50
	v_lshlrev_b64 v[50:51], 2, v[50:51]
	v_mov_b32_e32 v53, s5
	v_add_co_u32_e64 v52, s[0:1], s4, v50
	v_addc_co_u32_e64 v53, s[0:1], v53, v51, s[0:1]
	global_store_dword v[52:53], v31, off
	v_mov_b32_e32 v52, s41
	v_add_co_u32_e64 v50, s[0:1], s40, v50
	v_addc_co_u32_e64 v51, s[0:1], v52, v51, s[0:1]
	s_waitcnt vmcnt(1)
	global_store_dword v[50:51], v54, off
	s_or_b64 exec, exec, s[88:89]
	s_and_saveexec_b64 s[88:89], s[74:75]
	s_cbranch_execz .LBB116_95
.LBB116_131:                            ;   in Loop: Header=BB116_21 Depth=1
	v_add_u32_e32 v50, 0xc0, v49
	v_add_u32_e32 v51, 0xa0, v46
	v_cndmask_b32_e32 v50, v51, v50, vcc
	v_ashrrev_i32_e32 v51, 31, v50
	v_lshlrev_b64 v[50:51], 2, v[50:51]
	v_mov_b32_e32 v52, s43
	v_add_co_u32_e64 v50, s[0:1], s42, v50
	v_addc_co_u32_e64 v51, s[0:1], v52, v51, s[0:1]
	global_load_dword v54, v[50:51], off
	v_add3_u32 v50, v0, v7, s92
	v_ashrrev_i32_e32 v51, 31, v50
	v_lshlrev_b64 v[50:51], 2, v[50:51]
	v_mov_b32_e32 v53, s5
	v_add_co_u32_e64 v52, s[0:1], s4, v50
	v_addc_co_u32_e64 v53, s[0:1], v53, v51, s[0:1]
	global_store_dword v[52:53], v33, off
	v_mov_b32_e32 v52, s41
	v_add_co_u32_e64 v50, s[0:1], s40, v50
	v_addc_co_u32_e64 v51, s[0:1], v52, v51, s[0:1]
	s_waitcnt vmcnt(1)
	global_store_dword v[50:51], v54, off
	s_or_b64 exec, exec, s[88:89]
	s_and_saveexec_b64 s[88:89], s[12:13]
	s_cbranch_execz .LBB116_96
.LBB116_132:                            ;   in Loop: Header=BB116_21 Depth=1
	v_add_u32_e32 v49, 0xe0, v49
	v_add_u32_e32 v50, 0xa0, v47
	v_cndmask_b32_e32 v50, v50, v49, vcc
	v_ashrrev_i32_e32 v51, 31, v50
	v_lshlrev_b64 v[50:51], 2, v[50:51]
	v_mov_b32_e32 v49, s43
	v_add_co_u32_e64 v50, s[0:1], s42, v50
	v_addc_co_u32_e64 v51, s[0:1], v49, v51, s[0:1]
	global_load_dword v49, v[50:51], off
	v_add3_u32 v50, v0, v7, s93
	v_ashrrev_i32_e32 v51, 31, v50
	v_lshlrev_b64 v[50:51], 2, v[50:51]
	v_mov_b32_e32 v53, s5
	v_add_co_u32_e64 v52, s[0:1], s4, v50
	v_addc_co_u32_e64 v53, s[0:1], v53, v51, s[0:1]
	global_store_dword v[52:53], v40, off
	v_mov_b32_e32 v52, s41
	v_add_co_u32_e64 v50, s[0:1], s40, v50
	v_addc_co_u32_e64 v51, s[0:1], v52, v51, s[0:1]
	s_waitcnt vmcnt(1)
	global_store_dword v[50:51], v49, off
	s_or_b64 exec, exec, s[88:89]
	v_add_u32_e32 v49, s39, v30
	s_and_saveexec_b64 s[88:89], s[76:77]
	s_cbranch_execz .LBB116_97
.LBB116_133:                            ;   in Loop: Header=BB116_21 Depth=1
	v_add_u32_e32 v50, 0xc0, v48
	v_cndmask_b32_e32 v50, v50, v49, vcc
	v_ashrrev_i32_e32 v51, 31, v50
	v_lshlrev_b64 v[50:51], 2, v[50:51]
	v_mov_b32_e32 v52, s43
	v_add_co_u32_e64 v50, s[0:1], s42, v50
	v_addc_co_u32_e64 v51, s[0:1], v52, v51, s[0:1]
	global_load_dword v54, v[50:51], off
	v_add_u32_e32 v50, v0, v5
	v_ashrrev_i32_e32 v51, 31, v50
	v_lshlrev_b64 v[50:51], 2, v[50:51]
	v_mov_b32_e32 v53, s5
	v_add_co_u32_e64 v52, s[0:1], s4, v50
	v_addc_co_u32_e64 v53, s[0:1], v53, v51, s[0:1]
	global_store_dword v[52:53], v21, off
	v_mov_b32_e32 v52, s41
	v_add_co_u32_e64 v50, s[0:1], s40, v50
	v_addc_co_u32_e64 v51, s[0:1], v52, v51, s[0:1]
	s_waitcnt vmcnt(1)
	global_store_dword v[50:51], v54, off
	s_or_b64 exec, exec, s[88:89]
	s_and_saveexec_b64 s[88:89], s[78:79]
	s_cbranch_execz .LBB116_98
.LBB116_134:                            ;   in Loop: Header=BB116_21 Depth=1
	v_add3_u32 v50, v30, s39, 32
	v_add_u32_e32 v51, 0xc0, v41
	v_cndmask_b32_e32 v50, v51, v50, vcc
	v_ashrrev_i32_e32 v51, 31, v50
	v_lshlrev_b64 v[50:51], 2, v[50:51]
	v_mov_b32_e32 v52, s43
	v_add_co_u32_e64 v50, s[0:1], s42, v50
	v_addc_co_u32_e64 v51, s[0:1], v52, v51, s[0:1]
	global_load_dword v54, v[50:51], off
	v_add3_u32 v50, v0, v5, 32
	v_ashrrev_i32_e32 v51, 31, v50
	v_lshlrev_b64 v[50:51], 2, v[50:51]
	v_mov_b32_e32 v53, s5
	v_add_co_u32_e64 v52, s[0:1], s4, v50
	v_addc_co_u32_e64 v53, s[0:1], v53, v51, s[0:1]
	global_store_dword v[52:53], v23, off
	v_mov_b32_e32 v52, s41
	v_add_co_u32_e64 v50, s[0:1], s40, v50
	v_addc_co_u32_e64 v51, s[0:1], v52, v51, s[0:1]
	s_waitcnt vmcnt(1)
	global_store_dword v[50:51], v54, off
	s_or_b64 exec, exec, s[88:89]
	s_and_saveexec_b64 s[88:89], s[80:81]
	s_cbranch_execz .LBB116_99
.LBB116_135:                            ;   in Loop: Header=BB116_21 Depth=1
	v_add3_u32 v50, v30, s39, 64
	v_add_u32_e32 v51, 0xc0, v42
	v_cndmask_b32_e32 v50, v51, v50, vcc
	v_ashrrev_i32_e32 v51, 31, v50
	v_lshlrev_b64 v[50:51], 2, v[50:51]
	v_mov_b32_e32 v52, s43
	v_add_co_u32_e64 v50, s[0:1], s42, v50
	v_addc_co_u32_e64 v51, s[0:1], v52, v51, s[0:1]
	global_load_dword v54, v[50:51], off
	v_add3_u32 v50, v0, v5, 64
	v_ashrrev_i32_e32 v51, 31, v50
	v_lshlrev_b64 v[50:51], 2, v[50:51]
	v_mov_b32_e32 v53, s5
	v_add_co_u32_e64 v52, s[0:1], s4, v50
	v_addc_co_u32_e64 v53, s[0:1], v53, v51, s[0:1]
	global_store_dword v[52:53], v25, off
	v_mov_b32_e32 v52, s41
	v_add_co_u32_e64 v50, s[0:1], s40, v50
	v_addc_co_u32_e64 v51, s[0:1], v52, v51, s[0:1]
	s_waitcnt vmcnt(1)
	global_store_dword v[50:51], v54, off
	s_or_b64 exec, exec, s[88:89]
	s_and_saveexec_b64 s[88:89], s[82:83]
	s_cbranch_execz .LBB116_100
.LBB116_136:                            ;   in Loop: Header=BB116_21 Depth=1
	v_add_u32_e32 v50, 0x60, v49
	v_add_u32_e32 v51, 0xc0, v43
	v_cndmask_b32_e32 v50, v51, v50, vcc
	v_ashrrev_i32_e32 v51, 31, v50
	v_lshlrev_b64 v[50:51], 2, v[50:51]
	v_mov_b32_e32 v52, s43
	v_add_co_u32_e64 v50, s[0:1], s42, v50
	v_addc_co_u32_e64 v51, s[0:1], v52, v51, s[0:1]
	global_load_dword v54, v[50:51], off
	v_add3_u32 v50, v0, v5, s33
	v_ashrrev_i32_e32 v51, 31, v50
	v_lshlrev_b64 v[50:51], 2, v[50:51]
	v_mov_b32_e32 v53, s5
	v_add_co_u32_e64 v52, s[0:1], s4, v50
	v_addc_co_u32_e64 v53, s[0:1], v53, v51, s[0:1]
	global_store_dword v[52:53], v27, off
	v_mov_b32_e32 v52, s41
	v_add_co_u32_e64 v50, s[0:1], s40, v50
	v_addc_co_u32_e64 v51, s[0:1], v52, v51, s[0:1]
	s_waitcnt vmcnt(1)
	global_store_dword v[50:51], v54, off
	s_or_b64 exec, exec, s[88:89]
	s_and_saveexec_b64 s[88:89], s[84:85]
	s_cbranch_execz .LBB116_101
.LBB116_137:                            ;   in Loop: Header=BB116_21 Depth=1
	v_add_u32_e32 v50, 0x80, v49
	v_add_u32_e32 v51, 0xc0, v44
	v_cndmask_b32_e32 v50, v51, v50, vcc
	v_ashrrev_i32_e32 v51, 31, v50
	v_lshlrev_b64 v[50:51], 2, v[50:51]
	v_mov_b32_e32 v52, s43
	v_add_co_u32_e64 v50, s[0:1], s42, v50
	v_addc_co_u32_e64 v51, s[0:1], v52, v51, s[0:1]
	global_load_dword v54, v[50:51], off
	v_add3_u32 v50, v0, v5, s90
	v_ashrrev_i32_e32 v51, 31, v50
	v_lshlrev_b64 v[50:51], 2, v[50:51]
	v_mov_b32_e32 v53, s5
	v_add_co_u32_e64 v52, s[0:1], s4, v50
	v_addc_co_u32_e64 v53, s[0:1], v53, v51, s[0:1]
	global_store_dword v[52:53], v29, off
	v_mov_b32_e32 v52, s41
	v_add_co_u32_e64 v50, s[0:1], s40, v50
	v_addc_co_u32_e64 v51, s[0:1], v52, v51, s[0:1]
	s_waitcnt vmcnt(1)
	global_store_dword v[50:51], v54, off
	s_or_b64 exec, exec, s[88:89]
	s_and_saveexec_b64 s[88:89], s[86:87]
	s_cbranch_execz .LBB116_102
.LBB116_138:                            ;   in Loop: Header=BB116_21 Depth=1
	v_add_u32_e32 v50, 0xa0, v49
	v_add_u32_e32 v51, 0xc0, v45
	v_cndmask_b32_e32 v50, v51, v50, vcc
	v_ashrrev_i32_e32 v51, 31, v50
	v_lshlrev_b64 v[50:51], 2, v[50:51]
	v_mov_b32_e32 v52, s43
	v_add_co_u32_e64 v50, s[0:1], s42, v50
	v_addc_co_u32_e64 v51, s[0:1], v52, v51, s[0:1]
	global_load_dword v54, v[50:51], off
	v_add3_u32 v50, v0, v5, s91
	v_ashrrev_i32_e32 v51, 31, v50
	v_lshlrev_b64 v[50:51], 2, v[50:51]
	v_mov_b32_e32 v53, s5
	v_add_co_u32_e64 v52, s[0:1], s4, v50
	v_addc_co_u32_e64 v53, s[0:1], v53, v51, s[0:1]
	global_store_dword v[52:53], v31, off
	v_mov_b32_e32 v52, s41
	v_add_co_u32_e64 v50, s[0:1], s40, v50
	v_addc_co_u32_e64 v51, s[0:1], v52, v51, s[0:1]
	s_waitcnt vmcnt(1)
	global_store_dword v[50:51], v54, off
	s_or_b64 exec, exec, s[88:89]
	s_and_saveexec_b64 s[88:89], s[6:7]
	s_cbranch_execz .LBB116_103
.LBB116_139:                            ;   in Loop: Header=BB116_21 Depth=1
	v_cndmask_b32_e32 v50, v8, v30, vcc
	v_add_u32_e32 v50, s39, v50
	v_add_u32_e32 v50, 0xc0, v50
	v_ashrrev_i32_e32 v51, 31, v50
	v_lshlrev_b64 v[50:51], 2, v[50:51]
	v_mov_b32_e32 v52, s43
	v_add_co_u32_e64 v50, s[0:1], s42, v50
	v_addc_co_u32_e64 v51, s[0:1], v52, v51, s[0:1]
	global_load_dword v54, v[50:51], off
	v_add3_u32 v50, v0, v5, s92
	v_ashrrev_i32_e32 v51, 31, v50
	v_lshlrev_b64 v[50:51], 2, v[50:51]
	v_mov_b32_e32 v53, s5
	v_add_co_u32_e64 v52, s[0:1], s4, v50
	v_addc_co_u32_e64 v53, s[0:1], v53, v51, s[0:1]
	global_store_dword v[52:53], v33, off
	v_mov_b32_e32 v52, s41
	v_add_co_u32_e64 v50, s[0:1], s40, v50
	v_addc_co_u32_e64 v51, s[0:1], v52, v51, s[0:1]
	s_waitcnt vmcnt(1)
	global_store_dword v[50:51], v54, off
	s_or_b64 exec, exec, s[88:89]
	s_and_saveexec_b64 s[88:89], s[14:15]
	s_cbranch_execz .LBB116_104
.LBB116_140:                            ;   in Loop: Header=BB116_21 Depth=1
	v_add_u32_e32 v49, 0xe0, v49
	v_add_u32_e32 v47, 0xc0, v47
	v_cndmask_b32_e32 v50, v47, v49, vcc
	v_ashrrev_i32_e32 v51, 31, v50
	v_lshlrev_b64 v[50:51], 2, v[50:51]
	v_mov_b32_e32 v47, s43
	v_add_co_u32_e64 v50, s[0:1], s42, v50
	v_addc_co_u32_e64 v51, s[0:1], v47, v51, s[0:1]
	global_load_dword v47, v[50:51], off
	v_add3_u32 v50, v0, v5, s93
	v_ashrrev_i32_e32 v51, 31, v50
	v_lshlrev_b64 v[50:51], 2, v[50:51]
	v_mov_b32_e32 v49, s5
	v_add_co_u32_e64 v52, s[0:1], s4, v50
	v_addc_co_u32_e64 v53, s[0:1], v49, v51, s[0:1]
	v_mov_b32_e32 v49, s41
	v_add_co_u32_e64 v50, s[0:1], s40, v50
	v_addc_co_u32_e64 v51, s[0:1], v49, v51, s[0:1]
	global_store_dword v[52:53], v40, off
	s_waitcnt vmcnt(1)
	global_store_dword v[50:51], v47, off
	s_or_b64 exec, exec, s[88:89]
	v_add_u32_e32 v47, s39, v32
	s_and_saveexec_b64 s[88:89], s[18:19]
	s_cbranch_execz .LBB116_105
.LBB116_141:                            ;   in Loop: Header=BB116_21 Depth=1
	v_add_u32_e32 v48, 0xe0, v48
	v_cndmask_b32_e32 v48, v48, v47, vcc
	v_ashrrev_i32_e32 v49, 31, v48
	v_lshlrev_b64 v[48:49], 2, v[48:49]
	v_mov_b32_e32 v50, s43
	v_add_co_u32_e64 v48, s[0:1], s42, v48
	v_addc_co_u32_e64 v49, s[0:1], v50, v49, s[0:1]
	global_load_dword v52, v[48:49], off
	v_add_u32_e32 v48, v0, v3
	v_ashrrev_i32_e32 v49, 31, v48
	v_lshlrev_b64 v[48:49], 2, v[48:49]
	v_mov_b32_e32 v51, s5
	v_add_co_u32_e64 v50, s[0:1], s4, v48
	v_addc_co_u32_e64 v51, s[0:1], v51, v49, s[0:1]
	global_store_dword v[50:51], v21, off
	v_mov_b32_e32 v21, s41
	v_add_co_u32_e64 v48, s[0:1], s40, v48
	v_addc_co_u32_e64 v49, s[0:1], v21, v49, s[0:1]
	s_waitcnt vmcnt(1)
	global_store_dword v[48:49], v52, off
	s_or_b64 exec, exec, s[88:89]
	s_and_saveexec_b64 s[88:89], s[20:21]
	s_cbranch_execz .LBB116_106
.LBB116_142:                            ;   in Loop: Header=BB116_21 Depth=1
	v_add3_u32 v21, v32, s39, 32
	v_add_u32_e32 v41, 0xe0, v41
	v_cndmask_b32_e32 v48, v41, v21, vcc
	v_ashrrev_i32_e32 v49, 31, v48
	v_lshlrev_b64 v[48:49], 2, v[48:49]
	v_mov_b32_e32 v21, s43
	v_add_co_u32_e64 v48, s[0:1], s42, v48
	v_addc_co_u32_e64 v49, s[0:1], v21, v49, s[0:1]
	global_load_dword v21, v[48:49], off
	v_add3_u32 v48, v0, v3, 32
	v_ashrrev_i32_e32 v49, 31, v48
	v_lshlrev_b64 v[48:49], 2, v[48:49]
	v_mov_b32_e32 v41, s5
	v_add_co_u32_e64 v50, s[0:1], s4, v48
	v_addc_co_u32_e64 v51, s[0:1], v41, v49, s[0:1]
	global_store_dword v[50:51], v23, off
	v_mov_b32_e32 v23, s41
	v_add_co_u32_e64 v48, s[0:1], s40, v48
	v_addc_co_u32_e64 v49, s[0:1], v23, v49, s[0:1]
	s_waitcnt vmcnt(1)
	global_store_dword v[48:49], v21, off
	s_or_b64 exec, exec, s[88:89]
	s_and_saveexec_b64 s[88:89], s[22:23]
	s_cbranch_execz .LBB116_107
.LBB116_143:                            ;   in Loop: Header=BB116_21 Depth=1
	v_add3_u32 v21, v32, s39, 64
	v_add_u32_e32 v23, 0xe0, v42
	v_cndmask_b32_e32 v48, v23, v21, vcc
	v_ashrrev_i32_e32 v49, 31, v48
	v_lshlrev_b64 v[48:49], 2, v[48:49]
	v_mov_b32_e32 v21, s43
	v_add_co_u32_e64 v48, s[0:1], s42, v48
	v_addc_co_u32_e64 v49, s[0:1], v21, v49, s[0:1]
	global_load_dword v21, v[48:49], off
	v_add3_u32 v48, v0, v3, 64
	v_ashrrev_i32_e32 v49, 31, v48
	v_lshlrev_b64 v[48:49], 2, v[48:49]
	v_mov_b32_e32 v23, s5
	v_add_co_u32_e64 v50, s[0:1], s4, v48
	v_addc_co_u32_e64 v51, s[0:1], v23, v49, s[0:1]
	v_mov_b32_e32 v23, s41
	v_add_co_u32_e64 v48, s[0:1], s40, v48
	v_addc_co_u32_e64 v49, s[0:1], v23, v49, s[0:1]
	global_store_dword v[50:51], v25, off
	s_waitcnt vmcnt(1)
	global_store_dword v[48:49], v21, off
	s_or_b64 exec, exec, s[88:89]
	s_and_saveexec_b64 s[88:89], s[24:25]
	s_cbranch_execz .LBB116_108
.LBB116_144:                            ;   in Loop: Header=BB116_21 Depth=1
	v_add_u32_e32 v21, 0x60, v47
	v_add_u32_e32 v23, 0xe0, v43
	v_cndmask_b32_e32 v42, v23, v21, vcc
	v_ashrrev_i32_e32 v43, 31, v42
	v_lshlrev_b64 v[42:43], 2, v[42:43]
	v_mov_b32_e32 v21, s43
	v_add_co_u32_e64 v42, s[0:1], s42, v42
	v_addc_co_u32_e64 v43, s[0:1], v21, v43, s[0:1]
	global_load_dword v21, v[42:43], off
	v_add3_u32 v42, v0, v3, s33
	v_ashrrev_i32_e32 v43, 31, v42
	v_lshlrev_b64 v[42:43], 2, v[42:43]
	v_mov_b32_e32 v23, s5
	v_add_co_u32_e64 v48, s[0:1], s4, v42
	v_addc_co_u32_e64 v49, s[0:1], v23, v43, s[0:1]
	v_mov_b32_e32 v23, s41
	v_add_co_u32_e64 v42, s[0:1], s40, v42
	v_addc_co_u32_e64 v43, s[0:1], v23, v43, s[0:1]
	global_store_dword v[48:49], v27, off
	s_waitcnt vmcnt(1)
	global_store_dword v[42:43], v21, off
	s_or_b64 exec, exec, s[88:89]
	s_and_saveexec_b64 s[88:89], s[26:27]
	s_cbranch_execz .LBB116_109
.LBB116_145:                            ;   in Loop: Header=BB116_21 Depth=1
	v_add_u32_e32 v21, 0x80, v47
	v_add_u32_e32 v23, 0xe0, v44
	v_cndmask_b32_e32 v42, v23, v21, vcc
	v_ashrrev_i32_e32 v43, 31, v42
	v_lshlrev_b64 v[42:43], 2, v[42:43]
	v_mov_b32_e32 v21, s43
	v_add_co_u32_e64 v42, s[0:1], s42, v42
	v_addc_co_u32_e64 v43, s[0:1], v21, v43, s[0:1]
	global_load_dword v21, v[42:43], off
	v_add3_u32 v42, v0, v3, s90
	v_ashrrev_i32_e32 v43, 31, v42
	v_lshlrev_b64 v[42:43], 2, v[42:43]
	v_mov_b32_e32 v23, s5
	v_add_co_u32_e64 v48, s[0:1], s4, v42
	v_addc_co_u32_e64 v49, s[0:1], v23, v43, s[0:1]
	v_mov_b32_e32 v23, s41
	v_add_co_u32_e64 v42, s[0:1], s40, v42
	v_addc_co_u32_e64 v43, s[0:1], v23, v43, s[0:1]
	global_store_dword v[48:49], v29, off
	s_waitcnt vmcnt(1)
	global_store_dword v[42:43], v21, off
	s_or_b64 exec, exec, s[88:89]
	s_and_saveexec_b64 s[88:89], s[28:29]
	s_cbranch_execz .LBB116_110
.LBB116_146:                            ;   in Loop: Header=BB116_21 Depth=1
	v_add_u32_e32 v21, 0xa0, v47
	v_add_u32_e32 v23, 0xe0, v45
	v_cndmask_b32_e32 v42, v23, v21, vcc
	v_ashrrev_i32_e32 v43, 31, v42
	v_lshlrev_b64 v[42:43], 2, v[42:43]
	v_mov_b32_e32 v21, s43
	v_add_co_u32_e64 v42, s[0:1], s42, v42
	v_addc_co_u32_e64 v43, s[0:1], v21, v43, s[0:1]
	global_load_dword v21, v[42:43], off
	v_add3_u32 v42, v0, v3, s91
	v_ashrrev_i32_e32 v43, 31, v42
	v_lshlrev_b64 v[42:43], 2, v[42:43]
	v_mov_b32_e32 v23, s5
	v_add_co_u32_e64 v44, s[0:1], s4, v42
	v_addc_co_u32_e64 v45, s[0:1], v23, v43, s[0:1]
	v_mov_b32_e32 v23, s41
	v_add_co_u32_e64 v42, s[0:1], s40, v42
	v_addc_co_u32_e64 v43, s[0:1], v23, v43, s[0:1]
	global_store_dword v[44:45], v31, off
	s_waitcnt vmcnt(1)
	global_store_dword v[42:43], v21, off
	s_or_b64 exec, exec, s[88:89]
	s_and_saveexec_b64 s[88:89], s[30:31]
	s_cbranch_execz .LBB116_111
.LBB116_147:                            ;   in Loop: Header=BB116_21 Depth=1
	v_add_u32_e32 v21, 0xc0, v47
	v_add_u32_e32 v23, 0xe0, v46
	v_cndmask_b32_e32 v42, v23, v21, vcc
	v_ashrrev_i32_e32 v43, 31, v42
	v_lshlrev_b64 v[42:43], 2, v[42:43]
	v_mov_b32_e32 v21, s43
	v_add_co_u32_e64 v42, s[0:1], s42, v42
	v_addc_co_u32_e64 v43, s[0:1], v21, v43, s[0:1]
	global_load_dword v21, v[42:43], off
	v_add3_u32 v42, v0, v3, s92
	v_ashrrev_i32_e32 v43, 31, v42
	v_lshlrev_b64 v[42:43], 2, v[42:43]
	v_mov_b32_e32 v23, s5
	v_add_co_u32_e64 v44, s[0:1], s4, v42
	v_addc_co_u32_e64 v45, s[0:1], v23, v43, s[0:1]
	v_mov_b32_e32 v23, s41
	v_add_co_u32_e64 v42, s[0:1], s40, v42
	v_addc_co_u32_e64 v43, s[0:1], v23, v43, s[0:1]
	global_store_dword v[44:45], v33, off
	s_waitcnt vmcnt(1)
	global_store_dword v[42:43], v21, off
	s_or_b64 exec, exec, s[88:89]
	s_and_saveexec_b64 s[88:89], s[16:17]
	s_cbranch_execz .LBB116_20
.LBB116_148:                            ;   in Loop: Header=BB116_21 Depth=1
	v_cndmask_b32_e32 v21, v6, v32, vcc
	v_add_u32_e32 v21, s39, v21
	v_add_u32_e32 v42, 0xe0, v21
	v_ashrrev_i32_e32 v43, 31, v42
	v_lshlrev_b64 v[42:43], 2, v[42:43]
	v_mov_b32_e32 v21, s43
	v_add_co_u32_e64 v42, s[0:1], s42, v42
	v_addc_co_u32_e64 v43, s[0:1], v21, v43, s[0:1]
	global_load_dword v21, v[42:43], off
	v_add3_u32 v42, v0, v3, s93
	v_ashrrev_i32_e32 v43, 31, v42
	v_lshlrev_b64 v[42:43], 2, v[42:43]
	v_mov_b32_e32 v23, s5
	v_add_co_u32_e64 v44, s[0:1], s4, v42
	v_addc_co_u32_e64 v45, s[0:1], v23, v43, s[0:1]
	global_store_dword v[44:45], v40, off
	v_mov_b32_e32 v23, s41
	v_add_co_u32_e64 v40, s[0:1], s40, v42
	v_addc_co_u32_e64 v41, s[0:1], v23, v43, s[0:1]
	s_waitcnt vmcnt(1)
	global_store_dword v[40:41], v21, off
	s_branch .LBB116_20
.LBB116_149:
	s_endpgm
	.section	.rodata,"a",@progbits
	.p2align	6, 0x0
	.amdhsa_kernel _ZN9rocsparseL35bsr2csr_block_per_row_33_256_kernelILj1024ELj256ELj32EfiiEEv20rocsparse_direction_T4_S2_21rocsparse_index_base_PKT2_PKT3_PKS2_S2_S3_PS4_PS7_PS2_
		.amdhsa_group_segment_fixed_size 0
		.amdhsa_private_segment_fixed_size 0
		.amdhsa_kernarg_size 72
		.amdhsa_user_sgpr_count 6
		.amdhsa_user_sgpr_private_segment_buffer 1
		.amdhsa_user_sgpr_dispatch_ptr 0
		.amdhsa_user_sgpr_queue_ptr 0
		.amdhsa_user_sgpr_kernarg_segment_ptr 1
		.amdhsa_user_sgpr_dispatch_id 0
		.amdhsa_user_sgpr_flat_scratch_init 0
		.amdhsa_user_sgpr_kernarg_preload_length 0
		.amdhsa_user_sgpr_kernarg_preload_offset 0
		.amdhsa_user_sgpr_private_segment_size 0
		.amdhsa_uses_dynamic_stack 0
		.amdhsa_system_sgpr_private_segment_wavefront_offset 0
		.amdhsa_system_sgpr_workgroup_id_x 1
		.amdhsa_system_sgpr_workgroup_id_y 0
		.amdhsa_system_sgpr_workgroup_id_z 0
		.amdhsa_system_sgpr_workgroup_info 0
		.amdhsa_system_vgpr_workitem_id 0
		.amdhsa_next_free_vgpr 56
		.amdhsa_next_free_sgpr 96
		.amdhsa_accum_offset 56
		.amdhsa_reserve_vcc 1
		.amdhsa_reserve_flat_scratch 0
		.amdhsa_float_round_mode_32 0
		.amdhsa_float_round_mode_16_64 0
		.amdhsa_float_denorm_mode_32 3
		.amdhsa_float_denorm_mode_16_64 3
		.amdhsa_dx10_clamp 1
		.amdhsa_ieee_mode 1
		.amdhsa_fp16_overflow 0
		.amdhsa_tg_split 0
		.amdhsa_exception_fp_ieee_invalid_op 0
		.amdhsa_exception_fp_denorm_src 0
		.amdhsa_exception_fp_ieee_div_zero 0
		.amdhsa_exception_fp_ieee_overflow 0
		.amdhsa_exception_fp_ieee_underflow 0
		.amdhsa_exception_fp_ieee_inexact 0
		.amdhsa_exception_int_div_zero 0
	.end_amdhsa_kernel
	.section	.text._ZN9rocsparseL35bsr2csr_block_per_row_33_256_kernelILj1024ELj256ELj32EfiiEEv20rocsparse_direction_T4_S2_21rocsparse_index_base_PKT2_PKT3_PKS2_S2_S3_PS4_PS7_PS2_,"axG",@progbits,_ZN9rocsparseL35bsr2csr_block_per_row_33_256_kernelILj1024ELj256ELj32EfiiEEv20rocsparse_direction_T4_S2_21rocsparse_index_base_PKT2_PKT3_PKS2_S2_S3_PS4_PS7_PS2_,comdat
.Lfunc_end116:
	.size	_ZN9rocsparseL35bsr2csr_block_per_row_33_256_kernelILj1024ELj256ELj32EfiiEEv20rocsparse_direction_T4_S2_21rocsparse_index_base_PKT2_PKT3_PKS2_S2_S3_PS4_PS7_PS2_, .Lfunc_end116-_ZN9rocsparseL35bsr2csr_block_per_row_33_256_kernelILj1024ELj256ELj32EfiiEEv20rocsparse_direction_T4_S2_21rocsparse_index_base_PKT2_PKT3_PKS2_S2_S3_PS4_PS7_PS2_
                                        ; -- End function
	.section	.AMDGPU.csdata,"",@progbits
; Kernel info:
; codeLenInByte = 13044
; NumSgprs: 100
; NumVgprs: 56
; NumAgprs: 0
; TotalNumVgprs: 56
; ScratchSize: 0
; MemoryBound: 0
; FloatMode: 240
; IeeeMode: 1
; LDSByteSize: 0 bytes/workgroup (compile time only)
; SGPRBlocks: 12
; VGPRBlocks: 6
; NumSGPRsForWavesPerEU: 100
; NumVGPRsForWavesPerEU: 56
; AccumOffset: 56
; Occupancy: 8
; WaveLimiterHint : 1
; COMPUTE_PGM_RSRC2:SCRATCH_EN: 0
; COMPUTE_PGM_RSRC2:USER_SGPR: 6
; COMPUTE_PGM_RSRC2:TRAP_HANDLER: 0
; COMPUTE_PGM_RSRC2:TGID_X_EN: 1
; COMPUTE_PGM_RSRC2:TGID_Y_EN: 0
; COMPUTE_PGM_RSRC2:TGID_Z_EN: 0
; COMPUTE_PGM_RSRC2:TIDIG_COMP_CNT: 0
; COMPUTE_PGM_RSRC3_GFX90A:ACCUM_OFFSET: 13
; COMPUTE_PGM_RSRC3_GFX90A:TG_SPLIT: 0
	.section	.text._ZN9rocsparseL35bsr2csr_block_dim_equals_one_kernelILj1024EfliEEvT2_S1_21rocsparse_index_base_PKT0_PKT1_PKS1_S2_PS3_PS6_PS1_,"axG",@progbits,_ZN9rocsparseL35bsr2csr_block_dim_equals_one_kernelILj1024EfliEEvT2_S1_21rocsparse_index_base_PKT0_PKT1_PKS1_S2_PS3_PS6_PS1_,comdat
	.globl	_ZN9rocsparseL35bsr2csr_block_dim_equals_one_kernelILj1024EfliEEvT2_S1_21rocsparse_index_base_PKT0_PKT1_PKS1_S2_PS3_PS6_PS1_ ; -- Begin function _ZN9rocsparseL35bsr2csr_block_dim_equals_one_kernelILj1024EfliEEvT2_S1_21rocsparse_index_base_PKT0_PKT1_PKS1_S2_PS3_PS6_PS1_
	.p2align	8
	.type	_ZN9rocsparseL35bsr2csr_block_dim_equals_one_kernelILj1024EfliEEvT2_S1_21rocsparse_index_base_PKT0_PKT1_PKS1_S2_PS3_PS6_PS1_,@function
_ZN9rocsparseL35bsr2csr_block_dim_equals_one_kernelILj1024EfliEEvT2_S1_21rocsparse_index_base_PKT0_PKT1_PKS1_S2_PS3_PS6_PS1_: ; @_ZN9rocsparseL35bsr2csr_block_dim_equals_one_kernelILj1024EfliEEvT2_S1_21rocsparse_index_base_PKT0_PKT1_PKS1_S2_PS3_PS6_PS1_
; %bb.0:
	s_load_dword s12, s[4:5], 0x0
	s_load_dwordx2 s[10:11], s[4:5], 0x18
	s_lshl_b32 s22, s6, 10
	v_or_b32_e32 v2, s22, v0
	v_ashrrev_i32_e32 v3, 31, v2
	s_waitcnt lgkmcnt(0)
	v_cmp_le_i32_e32 vcc, s12, v2
	s_and_saveexec_b64 s[0:1], vcc
	s_xor_b64 s[0:1], exec, s[0:1]
	s_or_saveexec_b64 s[14:15], s[0:1]
	s_load_dwordx2 s[0:1], s[4:5], 0x40
	s_load_dwordx2 s[2:3], s[4:5], 0x30
	;; [unrolled: 1-line block ×3, first 2 shown]
	s_load_dword s23, s[4:5], 0x28
	s_load_dwordx2 s[8:9], s[4:5], 0x10
	s_load_dword s24, s[4:5], 0x8
	s_xor_b64 exec, exec, s[14:15]
	s_cbranch_execz .LBB117_6
; %bb.1:
	s_load_dwordx2 s[16:17], s[4:5], 0x38
	v_cmp_ne_u32_e32 vcc, 0, v2
                                        ; implicit-def: $sgpr20_sgpr21
	s_and_saveexec_b64 s[18:19], vcc
	s_xor_b64 s[18:19], exec, s[18:19]
	s_cbranch_execz .LBB117_3
; %bb.2:
	s_waitcnt lgkmcnt(0)
	s_sub_u32 s20, s23, s24
	s_subb_u32 s21, 0, 0
.LBB117_3:
	s_or_saveexec_b64 s[18:19], s[18:19]
	v_pk_mov_b32 v[4:5], s[20:21], s[20:21] op_sel:[0,1]
	s_xor_b64 exec, exec, s[18:19]
	s_cbranch_execz .LBB117_5
; %bb.4:
	s_load_dwordx2 s[20:21], s[10:11], 0x0
	s_waitcnt lgkmcnt(0)
	s_sub_u32 s26, s23, s24
	s_subb_u32 s27, 0, 0
	v_mov_b32_e32 v1, 0
	s_add_u32 s20, s26, s20
	s_addc_u32 s21, s27, s21
	v_pk_mov_b32 v[4:5], s[20:21], s[20:21] op_sel:[0,1]
	global_store_dwordx2 v1, v[4:5], s[16:17]
	v_pk_mov_b32 v[4:5], s[26:27], s[26:27] op_sel:[0,1]
.LBB117_5:
	s_or_b64 exec, exec, s[18:19]
	v_lshlrev_b64 v[6:7], 3, v[2:3]
	v_mov_b32_e32 v1, s11
	v_add_co_u32_e32 v8, vcc, s10, v6
	v_addc_co_u32_e32 v9, vcc, v1, v7, vcc
	global_load_dwordx2 v[8:9], v[8:9], off offset:8
	s_waitcnt lgkmcnt(0)
	v_mov_b32_e32 v1, s17
	s_waitcnt vmcnt(0)
	v_add_co_u32_e32 v4, vcc, v4, v8
	v_addc_co_u32_e32 v5, vcc, v5, v9, vcc
	v_add_co_u32_e32 v6, vcc, s16, v6
	v_addc_co_u32_e32 v7, vcc, v1, v7, vcc
	global_store_dwordx2 v[6:7], v[4:5], off offset:8
.LBB117_6:
	s_or_b64 exec, exec, s[14:15]
	s_ashr_i32 s13, s12, 31
	s_lshl_b64 s[12:13], s[12:13], 3
	s_add_u32 s12, s10, s12
	s_addc_u32 s13, s11, s13
	s_load_dwordx2 s[14:15], s[12:13], 0x0
	s_load_dwordx2 s[16:17], s[10:11], 0x0
	s_waitcnt lgkmcnt(0)
	s_sub_u32 s10, s14, s16
	s_subb_u32 s11, s15, s17
	v_cmp_gt_i64_e32 vcc, s[10:11], v[2:3]
	s_and_saveexec_b64 s[12:13], vcc
	s_cbranch_execz .LBB117_9
; %bb.7:
	s_load_dword s13, s[4:5], 0x48
	v_mov_b32_e32 v5, s1
	v_mov_b32_e32 v4, s7
	s_sub_i32 s12, s23, s24
	s_mov_b64 s[4:5], 0
	s_waitcnt lgkmcnt(0)
	s_lshl_b32 s1, s13, 10
	s_add_i32 s7, s1, s22
	v_add_u32_e32 v0, s7, v0
	v_mov_b32_e32 v6, s9
	v_mov_b32_e32 v7, s3
.LBB117_8:                              ; =>This Inner Loop Header: Depth=1
	v_lshlrev_b64 v[2:3], 2, v[2:3]
	v_add_co_u32_e32 v8, vcc, s6, v2
	v_addc_co_u32_e32 v9, vcc, v4, v3, vcc
	v_add_co_u32_e32 v10, vcc, s8, v2
	v_addc_co_u32_e32 v11, vcc, v6, v3, vcc
	global_load_dword v12, v[8:9], off
	global_load_dword v13, v[10:11], off
	v_add_co_u32_e32 v8, vcc, s0, v2
	v_addc_co_u32_e32 v9, vcc, v5, v3, vcc
	v_add_co_u32_e32 v10, vcc, s2, v2
	v_ashrrev_i32_e32 v1, 31, v0
	v_addc_co_u32_e32 v11, vcc, v7, v3, vcc
	v_cmp_le_i64_e32 vcc, s[10:11], v[0:1]
	v_pk_mov_b32 v[2:3], v[0:1], v[0:1] op_sel:[0,1]
	v_add_u32_e32 v0, s1, v0
	s_or_b64 s[4:5], vcc, s[4:5]
	s_waitcnt vmcnt(1)
	v_add_u32_e32 v1, s12, v12
	s_waitcnt vmcnt(0)
	global_store_dword v[10:11], v13, off
	global_store_dword v[8:9], v1, off
	s_andn2_b64 exec, exec, s[4:5]
	s_cbranch_execnz .LBB117_8
.LBB117_9:
	s_endpgm
	.section	.rodata,"a",@progbits
	.p2align	6, 0x0
	.amdhsa_kernel _ZN9rocsparseL35bsr2csr_block_dim_equals_one_kernelILj1024EfliEEvT2_S1_21rocsparse_index_base_PKT0_PKT1_PKS1_S2_PS3_PS6_PS1_
		.amdhsa_group_segment_fixed_size 0
		.amdhsa_private_segment_fixed_size 0
		.amdhsa_kernarg_size 328
		.amdhsa_user_sgpr_count 6
		.amdhsa_user_sgpr_private_segment_buffer 1
		.amdhsa_user_sgpr_dispatch_ptr 0
		.amdhsa_user_sgpr_queue_ptr 0
		.amdhsa_user_sgpr_kernarg_segment_ptr 1
		.amdhsa_user_sgpr_dispatch_id 0
		.amdhsa_user_sgpr_flat_scratch_init 0
		.amdhsa_user_sgpr_kernarg_preload_length 0
		.amdhsa_user_sgpr_kernarg_preload_offset 0
		.amdhsa_user_sgpr_private_segment_size 0
		.amdhsa_uses_dynamic_stack 0
		.amdhsa_system_sgpr_private_segment_wavefront_offset 0
		.amdhsa_system_sgpr_workgroup_id_x 1
		.amdhsa_system_sgpr_workgroup_id_y 0
		.amdhsa_system_sgpr_workgroup_id_z 0
		.amdhsa_system_sgpr_workgroup_info 0
		.amdhsa_system_vgpr_workitem_id 0
		.amdhsa_next_free_vgpr 14
		.amdhsa_next_free_sgpr 28
		.amdhsa_accum_offset 16
		.amdhsa_reserve_vcc 1
		.amdhsa_reserve_flat_scratch 0
		.amdhsa_float_round_mode_32 0
		.amdhsa_float_round_mode_16_64 0
		.amdhsa_float_denorm_mode_32 3
		.amdhsa_float_denorm_mode_16_64 3
		.amdhsa_dx10_clamp 1
		.amdhsa_ieee_mode 1
		.amdhsa_fp16_overflow 0
		.amdhsa_tg_split 0
		.amdhsa_exception_fp_ieee_invalid_op 0
		.amdhsa_exception_fp_denorm_src 0
		.amdhsa_exception_fp_ieee_div_zero 0
		.amdhsa_exception_fp_ieee_overflow 0
		.amdhsa_exception_fp_ieee_underflow 0
		.amdhsa_exception_fp_ieee_inexact 0
		.amdhsa_exception_int_div_zero 0
	.end_amdhsa_kernel
	.section	.text._ZN9rocsparseL35bsr2csr_block_dim_equals_one_kernelILj1024EfliEEvT2_S1_21rocsparse_index_base_PKT0_PKT1_PKS1_S2_PS3_PS6_PS1_,"axG",@progbits,_ZN9rocsparseL35bsr2csr_block_dim_equals_one_kernelILj1024EfliEEvT2_S1_21rocsparse_index_base_PKT0_PKT1_PKS1_S2_PS3_PS6_PS1_,comdat
.Lfunc_end117:
	.size	_ZN9rocsparseL35bsr2csr_block_dim_equals_one_kernelILj1024EfliEEvT2_S1_21rocsparse_index_base_PKT0_PKT1_PKS1_S2_PS3_PS6_PS1_, .Lfunc_end117-_ZN9rocsparseL35bsr2csr_block_dim_equals_one_kernelILj1024EfliEEvT2_S1_21rocsparse_index_base_PKT0_PKT1_PKS1_S2_PS3_PS6_PS1_
                                        ; -- End function
	.section	.AMDGPU.csdata,"",@progbits
; Kernel info:
; codeLenInByte = 512
; NumSgprs: 32
; NumVgprs: 14
; NumAgprs: 0
; TotalNumVgprs: 14
; ScratchSize: 0
; MemoryBound: 0
; FloatMode: 240
; IeeeMode: 1
; LDSByteSize: 0 bytes/workgroup (compile time only)
; SGPRBlocks: 3
; VGPRBlocks: 1
; NumSGPRsForWavesPerEU: 32
; NumVGPRsForWavesPerEU: 14
; AccumOffset: 16
; Occupancy: 8
; WaveLimiterHint : 0
; COMPUTE_PGM_RSRC2:SCRATCH_EN: 0
; COMPUTE_PGM_RSRC2:USER_SGPR: 6
; COMPUTE_PGM_RSRC2:TRAP_HANDLER: 0
; COMPUTE_PGM_RSRC2:TGID_X_EN: 1
; COMPUTE_PGM_RSRC2:TGID_Y_EN: 0
; COMPUTE_PGM_RSRC2:TGID_Z_EN: 0
; COMPUTE_PGM_RSRC2:TIDIG_COMP_CNT: 0
; COMPUTE_PGM_RSRC3_GFX90A:ACCUM_OFFSET: 3
; COMPUTE_PGM_RSRC3_GFX90A:TG_SPLIT: 0
	.section	.text._ZN9rocsparseL32bsr2csr_block_per_row_2_7_kernelILj256ELj2EfliEEv20rocsparse_direction_T3_S2_21rocsparse_index_base_PKT1_PKT2_PKS2_S2_S3_PS4_PS7_PS2_,"axG",@progbits,_ZN9rocsparseL32bsr2csr_block_per_row_2_7_kernelILj256ELj2EfliEEv20rocsparse_direction_T3_S2_21rocsparse_index_base_PKT1_PKT2_PKS2_S2_S3_PS4_PS7_PS2_,comdat
	.globl	_ZN9rocsparseL32bsr2csr_block_per_row_2_7_kernelILj256ELj2EfliEEv20rocsparse_direction_T3_S2_21rocsparse_index_base_PKT1_PKT2_PKS2_S2_S3_PS4_PS7_PS2_ ; -- Begin function _ZN9rocsparseL32bsr2csr_block_per_row_2_7_kernelILj256ELj2EfliEEv20rocsparse_direction_T3_S2_21rocsparse_index_base_PKT1_PKT2_PKS2_S2_S3_PS4_PS7_PS2_
	.p2align	8
	.type	_ZN9rocsparseL32bsr2csr_block_per_row_2_7_kernelILj256ELj2EfliEEv20rocsparse_direction_T3_S2_21rocsparse_index_base_PKT1_PKT2_PKS2_S2_S3_PS4_PS7_PS2_,@function
_ZN9rocsparseL32bsr2csr_block_per_row_2_7_kernelILj256ELj2EfliEEv20rocsparse_direction_T3_S2_21rocsparse_index_base_PKT1_PKT2_PKS2_S2_S3_PS4_PS7_PS2_: ; @_ZN9rocsparseL32bsr2csr_block_per_row_2_7_kernelILj256ELj2EfliEEv20rocsparse_direction_T3_S2_21rocsparse_index_base_PKT1_PKT2_PKS2_S2_S3_PS4_PS7_PS2_
; %bb.0:
	s_load_dwordx2 s[2:3], s[4:5], 0x18
	s_load_dword s12, s[4:5], 0x2c
	s_load_dwordx2 s[0:1], s[4:5], 0x38
	s_ashr_i32 s7, s6, 31
	s_lshl_b64 s[8:9], s[6:7], 3
	s_waitcnt lgkmcnt(0)
	s_add_u32 s2, s2, s8
	s_addc_u32 s3, s3, s9
	s_load_dwordx4 s[8:11], s[2:3], 0x0
	v_or_b32_e32 v1, s6, v0
	s_mov_b32 s15, 0
	v_cmp_eq_u32_e32 vcc, 0, v1
	s_and_saveexec_b64 s[2:3], vcc
	s_cbranch_execz .LBB118_2
; %bb.1:
	s_mov_b32 s13, s15
	v_mov_b32_e32 v1, 0
	v_pk_mov_b32 v[2:3], s[12:13], s[12:13] op_sel:[0,1]
	global_store_dwordx2 v1, v[2:3], s[0:1]
.LBB118_2:
	s_or_b64 exec, exec, s[2:3]
	s_load_dword s14, s[4:5], 0xc
	v_and_b32_e32 v2, 1, v0
	v_lshrrev_b32_e32 v6, 1, v0
	v_mov_b32_e32 v1, 0
	v_mov_b32_e32 v3, s1
	s_waitcnt lgkmcnt(0)
	s_sub_u32 s20, s8, s14
	s_subb_u32 s21, s9, 0
	s_sub_u32 s10, s10, s14
	s_subb_u32 s11, s11, 0
	s_lshl_b64 s[16:17], s[20:21], 2
	s_sub_u32 s18, s10, s20
	s_subb_u32 s19, s11, s21
	s_lshl_b64 s[2:3], s[18:19], 1
	v_mov_b32_e32 v0, s18
	v_alignbit_b32 v0, s19, v0, 31
	v_pk_mov_b32 v[4:5], s[16:17], s[16:17] op_sel:[0,1]
	s_add_u32 s7, s2, s12
	v_mul_lo_u32 v19, v0, v2
	v_mad_u64_u32 v[20:21], s[16:17], s2, v2, v[4:5]
	s_addc_u32 s3, s3, 0
	v_add_u32_e32 v21, v19, v21
	v_mov_b32_e32 v0, s3
	v_add_co_u32_e32 v4, vcc, s7, v20
	v_addc_co_u32_e32 v5, vcc, v0, v21, vcc
	v_lshl_or_b32 v0, s6, 1, v2
	v_add_u32_e32 v0, 1, v0
	v_lshlrev_b64 v[0:1], 3, v[0:1]
	v_add_co_u32_e32 v0, vcc, s0, v0
	v_addc_co_u32_e32 v1, vcc, v3, v1, vcc
	global_store_dwordx2 v[0:1], v[4:5], off
	v_mov_b32_e32 v0, s21
	v_add_co_u32_e32 v4, vcc, s20, v6
	v_addc_co_u32_e32 v5, vcc, 0, v0, vcc
	v_cmp_gt_i64_e32 vcc, s[10:11], v[4:5]
	s_and_saveexec_b64 s[0:1], vcc
	s_cbranch_execz .LBB118_14
; %bb.3:
	v_mov_b32_e32 v1, s9
	v_add_co_u32_e32 v3, vcc, s8, v6
	s_load_dwordx2 s[22:23], s[4:5], 0x20
	s_load_dwordx2 s[16:17], s[4:5], 0x30
	s_load_dword s0, s[4:5], 0x0
	s_load_dwordx2 s[6:7], s[4:5], 0x10
	s_load_dwordx2 s[18:19], s[4:5], 0x40
	v_addc_co_u32_e32 v1, vcc, 0, v1, vcc
	v_mov_b32_e32 v7, s15
	v_subrev_co_u32_e32 v3, vcc, s14, v3
	v_mul_lo_u32 v18, s2, v2
	v_subb_co_u32_e32 v1, vcc, v1, v7, vcc
	s_movk_i32 s2, 0x80
	s_waitcnt lgkmcnt(0)
	s_cmp_lg_u32 s0, 0
	v_add_co_u32_e32 v8, vcc, s2, v3
	s_cselect_b64 s[0:1], -1, 0
	v_addc_co_u32_e32 v9, vcc, 0, v1, vcc
	s_not_b64 s[2:3], s[8:9]
	v_cmp_lt_i64_e32 vcc, s[10:11], v[8:9]
	v_mov_b32_e32 v3, s10
	s_add_u32 s2, s2, s14
	v_mov_b32_e32 v1, s11
	v_cndmask_b32_e32 v3, v3, v8, vcc
	s_addc_u32 s3, s3, 0
	v_cndmask_b32_e32 v1, v1, v9, vcc
	v_mov_b32_e32 v7, s3
	v_add_co_u32_e32 v3, vcc, s2, v3
	v_addc_co_u32_e32 v1, vcc, v7, v1, vcc
	v_sub_co_u32_e32 v10, vcc, v3, v6
	v_subbrev_co_u32_e32 v11, vcc, 0, v1, vcc
	s_mov_b64 s[2:3], 0x1a80
	v_cmp_gt_u64_e64 s[24:25], s[2:3], v[10:11]
	s_mov_b64 s[2:3], 0x1a7f
	s_mov_b32 s4, 0
	v_lshlrev_b32_e32 v0, 1, v2
	v_cmp_lt_u64_e32 vcc, s[2:3], v[10:11]
	s_and_saveexec_b64 s[26:27], vcc
	s_cbranch_execz .LBB118_9
; %bb.4:
	v_lshlrev_b32_e32 v1, 3, v6
	s_lshl_b64 s[28:29], s[8:9], 4
	v_lshlrev_b64 v[6:7], 2, v[18:19]
	v_mov_b32_e32 v3, s29
	v_add_co_u32_e32 v6, vcc, s28, v6
	v_addc_co_u32_e32 v3, vcc, v3, v7, vcc
	v_add_co_u32_e32 v1, vcc, v1, v6
	s_lshl_b64 s[2:3], s[14:15], 4
	v_addc_co_u32_e32 v3, vcc, 0, v3, vcc
	v_mov_b32_e32 v6, s3
	v_subrev_co_u32_e32 v1, vcc, s2, v1
	v_subb_co_u32_e32 v3, vcc, v3, v6, vcc
	v_lshrrev_b64 v[8:9], 7, v[10:11]
	v_mov_b32_e32 v7, s19
	v_add_co_u32_e32 v6, vcc, s18, v1
	v_addc_co_u32_e32 v7, vcc, v7, v3, vcc
	v_lshlrev_b64 v[12:13], 10, v[8:9]
	v_add_co_u32_e32 v14, vcc, v6, v12
	v_addc_co_u32_e32 v15, vcc, v7, v13, vcc
	v_cmp_ge_u64_e32 vcc, v[14:15], v[6:7]
	v_add_co_u32_e64 v6, s[2:3], 4, v6
	v_addc_co_u32_e64 v7, s[2:3], 0, v7, s[2:3]
	s_brev_b32 s5, 4
	v_cmp_gt_u64_e64 s[2:3], s[4:5], v[10:11]
	v_add_co_u32_e64 v10, s[4:5], 4, v14
	v_addc_co_u32_e64 v11, s[4:5], 0, v15, s[4:5]
	v_cmp_ge_u64_e64 s[4:5], v[10:11], v[6:7]
	s_and_b64 s[28:29], s[4:5], vcc
	v_mov_b32_e32 v7, s17
	v_add_co_u32_e32 v6, vcc, s16, v1
	v_addc_co_u32_e32 v7, vcc, v7, v3, vcc
	v_add_co_u32_e32 v10, vcc, v6, v12
	v_addc_co_u32_e32 v11, vcc, v7, v13, vcc
	v_cmp_ge_u64_e32 vcc, v[10:11], v[6:7]
	v_add_co_u32_e64 v6, s[4:5], 4, v6
	v_addc_co_u32_e64 v7, s[4:5], 0, v7, s[4:5]
	v_add_co_u32_e64 v10, s[4:5], 4, v10
	v_addc_co_u32_e64 v11, s[4:5], 0, v11, s[4:5]
	s_and_b64 s[2:3], s[28:29], s[2:3]
	v_cmp_ge_u64_e64 s[4:5], v[10:11], v[6:7]
	s_and_b64 s[2:3], vcc, s[2:3]
	s_and_b64 s[28:29], s[4:5], s[2:3]
	s_mov_b64 s[2:3], -1
	s_and_saveexec_b64 s[4:5], s[28:29]
	s_cbranch_execz .LBB118_8
; %bb.5:
	v_add_co_u32_e32 v22, vcc, 1, v8
	v_addc_co_u32_e32 v23, vcc, 0, v9, vcc
	v_add_co_u32_e32 v6, vcc, 0x80, v4
	v_addc_co_u32_e32 v7, vcc, 0, v5, vcc
	v_lshlrev_b64 v[14:15], 2, v[4:5]
	v_mov_b32_e32 v1, s23
	v_add_co_u32_e32 v9, vcc, s22, v14
	v_addc_co_u32_e32 v1, vcc, v15, v1, vcc
	s_movk_i32 s2, 0x200
	s_add_u32 s13, s6, 4
	v_and_b32_e32 v24, -2, v22
	v_mov_b32_e32 v25, v23
	v_add_co_u32_e32 v26, vcc, s2, v9
	v_pk_mov_b32 v[16:17], v[6:7], v[6:7] op_sel:[0,1]
	s_addc_u32 s30, s7, 0
	s_mov_b32 s31, s14
	s_mov_b32 s33, s14
	;; [unrolled: 1-line block ×4, first 2 shown]
	v_mov_b32_e32 v8, v20
	v_mov_b32_e32 v3, v21
	s_mov_b32 s36, s12
	v_mov_b32_e32 v10, v0
	v_mov_b32_e32 v12, v2
	v_addc_co_u32_e32 v27, vcc, 0, v1, vcc
	s_mov_b64 s[28:29], 0
	s_movk_i32 s37, 0x100
	v_pk_mov_b32 v[28:29], v[24:25], v[24:25] op_sel:[0,1]
	v_pk_mov_b32 v[14:15], v[4:5], v[4:5] op_sel:[0,1]
.LBB118_6:                              ; =>This Inner Loop Header: Depth=1
	v_lshlrev_b64 v[30:31], 2, v[14:15]
	v_or_b32_e32 v33, 0, v31
	v_or_b32_e32 v32, v30, v0
	;; [unrolled: 1-line block ×4, first 2 shown]
	v_lshlrev_b64 v[6:7], 2, v[16:17]
	v_cndmask_b32_e64 v39, v33, v31, s[0:1]
	v_cndmask_b32_e64 v38, v32, v30, s[0:1]
	v_or_b32_e32 v35, 0, v7
	v_or_b32_e32 v34, v6, v10
	;; [unrolled: 1-line block ×4, first 2 shown]
	v_lshlrev_b64 v[38:39], 2, v[38:39]
	v_mov_b32_e32 v1, s7
	v_cndmask_b32_e64 v37, v35, v7, s[0:1]
	v_cndmask_b32_e64 v36, v34, v6, s[0:1]
	v_add_co_u32_e32 v38, vcc, s6, v38
	v_lshlrev_b64 v[36:37], 2, v[36:37]
	v_addc_co_u32_e32 v39, vcc, v1, v39, vcc
	v_add_co_u32_e32 v36, vcc, s6, v36
	v_addc_co_u32_e32 v37, vcc, v1, v37, vcc
	global_load_dword v9, v[38:39], off
	global_load_dword v11, v[36:37], off
	global_load_dword v13, v[26:27], off offset:-512
	global_load_dword v44, v[26:27], off
	v_mov_b32_e32 v37, s21
	v_subrev_co_u32_e64 v38, s[2:3], s20, v14
	v_mov_b32_e32 v40, s35
	v_subrev_co_u32_e32 v36, vcc, s34, v16
	v_subb_co_u32_e64 v39, s[2:3], v15, v37, s[2:3]
	v_subb_co_u32_e32 v37, vcc, v17, v40, vcc
	v_lshlrev_b64 v[38:39], 1, v[38:39]
	v_add_co_u32_e32 v38, vcc, v38, v20
	v_lshlrev_b64 v[36:37], 1, v[36:37]
	v_addc_co_u32_e32 v39, vcc, v39, v21, vcc
	v_add_co_u32_e32 v36, vcc, v36, v8
	v_lshlrev_b64 v[30:31], 2, v[30:31]
	v_addc_co_u32_e32 v37, vcc, v37, v3, vcc
	v_add_co_u32_e32 v40, vcc, s6, v30
	v_lshlrev_b64 v[6:7], 2, v[6:7]
	v_addc_co_u32_e32 v42, vcc, v1, v31, vcc
	v_add_co_u32_e32 v43, vcc, s6, v6
	v_lshlrev_b64 v[32:33], 2, v[32:33]
	v_addc_co_u32_e32 v1, vcc, v1, v7, vcc
	v_mov_b32_e32 v41, s30
	v_add_co_u32_e32 v46, vcc, s13, v32
	v_lshlrev_b64 v[34:35], 2, v[34:35]
	v_addc_co_u32_e32 v47, vcc, v41, v33, vcc
	v_add_co_u32_e32 v48, vcc, s13, v34
	v_addc_co_u32_e32 v41, vcc, v41, v35, vcc
	v_add_co_u32_e32 v49, vcc, 8, v40
	;; [unrolled: 2-line block ×3, first 2 shown]
	v_lshlrev_b64 v[6:7], 2, v[38:39]
	v_addc_co_u32_e32 v1, vcc, 0, v1, vcc
	v_mov_b32_e32 v45, s17
	v_add_co_u32_e32 v32, vcc, s16, v6
	v_lshlrev_b64 v[30:31], 2, v[36:37]
	v_addc_co_u32_e32 v33, vcc, v45, v7, vcc
	v_add_co_u32_e32 v34, vcc, s16, v30
	v_addc_co_u32_e32 v35, vcc, v45, v31, vcc
	v_cndmask_b32_e64 v43, v47, v42, s[0:1]
	v_cndmask_b32_e64 v42, v46, v49, s[0:1]
	s_waitcnt vmcnt(3)
	global_store_dword v[32:33], v9, off
	s_waitcnt vmcnt(3)
	global_store_dword v[34:35], v11, off
	v_cndmask_b32_e64 v41, v41, v1, s[0:1]
	v_cndmask_b32_e64 v40, v48, v40, s[0:1]
	global_load_dword v1, v[42:43], off
	global_load_dword v9, v[40:41], off
	v_add_co_u32_e32 v16, vcc, s37, v16
	v_addc_co_u32_e32 v17, vcc, 0, v17, vcc
	v_add_co_u32_e32 v14, vcc, s37, v14
	v_addc_co_u32_e32 v15, vcc, 0, v15, vcc
	;; [unrolled: 2-line block ×3, first 2 shown]
	v_mov_b32_e32 v11, s19
	v_add_co_u32_e32 v6, vcc, s18, v6
	v_addc_co_u32_e32 v7, vcc, v11, v7, vcc
	v_or_b32_e32 v38, 1, v38
	v_add_co_u32_e32 v30, vcc, s18, v30
	v_or_b32_e32 v36, 1, v36
	v_addc_co_u32_e32 v31, vcc, v11, v31, vcc
	v_lshlrev_b64 v[32:33], 2, v[38:39]
	v_lshlrev_b64 v[34:35], 2, v[36:37]
	v_add_co_u32_e32 v36, vcc, s18, v32
	v_addc_co_u32_e32 v37, vcc, v11, v33, vcc
	v_add_co_u32_e32 v38, vcc, s18, v34
	v_add_co_u32_e64 v28, s[2:3], -2, v28
	v_addc_co_u32_e32 v39, vcc, v11, v35, vcc
	v_addc_co_u32_e64 v29, s[2:3], -1, v29, s[2:3]
	v_add_co_u32_e32 v32, vcc, s16, v32
	s_waitcnt vmcnt(5)
	v_subrev_u32_e32 v11, s31, v13
	v_cmp_eq_u64_e64 s[2:3], 0, v[28:29]
	v_addc_co_u32_e32 v33, vcc, v45, v33, vcc
	s_waitcnt vmcnt(4)
	v_subrev_u32_e32 v13, s33, v44
	v_lshl_add_u32 v11, v11, 1, s12
	s_or_b64 s[28:29], s[2:3], s[28:29]
	v_add_co_u32_e32 v34, vcc, s16, v34
	v_lshl_add_u32 v13, v13, 1, s36
	global_store_dword v[6:7], v11, off
	global_store_dword v[30:31], v13, off
	v_add_u32_e32 v7, 1, v11
	v_addc_co_u32_e32 v35, vcc, v45, v35, vcc
	v_add_u32_e32 v6, 1, v13
	global_store_dword v[36:37], v7, off
	global_store_dword v[38:39], v6, off
	s_waitcnt vmcnt(5)
	global_store_dword v[32:33], v1, off
	s_waitcnt vmcnt(5)
	global_store_dword v[34:35], v9, off
	s_andn2_b64 exec, exec, s[28:29]
	s_cbranch_execnz .LBB118_6
; %bb.7:
	s_or_b64 exec, exec, s[28:29]
	v_lshlrev_b64 v[6:7], 7, v[24:25]
	v_add_co_u32_e32 v4, vcc, v4, v6
	v_addc_co_u32_e32 v5, vcc, v5, v7, vcc
	v_cmp_ne_u64_e32 vcc, v[22:23], v[24:25]
	s_orn2_b64 s[2:3], vcc, exec
.LBB118_8:
	s_or_b64 exec, exec, s[4:5]
	s_andn2_b64 s[4:5], s[24:25], exec
	s_and_b64 s[2:3], s[2:3], exec
	s_or_b64 s[24:25], s[4:5], s[2:3]
.LBB118_9:
	s_or_b64 exec, exec, s[26:27]
	s_and_b64 exec, exec, s[24:25]
	s_cbranch_execz .LBB118_14
; %bb.10:
	v_lshlrev_b64 v[6:7], 2, v[4:5]
	v_mov_b32_e32 v1, s23
	v_add_co_u32_e32 v8, vcc, s22, v6
	v_addc_co_u32_e32 v9, vcc, v1, v7, vcc
	v_mov_b32_e32 v1, s9
	v_add_co_u32_e32 v10, vcc, s8, v4
	v_addc_co_u32_e32 v11, vcc, v5, v1, vcc
	v_lshlrev_b64 v[10:11], 1, v[10:11]
	s_add_u32 s13, s6, 8
	v_add_co_u32_e32 v1, vcc, v18, v10
	s_addc_u32 s20, s7, 0
	v_addc_co_u32_e32 v3, vcc, v19, v11, vcc
	s_lshl_b64 s[2:3], s[14:15], 1
	v_mov_b32_e32 v11, s3
	v_subrev_co_u32_e32 v10, vcc, s2, v1
	v_subb_co_u32_e32 v11, vcc, v3, v11, vcc
	v_lshlrev_b64 v[10:11], 2, v[10:11]
	v_add_co_u32_e32 v3, vcc, 4, v10
	v_addc_co_u32_e32 v13, vcc, 0, v11, vcc
	v_mov_b32_e32 v1, s17
	v_add_co_u32_e32 v10, vcc, s16, v3
	v_addc_co_u32_e32 v11, vcc, v1, v13, vcc
	v_mov_b32_e32 v15, s19
	v_add_co_u32_e32 v14, vcc, s18, v3
	v_lshlrev_b64 v[16:17], 4, v[4:5]
	v_addc_co_u32_e32 v15, vcc, v15, v13, vcc
	v_lshl_or_b32 v3, v2, 3, v16
	v_mov_b32_e32 v13, s7
	v_add_co_u32_e32 v3, vcc, s6, v3
	v_addc_co_u32_e32 v13, vcc, v17, v13, vcc
	v_add_co_u32_e32 v16, vcc, 4, v3
	v_cndmask_b32_e64 v3, 0, 1, s[0:1]
	v_or_b32_e32 v12, v6, v2
	v_mov_b32_e32 v1, v7
	v_addc_co_u32_e32 v17, vcc, 0, v13, vcc
	v_or_b32_e32 v6, v6, v0
	s_mov_b64 s[4:5], 0
	v_mov_b32_e32 v0, s7
	v_cmp_ne_u32_e64 s[2:3], 1, v3
	s_branch .LBB118_12
.LBB118_11:                             ;   in Loop: Header=BB118_12 Depth=1
	global_load_dword v3, v[18:19], off
	v_add_co_u32_e32 v4, vcc, 0x80, v4
	v_addc_co_u32_e32 v5, vcc, 0, v5, vcc
	v_add_co_u32_e32 v8, vcc, 0x200, v8
	v_addc_co_u32_e32 v9, vcc, 0, v9, vcc
	v_cmp_le_i64_e32 vcc, s[10:11], v[4:5]
	s_or_b64 s[4:5], vcc, s[4:5]
	s_waitcnt vmcnt(0)
	global_store_dword v[10:11], v3, off
	v_add_co_u32_e32 v10, vcc, 0x400, v10
	v_addc_co_u32_e32 v11, vcc, 0, v11, vcc
	v_add_co_u32_e32 v12, vcc, 0x200, v12
	v_addc_co_u32_e32 v1, vcc, 0, v1, vcc
	;; [unrolled: 2-line block ×5, first 2 shown]
	s_andn2_b64 exec, exec, s[4:5]
	s_cbranch_execz .LBB118_14
.LBB118_12:                             ; =>This Inner Loop Header: Depth=1
	v_cndmask_b32_e64 v19, v7, v1, s[0:1]
	v_cndmask_b32_e64 v18, v6, v12, s[0:1]
	global_load_dword v3, v[8:9], off
	v_lshlrev_b64 v[18:19], 2, v[18:19]
	v_add_co_u32_e32 v18, vcc, s6, v18
	v_addc_co_u32_e32 v19, vcc, v0, v19, vcc
	global_load_dword v13, v[18:19], off
	s_and_b64 vcc, exec, s[2:3]
	s_waitcnt vmcnt(1)
	v_subrev_u32_e32 v3, s14, v3
	v_lshl_add_u32 v18, v3, 1, s12
	v_add_u32_e32 v19, 1, v18
	s_waitcnt vmcnt(0)
	global_store_dword v[10:11], v13, off offset:-4
	global_store_dwordx2 v[14:15], v[18:19], off offset:-4
	v_pk_mov_b32 v[18:19], v[16:17], v[16:17] op_sel:[0,1]
	s_cbranch_vccnz .LBB118_11
; %bb.13:                               ;   in Loop: Header=BB118_12 Depth=1
	v_lshlrev_b64 v[18:19], 4, v[4:5]
	v_lshl_or_b32 v3, v2, 2, v18
	v_mov_b32_e32 v13, s20
	v_add_co_u32_e32 v18, vcc, s13, v3
	v_addc_co_u32_e32 v19, vcc, v13, v19, vcc
	s_branch .LBB118_11
.LBB118_14:
	s_endpgm
	.section	.rodata,"a",@progbits
	.p2align	6, 0x0
	.amdhsa_kernel _ZN9rocsparseL32bsr2csr_block_per_row_2_7_kernelILj256ELj2EfliEEv20rocsparse_direction_T3_S2_21rocsparse_index_base_PKT1_PKT2_PKS2_S2_S3_PS4_PS7_PS2_
		.amdhsa_group_segment_fixed_size 0
		.amdhsa_private_segment_fixed_size 0
		.amdhsa_kernarg_size 72
		.amdhsa_user_sgpr_count 6
		.amdhsa_user_sgpr_private_segment_buffer 1
		.amdhsa_user_sgpr_dispatch_ptr 0
		.amdhsa_user_sgpr_queue_ptr 0
		.amdhsa_user_sgpr_kernarg_segment_ptr 1
		.amdhsa_user_sgpr_dispatch_id 0
		.amdhsa_user_sgpr_flat_scratch_init 0
		.amdhsa_user_sgpr_kernarg_preload_length 0
		.amdhsa_user_sgpr_kernarg_preload_offset 0
		.amdhsa_user_sgpr_private_segment_size 0
		.amdhsa_uses_dynamic_stack 0
		.amdhsa_system_sgpr_private_segment_wavefront_offset 0
		.amdhsa_system_sgpr_workgroup_id_x 1
		.amdhsa_system_sgpr_workgroup_id_y 0
		.amdhsa_system_sgpr_workgroup_id_z 0
		.amdhsa_system_sgpr_workgroup_info 0
		.amdhsa_system_vgpr_workitem_id 0
		.amdhsa_next_free_vgpr 50
		.amdhsa_next_free_sgpr 38
		.amdhsa_accum_offset 52
		.amdhsa_reserve_vcc 1
		.amdhsa_reserve_flat_scratch 0
		.amdhsa_float_round_mode_32 0
		.amdhsa_float_round_mode_16_64 0
		.amdhsa_float_denorm_mode_32 3
		.amdhsa_float_denorm_mode_16_64 3
		.amdhsa_dx10_clamp 1
		.amdhsa_ieee_mode 1
		.amdhsa_fp16_overflow 0
		.amdhsa_tg_split 0
		.amdhsa_exception_fp_ieee_invalid_op 0
		.amdhsa_exception_fp_denorm_src 0
		.amdhsa_exception_fp_ieee_div_zero 0
		.amdhsa_exception_fp_ieee_overflow 0
		.amdhsa_exception_fp_ieee_underflow 0
		.amdhsa_exception_fp_ieee_inexact 0
		.amdhsa_exception_int_div_zero 0
	.end_amdhsa_kernel
	.section	.text._ZN9rocsparseL32bsr2csr_block_per_row_2_7_kernelILj256ELj2EfliEEv20rocsparse_direction_T3_S2_21rocsparse_index_base_PKT1_PKT2_PKS2_S2_S3_PS4_PS7_PS2_,"axG",@progbits,_ZN9rocsparseL32bsr2csr_block_per_row_2_7_kernelILj256ELj2EfliEEv20rocsparse_direction_T3_S2_21rocsparse_index_base_PKT1_PKT2_PKS2_S2_S3_PS4_PS7_PS2_,comdat
.Lfunc_end118:
	.size	_ZN9rocsparseL32bsr2csr_block_per_row_2_7_kernelILj256ELj2EfliEEv20rocsparse_direction_T3_S2_21rocsparse_index_base_PKT1_PKT2_PKS2_S2_S3_PS4_PS7_PS2_, .Lfunc_end118-_ZN9rocsparseL32bsr2csr_block_per_row_2_7_kernelILj256ELj2EfliEEv20rocsparse_direction_T3_S2_21rocsparse_index_base_PKT1_PKT2_PKS2_S2_S3_PS4_PS7_PS2_
                                        ; -- End function
	.section	.AMDGPU.csdata,"",@progbits
; Kernel info:
; codeLenInByte = 1988
; NumSgprs: 42
; NumVgprs: 50
; NumAgprs: 0
; TotalNumVgprs: 50
; ScratchSize: 0
; MemoryBound: 0
; FloatMode: 240
; IeeeMode: 1
; LDSByteSize: 0 bytes/workgroup (compile time only)
; SGPRBlocks: 5
; VGPRBlocks: 6
; NumSGPRsForWavesPerEU: 42
; NumVGPRsForWavesPerEU: 50
; AccumOffset: 52
; Occupancy: 8
; WaveLimiterHint : 1
; COMPUTE_PGM_RSRC2:SCRATCH_EN: 0
; COMPUTE_PGM_RSRC2:USER_SGPR: 6
; COMPUTE_PGM_RSRC2:TRAP_HANDLER: 0
; COMPUTE_PGM_RSRC2:TGID_X_EN: 1
; COMPUTE_PGM_RSRC2:TGID_Y_EN: 0
; COMPUTE_PGM_RSRC2:TGID_Z_EN: 0
; COMPUTE_PGM_RSRC2:TIDIG_COMP_CNT: 0
; COMPUTE_PGM_RSRC3_GFX90A:ACCUM_OFFSET: 12
; COMPUTE_PGM_RSRC3_GFX90A:TG_SPLIT: 0
	.section	.text._ZN9rocsparseL32bsr2csr_block_per_row_2_7_kernelILj256ELj3EfliEEv20rocsparse_direction_T3_S2_21rocsparse_index_base_PKT1_PKT2_PKS2_S2_S3_PS4_PS7_PS2_,"axG",@progbits,_ZN9rocsparseL32bsr2csr_block_per_row_2_7_kernelILj256ELj3EfliEEv20rocsparse_direction_T3_S2_21rocsparse_index_base_PKT1_PKT2_PKS2_S2_S3_PS4_PS7_PS2_,comdat
	.globl	_ZN9rocsparseL32bsr2csr_block_per_row_2_7_kernelILj256ELj3EfliEEv20rocsparse_direction_T3_S2_21rocsparse_index_base_PKT1_PKT2_PKS2_S2_S3_PS4_PS7_PS2_ ; -- Begin function _ZN9rocsparseL32bsr2csr_block_per_row_2_7_kernelILj256ELj3EfliEEv20rocsparse_direction_T3_S2_21rocsparse_index_base_PKT1_PKT2_PKS2_S2_S3_PS4_PS7_PS2_
	.p2align	8
	.type	_ZN9rocsparseL32bsr2csr_block_per_row_2_7_kernelILj256ELj3EfliEEv20rocsparse_direction_T3_S2_21rocsparse_index_base_PKT1_PKT2_PKS2_S2_S3_PS4_PS7_PS2_,@function
_ZN9rocsparseL32bsr2csr_block_per_row_2_7_kernelILj256ELj3EfliEEv20rocsparse_direction_T3_S2_21rocsparse_index_base_PKT1_PKT2_PKS2_S2_S3_PS4_PS7_PS2_: ; @_ZN9rocsparseL32bsr2csr_block_per_row_2_7_kernelILj256ELj3EfliEEv20rocsparse_direction_T3_S2_21rocsparse_index_base_PKT1_PKT2_PKS2_S2_S3_PS4_PS7_PS2_
; %bb.0:
	s_load_dwordx2 s[2:3], s[4:5], 0x18
	s_load_dword s29, s[4:5], 0x2c
	s_load_dwordx2 s[0:1], s[4:5], 0x38
	s_ashr_i32 s7, s6, 31
	s_lshl_b64 s[8:9], s[6:7], 3
	s_waitcnt lgkmcnt(0)
	s_add_u32 s2, s2, s8
	v_or_b32_e32 v1, s6, v0
	s_addc_u32 s3, s3, s9
	v_cmp_eq_u32_e32 vcc, 0, v1
	s_and_saveexec_b64 s[8:9], vcc
	s_cbranch_execz .LBB119_2
; %bb.1:
	v_mov_b32_e32 v2, s29
	v_mov_b32_e32 v3, 0
	global_store_dwordx2 v3, v[2:3], s[0:1]
.LBB119_2:
	s_or_b64 exec, exec, s[8:9]
	v_and_b32_e32 v24, 3, v0
	v_cmp_ne_u32_e32 vcc, 3, v24
	s_and_saveexec_b64 s[8:9], vcc
	s_cbranch_execz .LBB119_13
; %bb.3:
	s_load_dwordx4 s[8:11], s[2:3], 0x0
	s_load_dword s28, s[4:5], 0xc
	v_lshrrev_b32_e32 v2, 2, v0
	s_mul_i32 s6, s6, 3
	v_mov_b32_e32 v5, 0
	v_add3_u32 v4, v24, s6, 1
	s_waitcnt lgkmcnt(0)
	s_sub_u32 s30, s8, s28
	s_subb_u32 s31, s9, 0
	s_sub_u32 s10, s10, s28
	s_mul_i32 s2, s31, 9
	s_mul_hi_u32 s3, s30, 9
	s_subb_u32 s11, s11, 0
	s_add_i32 s3, s3, s2
	s_mul_i32 s2, s30, 9
	v_mov_b32_e32 v1, s3
	s_sub_u32 s3, s10, s30
	v_mov_b32_e32 v0, s2
	s_subb_u32 s2, s11, s31
	s_mul_i32 s12, s2, 3
	s_mul_hi_u32 s13, s3, 3
	s_mul_i32 s20, s3, 3
	s_add_i32 s14, s13, s12
	v_mad_u64_u32 v[6:7], s[12:13], s20, v24, v[0:1]
	s_add_u32 s12, s20, s29
	v_mul_lo_u32 v3, s14, v24
	s_addc_u32 s13, s14, 0
	v_add_u32_e32 v7, v3, v7
	v_mov_b32_e32 v1, s13
	v_add_co_u32_e32 v0, vcc, s12, v6
	v_addc_co_u32_e32 v1, vcc, v1, v7, vcc
	v_lshlrev_b64 v[4:5], 3, v[4:5]
	v_mov_b32_e32 v8, s1
	v_add_co_u32_e32 v4, vcc, s0, v4
	v_addc_co_u32_e32 v5, vcc, v8, v5, vcc
	global_store_dwordx2 v[4:5], v[0:1], off
	v_mov_b32_e32 v1, s31
	v_add_co_u32_e32 v0, vcc, s30, v2
	v_addc_co_u32_e32 v1, vcc, 0, v1, vcc
	s_mov_b32 s7, 0
	v_cmp_gt_i64_e32 vcc, s[10:11], v[0:1]
	s_and_b64 exec, exec, vcc
	s_cbranch_execz .LBB119_13
; %bb.4:
	v_mad_u64_u32 v[8:9], s[0:1], s20, v24, 0
	v_add_u32_e32 v9, v9, v3
	v_mov_b32_e32 v3, s9
	v_add_co_u32_e32 v4, vcc, s8, v2
	s_load_dwordx2 s[12:13], s[4:5], 0x20
	s_load_dwordx2 s[16:17], s[4:5], 0x30
	;; [unrolled: 1-line block ×3, first 2 shown]
	s_load_dword s6, s[4:5], 0x0
	s_load_dwordx2 s[18:19], s[4:5], 0x40
	v_addc_co_u32_e32 v3, vcc, 0, v3, vcc
	v_mov_b32_e32 v5, s7
	v_subrev_co_u32_e32 v4, vcc, s28, v4
	v_subb_co_u32_e32 v3, vcc, v3, v5, vcc
	v_add_co_u32_e32 v4, vcc, 64, v4
	s_waitcnt lgkmcnt(0)
	s_cmp_eq_u32 s6, 0
	v_addc_co_u32_e32 v5, vcc, 0, v3, vcc
	s_cselect_b64 s[0:1], -1, 0
	v_mov_b32_e32 v3, s11
	v_cmp_lt_i64_e32 vcc, s[10:11], v[4:5]
	s_not_b64 s[4:5], s[8:9]
	v_cndmask_b32_e32 v3, v3, v5, vcc
	v_mov_b32_e32 v5, s10
	s_add_u32 s4, s4, s28
	v_cndmask_b32_e32 v4, v5, v4, vcc
	s_addc_u32 s5, s5, 0
	v_mov_b32_e32 v5, s5
	v_add_co_u32_e32 v4, vcc, s4, v4
	v_addc_co_u32_e32 v3, vcc, v5, v3, vcc
	v_sub_co_u32_e32 v4, vcc, v4, v2
	v_subbrev_co_u32_e32 v5, vcc, 0, v3, vcc
	s_mov_b64 s[4:5], 0x1c40
	v_cmp_gt_u64_e64 s[20:21], s[4:5], v[4:5]
	s_mov_b64 s[4:5], 0x1c3f
	v_mul_u32_u24_e32 v25, 3, v24
	v_cmp_lt_u64_e32 vcc, s[4:5], v[4:5]
	s_and_saveexec_b64 s[22:23], vcc
	s_cbranch_execz .LBB119_10
; %bb.5:
	v_mad_u64_u32 v[10:11], s[4:5], s3, v24, 0
	v_mov_b32_e32 v12, v11
	v_mad_u64_u32 v[12:13], s[2:3], s2, v24, v[12:13]
	s_mul_i32 s2, s9, 36
	s_mul_hi_u32 s3, s8, 36
	s_add_i32 s3, s3, s2
	s_mul_i32 s2, s8, 36
	v_mov_b32_e32 v14, s2
	v_mov_b32_e32 v15, s3
	v_mad_u64_u32 v[10:11], s[2:3], v10, 12, v[14:15]
	v_mov_b32_e32 v14, v11
	v_mad_u64_u32 v[12:13], s[2:3], v12, 12, v[14:15]
	;; [unrolled: 2-line block ×3, first 2 shown]
	s_mul_hi_u32 s2, s28, 36
	s_mul_i32 s3, s28, 36
	v_mov_b32_e32 v3, s2
	v_subrev_co_u32_e32 v18, vcc, s3, v10
	v_subb_co_u32_e32 v19, vcc, v11, v3, vcc
	v_mov_b32_e32 v20, s19
	v_add_co_u32_e32 v3, vcc, s18, v18
	v_addc_co_u32_e32 v21, vcc, v20, v19, vcc
	s_movk_i32 s4, 0x300
	v_alignbit_b32 v14, v5, v4, 6
	v_add_co_u32_e32 v10, vcc, 4, v3
	v_lshrrev_b32_e32 v12, 6, v5
	v_mad_u64_u32 v[14:15], s[2:3], v14, s4, 0
	v_addc_co_u32_e32 v11, vcc, 0, v21, vcc
	v_mad_u64_u32 v[12:13], s[2:3], v12, s4, 0
	v_mov_b32_e32 v16, v15
	v_add_co_u32_e32 v16, vcc, v16, v12
	v_addc_co_u32_e32 v16, vcc, 0, v13, vcc
	v_mov_b32_e32 v17, 0
	v_cmp_ne_u64_e32 vcc, 0, v[16:17]
	v_add_u32_e32 v15, v15, v12
	v_add_co_u32_e64 v16, s[2:3], v3, v14
	v_addc_co_u32_e64 v17, s[2:3], v21, v15, s[2:3]
	v_add_co_u32_e64 v12, s[2:3], 4, v16
	v_addc_co_u32_e64 v13, s[2:3], 0, v17, s[2:3]
	v_cmp_lt_u64_e64 s[2:3], v[12:13], v[10:11]
	s_or_b64 s[4:5], s[2:3], vcc
	v_add_co_u32_e64 v10, s[2:3], 8, v3
	v_addc_co_u32_e64 v11, s[2:3], 0, v21, s[2:3]
	v_add_co_u32_e64 v12, s[2:3], 8, v16
	v_addc_co_u32_e64 v13, s[2:3], 0, v17, s[2:3]
	v_cmp_lt_u64_e64 s[2:3], v[12:13], v[10:11]
	s_or_b64 s[6:7], s[2:3], vcc
	v_mad_u64_u32 v[10:11], s[2:3], s8, 9, v[8:9]
	v_mov_b32_e32 v12, v11
	v_mad_u64_u32 v[12:13], s[2:3], s9, 9, v[12:13]
	v_mov_b32_e32 v11, v12
	v_mad_u64_u32 v[2:3], s[2:3], v2, 3, v[10:11]
	v_mad_u64_u32 v[2:3], s[2:3], s28, -9, v[2:3]
	s_mul_i32 s2, s28, 0x3fffffff
	v_add_u32_e32 v3, s2, v3
	v_lshlrev_b64 v[2:3], 2, v[2:3]
	v_add_co_u32_e64 v10, s[2:3], s18, v2
	v_addc_co_u32_e64 v11, s[2:3], v20, v3, s[2:3]
	v_add_co_u32_e64 v12, s[2:3], v10, v14
	v_addc_co_u32_e64 v13, s[2:3], v11, v15, s[2:3]
	v_cmp_lt_u64_e64 s[2:3], v[12:13], v[10:11]
	s_or_b64 s[26:27], s[2:3], vcc
	v_mov_b32_e32 v16, s17
	v_add_co_u32_e64 v17, s[2:3], s16, v18
	v_addc_co_u32_e64 v18, s[2:3], v16, v19, s[2:3]
	v_add_co_u32_e64 v10, s[2:3], 4, v17
	v_addc_co_u32_e64 v11, s[2:3], 0, v18, s[2:3]
	;; [unrolled: 2-line block ×4, first 2 shown]
	v_cmp_lt_u64_e64 s[2:3], v[12:13], v[10:11]
	s_or_b64 s[34:35], s[2:3], vcc
	v_add_co_u32_e64 v10, s[2:3], 8, v17
	v_addc_co_u32_e64 v11, s[2:3], 0, v18, s[2:3]
	v_add_co_u32_e64 v12, s[2:3], 8, v19
	v_addc_co_u32_e64 v13, s[2:3], 0, v20, s[2:3]
	v_cmp_lt_u64_e64 s[2:3], v[12:13], v[10:11]
	s_or_b64 s[36:37], s[2:3], vcc
	v_add_co_u32_e64 v2, s[2:3], s16, v2
	v_addc_co_u32_e64 v3, s[2:3], v16, v3, s[2:3]
	v_add_co_u32_e64 v10, s[2:3], v2, v14
	s_or_b64 s[4:5], s[4:5], s[6:7]
	v_addc_co_u32_e64 v11, s[2:3], v3, v15, s[2:3]
	s_or_b64 s[4:5], s[4:5], s[26:27]
	v_cmp_lt_u64_e64 s[2:3], v[10:11], v[2:3]
	s_or_b64 s[4:5], s[4:5], s[34:35]
	s_or_b64 s[2:3], s[2:3], vcc
	s_or_b64 s[4:5], s[4:5], s[36:37]
	s_or_b64 s[4:5], s[4:5], s[2:3]
	s_mov_b64 s[24:25], 0
	s_mov_b64 s[2:3], -1
	s_xor_b64 s[4:5], s[4:5], -1
	s_and_saveexec_b64 s[26:27], s[4:5]
	s_cbranch_execz .LBB119_9
; %bb.6:
	v_lshrrev_b64 v[2:3], 6, v[4:5]
	v_lshlrev_b32_e32 v4, 2, v24
	v_mov_b32_e32 v5, s15
	v_add_co_u32_e32 v10, vcc, s14, v4
	v_addc_co_u32_e32 v11, vcc, 0, v5, vcc
	v_lshlrev_b32_e32 v4, 2, v25
	v_add_co_u32_e32 v14, vcc, s14, v4
	v_addc_co_u32_e32 v15, vcc, 0, v5, vcc
	v_add_co_u32_e32 v12, vcc, 1, v2
	v_addc_co_u32_e32 v13, vcc, 0, v3, vcc
	v_add_co_u32_e32 v2, vcc, 64, v0
	v_addc_co_u32_e32 v3, vcc, 0, v1, vcc
	v_lshlrev_b64 v[4:5], 2, v[0:1]
	v_mov_b32_e32 v20, s13
	v_add_co_u32_e32 v4, vcc, s12, v4
	v_addc_co_u32_e32 v5, vcc, v5, v20, vcc
	s_movk_i32 s2, 0x100
	v_add_co_u32_e32 v20, vcc, s2, v4
	v_and_b32_e32 v16, -2, v12
	v_mov_b32_e32 v17, v13
	v_addc_co_u32_e32 v21, vcc, 0, v5, vcc
	v_pk_mov_b32 v[4:5], v[2:3], v[2:3] op_sel:[0,1]
	s_mov_b32 s33, s28
	s_mov_b32 s34, s30
	;; [unrolled: 1-line block ×3, first 2 shown]
	v_mov_b32_e32 v18, v6
	v_mov_b32_e32 v19, v7
	s_mov_b32 s36, s29
	s_movk_i32 s37, 0x80
	v_pk_mov_b32 v[22:23], v[16:17], v[16:17] op_sel:[0,1]
	v_pk_mov_b32 v[2:3], v[0:1], v[0:1] op_sel:[0,1]
.LBB119_7:                              ; =>This Inner Loop Header: Depth=1
	v_mad_u64_u32 v[28:29], s[2:3], v2, 36, v[10:11]
	v_mul_lo_u32 v35, v3, 36
	v_mad_u64_u32 v[32:33], s[2:3], v2, 36, v[14:15]
	v_mad_u64_u32 v[26:27], s[2:3], v4, 36, v[10:11]
	v_mul_lo_u32 v34, v5, 36
	v_mad_u64_u32 v[30:31], s[2:3], v4, 36, v[14:15]
	v_add_u32_e32 v29, v35, v29
	v_add_u32_e32 v33, v35, v33
	;; [unrolled: 1-line block ×4, first 2 shown]
	v_cndmask_b32_e64 v36, v28, v32, s[0:1]
	v_cndmask_b32_e64 v37, v29, v33, s[0:1]
	;; [unrolled: 1-line block ×4, first 2 shown]
	global_load_dword v46, v[36:37], off
	global_load_dword v47, v[34:35], off
	v_mov_b32_e32 v34, s31
	v_mov_b32_e32 v35, s35
	v_subrev_co_u32_e32 v36, vcc, s34, v4
	v_subrev_co_u32_e64 v37, s[2:3], s30, v2
	v_subb_co_u32_e64 v41, s[2:3], v3, v34, s[2:3]
	v_subb_co_u32_e32 v39, vcc, v5, v35, vcc
	v_mad_u64_u32 v[34:35], s[2:3], v36, 3, v[18:19]
	v_mad_u64_u32 v[36:37], s[2:3], v37, 3, v[6:7]
	v_add_co_u32_e32 v42, vcc, 4, v30
	v_add_co_u32_e64 v43, s[2:3], 12, v28
	v_add_co_u32_e64 v44, s[4:5], 12, v26
	v_mov_b32_e32 v40, v37
	v_add_co_u32_e64 v45, s[6:7], 4, v32
	v_addc_co_u32_e32 v37, vcc, 0, v31, vcc
	v_addc_co_u32_e64 v49, vcc, 0, v29, s[2:3]
	v_addc_co_u32_e64 v50, vcc, 0, v27, s[4:5]
	v_mad_u64_u32 v[40:41], s[2:3], v41, 3, v[40:41]
	v_mov_b32_e32 v38, v35
	v_cndmask_b32_e64 v42, v44, v42, s[0:1]
	v_cndmask_b32_e64 v44, v43, v45, s[0:1]
	;; [unrolled: 1-line block ×3, first 2 shown]
	v_mov_b32_e32 v37, v40
	v_addc_co_u32_e64 v35, s[6:7], 0, v33, s[6:7]
	v_mad_u64_u32 v[38:39], s[2:3], v39, 3, v[38:39]
	v_lshlrev_b64 v[36:37], 2, v[36:37]
	v_mov_b32_e32 v48, s17
	v_cndmask_b32_e64 v45, v49, v35, s[0:1]
	v_mov_b32_e32 v35, v38
	v_add_co_u32_e32 v38, vcc, s16, v36
	v_lshlrev_b64 v[34:35], 2, v[34:35]
	v_addc_co_u32_e32 v39, vcc, v48, v37, vcc
	v_add_co_u32_e32 v40, vcc, s16, v34
	v_addc_co_u32_e32 v41, vcc, v48, v35, vcc
	v_add_co_u32_e32 v30, vcc, 8, v30
	v_add_co_u32_e64 v28, s[2:3], 24, v28
	v_add_co_u32_e64 v26, s[4:5], 24, v26
	v_addc_co_u32_e32 v31, vcc, 0, v31, vcc
	v_addc_co_u32_e64 v29, vcc, 0, v29, s[2:3]
	v_addc_co_u32_e64 v27, vcc, 0, v27, s[4:5]
	s_waitcnt vmcnt(1)
	global_store_dword v[38:39], v46, off
	s_waitcnt vmcnt(1)
	global_store_dword v[40:41], v47, off
	global_load_dword v39, v[44:45], off
	s_nop 0
	global_load_dword v41, v[42:43], off
	global_load_dword v46, v[20:21], off offset:-256
	global_load_dword v47, v[20:21], off
	v_add_co_u32_e32 v42, vcc, 4, v36
	v_addc_co_u32_e32 v43, vcc, 0, v37, vcc
	v_add_co_u32_e32 v44, vcc, 4, v34
	v_addc_co_u32_e32 v45, vcc, 0, v35, vcc
	v_cndmask_b32_e64 v26, v26, v30, s[0:1]
	v_add_co_u32_e32 v30, vcc, s16, v42
	v_add_co_u32_e64 v32, s[6:7], 8, v32
	v_cndmask_b32_e64 v27, v27, v31, s[0:1]
	v_addc_co_u32_e32 v31, vcc, v48, v43, vcc
	v_addc_co_u32_e64 v33, s[6:7], 0, v33, s[6:7]
	v_cndmask_b32_e64 v28, v28, v32, s[0:1]
	v_add_co_u32_e32 v32, vcc, s16, v44
	v_cndmask_b32_e64 v29, v29, v33, s[0:1]
	v_addc_co_u32_e32 v33, vcc, v48, v45, vcc
	v_add_co_u32_e32 v4, vcc, s37, v4
	v_addc_co_u32_e32 v5, vcc, 0, v5, vcc
	v_add_co_u32_e32 v2, vcc, s37, v2
	;; [unrolled: 2-line block ×3, first 2 shown]
	v_addc_co_u32_e32 v21, vcc, 0, v21, vcc
	v_add_co_u32_e64 v22, s[2:3], -2, v22
	v_addc_co_u32_e64 v23, s[2:3], -1, v23, s[2:3]
	v_mov_b32_e32 v40, s29
	v_cmp_eq_u64_e64 s[2:3], 0, v[22:23]
	v_mov_b32_e32 v38, s36
	s_or_b64 s[24:25], s[2:3], s[24:25]
	s_waitcnt vmcnt(3)
	global_store_dword v[30:31], v39, off
	s_waitcnt vmcnt(3)
	global_store_dword v[32:33], v41, off
	global_load_dword v49, v[28:29], off
	global_load_dword v50, v[26:27], off
	v_mov_b32_e32 v39, s19
	v_add_co_u32_e32 v26, vcc, s18, v36
	v_addc_co_u32_e32 v27, vcc, v39, v37, vcc
	v_add_co_u32_e32 v28, vcc, s18, v34
	v_addc_co_u32_e32 v29, vcc, v39, v35, vcc
	;; [unrolled: 2-line block ×8, first 2 shown]
	v_add_co_u32_e32 v42, vcc, s16, v41
	s_waitcnt vmcnt(5)
	v_subrev_u32_e32 v41, s28, v46
	v_addc_co_u32_e32 v43, vcc, v48, v51, vcc
	s_waitcnt vmcnt(4)
	v_subrev_u32_e32 v39, s33, v47
	v_mad_u64_u32 v[40:41], s[2:3], v41, 3, v[40:41]
	v_add_co_u32_e32 v44, vcc, s16, v52
	v_mad_u64_u32 v[38:39], s[2:3], v39, 3, v[38:39]
	global_store_dword v[26:27], v40, off
	global_store_dword v[28:29], v38, off
	v_add_u32_e32 v27, 1, v40
	v_addc_co_u32_e32 v45, vcc, v48, v53, vcc
	v_add_u32_e32 v26, 1, v38
	v_add_u32_e32 v28, 2, v38
	;; [unrolled: 1-line block ×3, first 2 shown]
	global_store_dword v[30:31], v27, off
	global_store_dword v[32:33], v26, off
	;; [unrolled: 1-line block ×4, first 2 shown]
	s_waitcnt vmcnt(7)
	global_store_dword v[42:43], v49, off
	s_waitcnt vmcnt(7)
	global_store_dword v[44:45], v50, off
	s_andn2_b64 exec, exec, s[24:25]
	s_cbranch_execnz .LBB119_7
; %bb.8:
	s_or_b64 exec, exec, s[24:25]
	v_lshlrev_b64 v[2:3], 6, v[16:17]
	v_add_co_u32_e32 v0, vcc, v0, v2
	v_addc_co_u32_e32 v1, vcc, v1, v3, vcc
	v_cmp_ne_u64_e32 vcc, v[12:13], v[16:17]
	s_orn2_b64 s[2:3], vcc, exec
.LBB119_9:
	s_or_b64 exec, exec, s[26:27]
	s_andn2_b64 s[4:5], s[20:21], exec
	s_and_b64 s[2:3], s[2:3], exec
	s_or_b64 s[20:21], s[4:5], s[2:3]
.LBB119_10:
	s_or_b64 exec, exec, s[22:23]
	s_and_b64 exec, exec, s[20:21]
	s_cbranch_execz .LBB119_13
; %bb.11:
	v_mad_u64_u32 v[2:3], s[2:3], s8, 6, v[8:9]
	v_mov_b32_e32 v4, v3
	v_mad_u64_u32 v[4:5], s[2:3], s9, 6, v[4:5]
	v_mov_b32_e32 v3, v4
	;; [unrolled: 2-line block ×3, first 2 shown]
	v_mad_u64_u32 v[4:5], s[2:3], v1, 3, v[4:5]
	s_mul_hi_u32 s2, s28, 6
	s_mul_i32 s3, s28, 6
	v_mov_b32_e32 v3, v4
	v_mov_b32_e32 v4, s2
	v_subrev_co_u32_e32 v2, vcc, s3, v2
	v_subb_co_u32_e32 v3, vcc, v3, v4, vcc
	v_lshlrev_b64 v[4:5], 2, v[2:3]
	v_mov_b32_e32 v2, s17
	v_add_co_u32_e32 v3, vcc, s16, v4
	v_addc_co_u32_e32 v6, vcc, v5, v2, vcc
	v_add_co_u32_e32 v2, vcc, 8, v3
	v_addc_co_u32_e32 v3, vcc, 0, v6, vcc
	v_mov_b32_e32 v6, s19
	v_add_co_u32_e32 v4, vcc, s18, v4
	v_addc_co_u32_e32 v5, vcc, v5, v6, vcc
	v_add_co_u32_e32 v4, vcc, 4, v4
	v_mad_u64_u32 v[8:9], s[2:3], v0, 36, s[14:15]
	v_addc_co_u32_e32 v5, vcc, 0, v5, vcc
	v_mov_b32_e32 v10, v9
	v_lshlrev_b64 v[12:13], 2, v[0:1]
	v_mad_u64_u32 v[10:11], s[2:3], v1, 36, v[10:11]
	v_mov_b32_e32 v9, s13
	v_add_co_u32_e32 v12, vcc, s12, v12
	v_lshlrev_b32_e32 v6, 2, v25
	v_mov_b32_e32 v7, v10
	v_lshlrev_b32_e32 v10, 2, v24
	v_addc_co_u32_e32 v13, vcc, v9, v13, vcc
	s_mov_b64 s[2:3], 0
	v_mov_b32_e32 v14, s29
	s_movk_i32 s4, 0x300
.LBB119_12:                             ; =>This Inner Loop Header: Depth=1
	v_add_co_u32_e32 v11, vcc, v8, v10
	v_addc_co_u32_e32 v15, vcc, 0, v7, vcc
	v_add_co_u32_e32 v20, vcc, v8, v6
	v_addc_co_u32_e32 v21, vcc, 0, v7, vcc
	v_cndmask_b32_e64 v17, v15, v21, s[0:1]
	v_cndmask_b32_e64 v16, v11, v20, s[0:1]
	global_load_dword v16, v[16:17], off
	v_add_co_u32_e32 v17, vcc, 4, v20
	v_addc_co_u32_e32 v18, vcc, 0, v21, vcc
	v_add_co_u32_e32 v22, vcc, 12, v11
	v_addc_co_u32_e32 v19, vcc, 0, v15, vcc
	v_cndmask_b32_e64 v19, v19, v18, s[0:1]
	v_cndmask_b32_e64 v18, v22, v17, s[0:1]
	global_load_dword v17, v[18:19], off
	v_add_co_u32_e32 v18, vcc, 8, v20
	global_load_dword v9, v[12:13], off
	v_addc_co_u32_e32 v19, vcc, 0, v21, vcc
	v_add_co_u32_e32 v11, vcc, 24, v11
	v_addc_co_u32_e32 v15, vcc, 0, v15, vcc
	v_cndmask_b32_e64 v19, v15, v19, s[0:1]
	v_cndmask_b32_e64 v18, v11, v18, s[0:1]
	global_load_dword v18, v[18:19], off
	v_add_co_u32_e32 v0, vcc, 64, v0
	v_addc_co_u32_e32 v1, vcc, 0, v1, vcc
	v_cmp_le_i64_e32 vcc, s[10:11], v[0:1]
	s_or_b64 s[2:3], vcc, s[2:3]
	s_waitcnt vmcnt(1)
	v_subrev_u32_e32 v9, s28, v9
	v_mad_u64_u32 v[20:21], s[6:7], v9, 3, v[14:15]
	v_add_u32_e32 v22, 2, v20
	v_add_u32_e32 v21, 1, v20
	global_store_dwordx3 v[4:5], v[20:22], off offset:-4
	s_waitcnt vmcnt(1)
	global_store_dwordx3 v[2:3], v[16:18], off offset:-8
	v_add_co_u32_e32 v2, vcc, s4, v2
	v_addc_co_u32_e32 v3, vcc, 0, v3, vcc
	v_add_co_u32_e32 v4, vcc, s4, v4
	v_addc_co_u32_e32 v5, vcc, 0, v5, vcc
	;; [unrolled: 2-line block ×4, first 2 shown]
	s_andn2_b64 exec, exec, s[2:3]
	s_cbranch_execnz .LBB119_12
.LBB119_13:
	s_endpgm
	.section	.rodata,"a",@progbits
	.p2align	6, 0x0
	.amdhsa_kernel _ZN9rocsparseL32bsr2csr_block_per_row_2_7_kernelILj256ELj3EfliEEv20rocsparse_direction_T3_S2_21rocsparse_index_base_PKT1_PKT2_PKS2_S2_S3_PS4_PS7_PS2_
		.amdhsa_group_segment_fixed_size 0
		.amdhsa_private_segment_fixed_size 0
		.amdhsa_kernarg_size 72
		.amdhsa_user_sgpr_count 6
		.amdhsa_user_sgpr_private_segment_buffer 1
		.amdhsa_user_sgpr_dispatch_ptr 0
		.amdhsa_user_sgpr_queue_ptr 0
		.amdhsa_user_sgpr_kernarg_segment_ptr 1
		.amdhsa_user_sgpr_dispatch_id 0
		.amdhsa_user_sgpr_flat_scratch_init 0
		.amdhsa_user_sgpr_kernarg_preload_length 0
		.amdhsa_user_sgpr_kernarg_preload_offset 0
		.amdhsa_user_sgpr_private_segment_size 0
		.amdhsa_uses_dynamic_stack 0
		.amdhsa_system_sgpr_private_segment_wavefront_offset 0
		.amdhsa_system_sgpr_workgroup_id_x 1
		.amdhsa_system_sgpr_workgroup_id_y 0
		.amdhsa_system_sgpr_workgroup_id_z 0
		.amdhsa_system_sgpr_workgroup_info 0
		.amdhsa_system_vgpr_workitem_id 0
		.amdhsa_next_free_vgpr 54
		.amdhsa_next_free_sgpr 38
		.amdhsa_accum_offset 56
		.amdhsa_reserve_vcc 1
		.amdhsa_reserve_flat_scratch 0
		.amdhsa_float_round_mode_32 0
		.amdhsa_float_round_mode_16_64 0
		.amdhsa_float_denorm_mode_32 3
		.amdhsa_float_denorm_mode_16_64 3
		.amdhsa_dx10_clamp 1
		.amdhsa_ieee_mode 1
		.amdhsa_fp16_overflow 0
		.amdhsa_tg_split 0
		.amdhsa_exception_fp_ieee_invalid_op 0
		.amdhsa_exception_fp_denorm_src 0
		.amdhsa_exception_fp_ieee_div_zero 0
		.amdhsa_exception_fp_ieee_overflow 0
		.amdhsa_exception_fp_ieee_underflow 0
		.amdhsa_exception_fp_ieee_inexact 0
		.amdhsa_exception_int_div_zero 0
	.end_amdhsa_kernel
	.section	.text._ZN9rocsparseL32bsr2csr_block_per_row_2_7_kernelILj256ELj3EfliEEv20rocsparse_direction_T3_S2_21rocsparse_index_base_PKT1_PKT2_PKS2_S2_S3_PS4_PS7_PS2_,"axG",@progbits,_ZN9rocsparseL32bsr2csr_block_per_row_2_7_kernelILj256ELj3EfliEEv20rocsparse_direction_T3_S2_21rocsparse_index_base_PKT1_PKT2_PKS2_S2_S3_PS4_PS7_PS2_,comdat
.Lfunc_end119:
	.size	_ZN9rocsparseL32bsr2csr_block_per_row_2_7_kernelILj256ELj3EfliEEv20rocsparse_direction_T3_S2_21rocsparse_index_base_PKT1_PKT2_PKS2_S2_S3_PS4_PS7_PS2_, .Lfunc_end119-_ZN9rocsparseL32bsr2csr_block_per_row_2_7_kernelILj256ELj3EfliEEv20rocsparse_direction_T3_S2_21rocsparse_index_base_PKT1_PKT2_PKS2_S2_S3_PS4_PS7_PS2_
                                        ; -- End function
	.section	.AMDGPU.csdata,"",@progbits
; Kernel info:
; codeLenInByte = 2488
; NumSgprs: 42
; NumVgprs: 54
; NumAgprs: 0
; TotalNumVgprs: 54
; ScratchSize: 0
; MemoryBound: 0
; FloatMode: 240
; IeeeMode: 1
; LDSByteSize: 0 bytes/workgroup (compile time only)
; SGPRBlocks: 5
; VGPRBlocks: 6
; NumSGPRsForWavesPerEU: 42
; NumVGPRsForWavesPerEU: 54
; AccumOffset: 56
; Occupancy: 8
; WaveLimiterHint : 1
; COMPUTE_PGM_RSRC2:SCRATCH_EN: 0
; COMPUTE_PGM_RSRC2:USER_SGPR: 6
; COMPUTE_PGM_RSRC2:TRAP_HANDLER: 0
; COMPUTE_PGM_RSRC2:TGID_X_EN: 1
; COMPUTE_PGM_RSRC2:TGID_Y_EN: 0
; COMPUTE_PGM_RSRC2:TGID_Z_EN: 0
; COMPUTE_PGM_RSRC2:TIDIG_COMP_CNT: 0
; COMPUTE_PGM_RSRC3_GFX90A:ACCUM_OFFSET: 13
; COMPUTE_PGM_RSRC3_GFX90A:TG_SPLIT: 0
	.section	.text._ZN9rocsparseL32bsr2csr_block_per_row_2_7_kernelILj256ELj4EfliEEv20rocsparse_direction_T3_S2_21rocsparse_index_base_PKT1_PKT2_PKS2_S2_S3_PS4_PS7_PS2_,"axG",@progbits,_ZN9rocsparseL32bsr2csr_block_per_row_2_7_kernelILj256ELj4EfliEEv20rocsparse_direction_T3_S2_21rocsparse_index_base_PKT1_PKT2_PKS2_S2_S3_PS4_PS7_PS2_,comdat
	.globl	_ZN9rocsparseL32bsr2csr_block_per_row_2_7_kernelILj256ELj4EfliEEv20rocsparse_direction_T3_S2_21rocsparse_index_base_PKT1_PKT2_PKS2_S2_S3_PS4_PS7_PS2_ ; -- Begin function _ZN9rocsparseL32bsr2csr_block_per_row_2_7_kernelILj256ELj4EfliEEv20rocsparse_direction_T3_S2_21rocsparse_index_base_PKT1_PKT2_PKS2_S2_S3_PS4_PS7_PS2_
	.p2align	8
	.type	_ZN9rocsparseL32bsr2csr_block_per_row_2_7_kernelILj256ELj4EfliEEv20rocsparse_direction_T3_S2_21rocsparse_index_base_PKT1_PKT2_PKS2_S2_S3_PS4_PS7_PS2_,@function
_ZN9rocsparseL32bsr2csr_block_per_row_2_7_kernelILj256ELj4EfliEEv20rocsparse_direction_T3_S2_21rocsparse_index_base_PKT1_PKT2_PKS2_S2_S3_PS4_PS7_PS2_: ; @_ZN9rocsparseL32bsr2csr_block_per_row_2_7_kernelILj256ELj4EfliEEv20rocsparse_direction_T3_S2_21rocsparse_index_base_PKT1_PKT2_PKS2_S2_S3_PS4_PS7_PS2_
; %bb.0:
	s_load_dwordx2 s[2:3], s[4:5], 0x18
	s_load_dword s14, s[4:5], 0x2c
	s_load_dwordx2 s[0:1], s[4:5], 0x38
	s_ashr_i32 s7, s6, 31
	s_lshl_b64 s[8:9], s[6:7], 3
	s_waitcnt lgkmcnt(0)
	s_add_u32 s2, s2, s8
	s_addc_u32 s3, s3, s9
	s_load_dwordx4 s[16:19], s[2:3], 0x0
	v_or_b32_e32 v1, s6, v0
	s_mov_b32 s21, 0
	v_cmp_eq_u32_e32 vcc, 0, v1
	s_and_saveexec_b64 s[2:3], vcc
	s_cbranch_execz .LBB120_2
; %bb.1:
	s_mov_b32 s15, s21
	v_mov_b32_e32 v1, 0
	v_pk_mov_b32 v[2:3], s[14:15], s[14:15] op_sel:[0,1]
	global_store_dwordx2 v1, v[2:3], s[0:1]
.LBB120_2:
	s_or_b64 exec, exec, s[2:3]
	s_load_dword s20, s[4:5], 0xc
	v_and_b32_e32 v2, 3, v0
	v_lshrrev_b32_e32 v6, 2, v0
	v_mov_b32_e32 v5, 0
	s_waitcnt lgkmcnt(0)
	s_sub_u32 s30, s16, s20
	s_subb_u32 s31, s17, 0
	s_sub_u32 s18, s18, s20
	s_subb_u32 s19, s19, 0
	s_lshl_b64 s[8:9], s[30:31], 4
	s_sub_u32 s10, s18, s30
	s_subb_u32 s11, s19, s31
	s_lshl_b64 s[2:3], s[10:11], 2
	v_mov_b32_e32 v0, s10
	v_alignbit_b32 v0, s11, v0, 30
	v_pk_mov_b32 v[8:9], s[8:9], s[8:9] op_sel:[0,1]
	s_add_u32 s7, s2, s14
	v_mul_lo_u32 v0, v0, v2
	v_mad_u64_u32 v[18:19], s[8:9], s2, v2, v[8:9]
	s_addc_u32 s3, s3, 0
	v_add_u32_e32 v19, v0, v19
	v_mov_b32_e32 v1, s3
	v_add_co_u32_e32 v8, vcc, s7, v18
	v_addc_co_u32_e32 v9, vcc, v1, v19, vcc
	v_lshl_or_b32 v1, s6, 2, v2
	v_add_u32_e32 v4, 1, v1
	v_lshlrev_b64 v[4:5], 3, v[4:5]
	v_mov_b32_e32 v1, s1
	v_add_co_u32_e32 v4, vcc, s0, v4
	v_addc_co_u32_e32 v5, vcc, v1, v5, vcc
	global_store_dwordx2 v[4:5], v[8:9], off
	v_mov_b32_e32 v1, s31
	v_add_co_u32_e32 v4, vcc, s30, v6
	v_addc_co_u32_e32 v5, vcc, 0, v1, vcc
	v_cmp_gt_i64_e32 vcc, s[18:19], v[4:5]
	s_and_saveexec_b64 s[0:1], vcc
	s_cbranch_execz .LBB120_22
; %bb.3:
	s_load_dwordx2 s[34:35], s[4:5], 0x20
	s_load_dwordx2 s[26:27], s[4:5], 0x30
	;; [unrolled: 1-line block ×4, first 2 shown]
	s_load_dword s3, s[4:5], 0x0
	v_mov_b32_e32 v1, s17
	v_add_co_u32_e32 v3, vcc, s16, v6
	v_addc_co_u32_e32 v1, vcc, 0, v1, vcc
	v_mov_b32_e32 v7, s21
	v_subrev_co_u32_e32 v3, vcc, s20, v3
	v_mad_u64_u32 v[20:21], s[0:1], s2, v2, 0
	s_waitcnt lgkmcnt(0)
	s_cmp_eq_u32 s3, 0
	v_subb_co_u32_e32 v1, vcc, v1, v7, vcc
	s_cselect_b64 s[0:1], -1, 0
	s_cmp_lg_u32 s3, 0
	v_add_co_u32_e32 v8, vcc, 64, v3
	s_cselect_b64 s[28:29], -1, 0
	v_addc_co_u32_e32 v9, vcc, 0, v1, vcc
	s_not_b64 s[2:3], s[16:17]
	v_cmp_lt_i64_e32 vcc, s[18:19], v[8:9]
	v_mov_b32_e32 v3, s18
	s_add_u32 s2, s2, s20
	v_mov_b32_e32 v1, s19
	v_cndmask_b32_e32 v3, v3, v8, vcc
	s_addc_u32 s3, s3, 0
	v_cndmask_b32_e32 v1, v1, v9, vcc
	v_mov_b32_e32 v7, s3
	v_add_co_u32_e32 v3, vcc, s2, v3
	v_addc_co_u32_e32 v1, vcc, v7, v1, vcc
	v_sub_co_u32_e32 v10, vcc, v3, v6
	v_subbrev_co_u32_e32 v11, vcc, 0, v1, vcc
	s_mov_b64 s[2:3], 0xcc0
	v_cmp_gt_u64_e64 s[36:37], s[2:3], v[10:11]
	s_mov_b64 s[2:3], 0xcbf
	v_add_u32_e32 v21, v21, v0
	s_mov_b32 s4, 0
	v_lshlrev_b32_e32 v0, 2, v2
	v_cmp_lt_u64_e32 vcc, s[2:3], v[10:11]
	s_and_saveexec_b64 s[38:39], vcc
	s_cbranch_execz .LBB120_9
; %bb.4:
	v_lshlrev_b64 v[12:13], 2, v[20:21]
	s_lshl_b64 s[2:3], s[16:17], 6
	v_mov_b32_e32 v1, s3
	v_add_co_u32_e32 v3, vcc, s2, v12
	v_addc_co_u32_e32 v1, vcc, v13, v1, vcc
	v_lshlrev_b32_e32 v6, 4, v6
	v_add_co_u32_e32 v3, vcc, v3, v6
	v_addc_co_u32_e32 v1, vcc, 0, v1, vcc
	s_lshl_b64 s[2:3], s[20:21], 6
	v_mov_b32_e32 v6, s3
	v_subrev_co_u32_e32 v3, vcc, s2, v3
	v_subb_co_u32_e32 v1, vcc, v1, v6, vcc
	v_mov_b32_e32 v7, s25
	v_add_co_u32_e32 v6, vcc, s24, v3
	v_addc_co_u32_e32 v7, vcc, v7, v1, vcc
	v_lshrrev_b64 v[8:9], 6, v[10:11]
	v_add_co_u32_e32 v12, vcc, 8, v6
	v_addc_co_u32_e32 v13, vcc, 0, v7, vcc
	v_lshlrev_b64 v[14:15], 10, v[8:9]
	v_add_co_u32_e32 v16, vcc, v6, v14
	v_addc_co_u32_e32 v17, vcc, v7, v15, vcc
	v_add_co_u32_e32 v22, vcc, 8, v16
	v_addc_co_u32_e32 v23, vcc, 0, v17, vcc
	v_cmp_ge_u64_e32 vcc, v[22:23], v[12:13]
	v_add_co_u32_e64 v12, s[2:3], 12, v6
	v_addc_co_u32_e64 v13, s[2:3], 0, v7, s[2:3]
	s_brev_b32 s5, 8
	v_cmp_gt_u64_e64 s[2:3], s[4:5], v[10:11]
	v_add_co_u32_e64 v10, s[4:5], 12, v16
	v_addc_co_u32_e64 v11, s[4:5], 0, v17, s[4:5]
	v_cmp_ge_u64_e64 s[4:5], v[10:11], v[12:13]
	s_and_b64 s[40:41], s[4:5], vcc
	v_add_co_u32_e32 v10, vcc, 4, v6
	v_addc_co_u32_e32 v11, vcc, 0, v7, vcc
	v_add_co_u32_e32 v12, vcc, 4, v16
	v_cmp_ge_u64_e64 s[4:5], v[16:17], v[6:7]
	v_mov_b32_e32 v7, s27
	v_add_co_u32_e64 v6, s[6:7], s26, v3
	v_addc_co_u32_e32 v13, vcc, 0, v17, vcc
	v_addc_co_u32_e64 v7, s[6:7], v7, v1, s[6:7]
	v_cmp_ge_u64_e32 vcc, v[12:13], v[10:11]
	v_add_co_u32_e64 v10, s[6:7], 8, v6
	v_addc_co_u32_e64 v11, s[6:7], 0, v7, s[6:7]
	v_add_co_u32_e64 v12, s[6:7], v6, v14
	v_addc_co_u32_e64 v13, s[6:7], v7, v15, s[6:7]
	;; [unrolled: 2-line block ×3, first 2 shown]
	v_cmp_ge_u64_e64 s[6:7], v[14:15], v[10:11]
	v_add_co_u32_e64 v10, s[8:9], 12, v6
	v_addc_co_u32_e64 v11, s[8:9], 0, v7, s[8:9]
	v_add_co_u32_e64 v14, s[8:9], 12, v12
	v_addc_co_u32_e64 v15, s[8:9], 0, v13, s[8:9]
	v_cmp_ge_u64_e64 s[8:9], v[14:15], v[10:11]
	v_add_co_u32_e64 v10, s[10:11], 4, v6
	s_and_b64 s[2:3], s[40:41], s[2:3]
	v_addc_co_u32_e64 v11, s[10:11], 0, v7, s[10:11]
	s_and_b64 s[2:3], vcc, s[2:3]
	v_add_co_u32_e64 v14, s[10:11], 4, v12
	s_and_b64 s[2:3], s[4:5], s[2:3]
	v_addc_co_u32_e64 v15, s[10:11], 0, v13, s[10:11]
	s_and_b64 s[2:3], s[6:7], s[2:3]
	v_cmp_ge_u64_e64 s[10:11], v[14:15], v[10:11]
	s_and_b64 s[2:3], s[8:9], s[2:3]
	v_cmp_ge_u64_e64 s[12:13], v[12:13], v[6:7]
	s_and_b64 s[2:3], s[10:11], s[2:3]
	s_and_b64 s[4:5], s[12:13], s[2:3]
	s_mov_b64 s[2:3], -1
	s_and_saveexec_b64 s[6:7], s[4:5]
	s_cbranch_execz .LBB120_8
; %bb.5:
	v_add_co_u32_e32 v22, vcc, 1, v8
	v_addc_co_u32_e32 v23, vcc, 0, v9, vcc
	s_add_u32 s10, s22, 4
	v_add_co_u32_e32 v6, vcc, 64, v4
	s_addc_u32 s11, s23, 0
	v_addc_co_u32_e32 v7, vcc, 0, v5, vcc
	v_lshlrev_b64 v[14:15], 2, v[4:5]
	s_add_u32 s12, s22, 8
	v_mov_b32_e32 v1, s35
	v_add_co_u32_e32 v9, vcc, s34, v14
	s_addc_u32 s13, s23, 0
	v_addc_co_u32_e32 v1, vcc, v15, v1, vcc
	s_movk_i32 s2, 0x100
	s_add_u32 s15, s22, 12
	v_and_b32_e32 v24, -2, v22
	v_mov_b32_e32 v25, v23
	v_add_co_u32_e32 v26, vcc, s2, v9
	v_pk_mov_b32 v[16:17], v[6:7], v[6:7] op_sel:[0,1]
	s_addc_u32 s21, s23, 0
	s_mov_b32 s33, s20
	s_mov_b32 s40, s30
	;; [unrolled: 1-line block ×3, first 2 shown]
	v_mov_b32_e32 v8, v18
	v_mov_b32_e32 v3, v19
	s_mov_b32 s42, s14
	v_mov_b32_e32 v10, v0
	v_mov_b32_e32 v12, v2
	v_addc_co_u32_e32 v27, vcc, 0, v1, vcc
	s_mov_b64 s[8:9], 0
	s_movk_i32 s43, 0x80
	v_pk_mov_b32 v[28:29], v[24:25], v[24:25] op_sel:[0,1]
	v_pk_mov_b32 v[14:15], v[4:5], v[4:5] op_sel:[0,1]
.LBB120_6:                              ; =>This Inner Loop Header: Depth=1
	v_mov_b32_e32 v1, s31
	v_subrev_co_u32_e64 v30, s[2:3], s30, v14
	v_mov_b32_e32 v7, s41
	v_subrev_co_u32_e32 v6, vcc, s40, v16
	v_subb_co_u32_e64 v31, s[2:3], v15, v1, s[2:3]
	v_subb_co_u32_e32 v7, vcc, v17, v7, vcc
	v_lshlrev_b64 v[30:31], 2, v[30:31]
	v_lshlrev_b64 v[6:7], 2, v[6:7]
	v_add_co_u32_e32 v36, vcc, v30, v18
	v_add_co_u32_e64 v50, s[2:3], v6, v8
	v_addc_co_u32_e32 v37, vcc, v31, v19, vcc
	v_addc_co_u32_e64 v51, vcc, v7, v3, s[2:3]
	v_lshlrev_b64 v[30:31], 2, v[36:37]
	v_mov_b32_e32 v9, s25
	v_mov_b32_e32 v11, s27
	v_add_co_u32_e32 v52, vcc, s24, v30
	v_add_co_u32_e64 v44, s[4:5], s26, v30
	v_lshlrev_b64 v[32:33], 2, v[50:51]
	v_addc_co_u32_e32 v53, vcc, v9, v31, vcc
	v_addc_co_u32_e64 v45, vcc, v11, v31, s[4:5]
	v_or_b32_e32 v6, 1, v36
	v_mov_b32_e32 v7, v37
	v_add_co_u32_e32 v40, vcc, s26, v32
	v_lshlrev_b64 v[6:7], 2, v[6:7]
	v_addc_co_u32_e32 v41, vcc, v11, v33, vcc
	v_add_co_u32_e32 v56, vcc, s24, v6
	v_addc_co_u32_e32 v57, vcc, v9, v7, vcc
	v_add_co_u32_e32 v34, vcc, s26, v6
	v_addc_co_u32_e32 v35, vcc, v11, v7, vcc
	v_or_b32_e32 v6, 1, v50
	v_mov_b32_e32 v7, v51
	v_lshlrev_b64 v[30:31], 2, v[6:7]
	v_add_co_u32_e32 v6, vcc, s24, v30
	v_addc_co_u32_e32 v7, vcc, v9, v31, vcc
	v_add_co_u32_e32 v38, vcc, s26, v30
	v_add_co_u32_e64 v54, s[2:3], s24, v32
	v_addc_co_u32_e32 v39, vcc, v11, v31, vcc
	v_or_b32_e32 v30, 2, v36
	v_mov_b32_e32 v31, v37
	v_addc_co_u32_e64 v55, s[2:3], v9, v33, s[2:3]
	v_lshlrev_b64 v[32:33], 2, v[30:31]
	v_add_co_u32_e32 v30, vcc, s24, v32
	v_addc_co_u32_e32 v31, vcc, v9, v33, vcc
	v_add_co_u32_e32 v42, vcc, s26, v32
	v_addc_co_u32_e32 v43, vcc, v11, v33, vcc
	v_or_b32_e32 v32, 2, v50
	v_mov_b32_e32 v33, v51
	v_lshlrev_b64 v[46:47], 2, v[32:33]
	v_add_co_u32_e32 v32, vcc, s24, v46
	v_addc_co_u32_e32 v33, vcc, v9, v47, vcc
	v_add_co_u32_e32 v46, vcc, s26, v46
	v_or_b32_e32 v36, 3, v36
	v_addc_co_u32_e32 v47, vcc, v11, v47, vcc
	v_lshlrev_b64 v[48:49], 2, v[36:37]
	v_add_co_u32_e32 v36, vcc, s24, v48
	v_addc_co_u32_e32 v37, vcc, v9, v49, vcc
	v_add_co_u32_e32 v48, vcc, s26, v48
	v_or_b32_e32 v50, 3, v50
	v_addc_co_u32_e32 v49, vcc, v11, v49, vcc
	v_lshlrev_b64 v[50:51], 2, v[50:51]
	v_add_co_u32_e32 v58, vcc, s24, v50
	global_load_dword v1, v[26:27], off offset:-256
	v_addc_co_u32_e32 v59, vcc, v9, v51, vcc
	global_load_dword v9, v[26:27], off
	v_add_co_u32_e32 v50, vcc, s26, v50
	v_addc_co_u32_e32 v51, vcc, v11, v51, vcc
	s_waitcnt vmcnt(1)
	v_subrev_u32_e32 v1, s20, v1
	v_lshl_add_u32 v1, v1, 2, s14
	global_store_dword v[52:53], v1, off
	s_waitcnt vmcnt(1)
	v_subrev_u32_e32 v9, s33, v9
	v_lshl_add_u32 v9, v9, 2, s42
	v_lshlrev_b64 v[52:53], 4, v[14:15]
	global_store_dword v[54:55], v9, off
	v_add_u32_e32 v11, 1, v1
	v_or_b32_e32 v55, 0, v53
	v_or_b32_e32 v54, v52, v0
	;; [unrolled: 1-line block ×4, first 2 shown]
	global_store_dword v[56:57], v11, off
	v_cndmask_b32_e64 v57, v53, v55, s[0:1]
	v_cndmask_b32_e64 v56, v52, v54, s[0:1]
	v_lshlrev_b64 v[56:57], 2, v[56:57]
	v_mov_b32_e32 v11, s23
	v_add_co_u32_e32 v56, vcc, s22, v56
	v_addc_co_u32_e32 v57, vcc, v11, v57, vcc
	global_load_dword v13, v[56:57], off
	s_waitcnt vmcnt(0)
	global_store_dword v[44:45], v13, off
	v_lshlrev_b64 v[44:45], 4, v[16:17]
	v_or_b32_e32 v57, 0, v45
	v_or_b32_e32 v56, v44, v10
	;; [unrolled: 1-line block ×4, first 2 shown]
	v_cndmask_b32_e64 v61, v45, v57, s[0:1]
	v_cndmask_b32_e64 v60, v44, v56, s[0:1]
	v_lshlrev_b64 v[60:61], 2, v[60:61]
	v_add_co_u32_e32 v60, vcc, s22, v60
	v_addc_co_u32_e32 v61, vcc, v11, v61, vcc
	global_load_dword v13, v[60:61], off
	s_waitcnt vmcnt(0)
	global_store_dword v[40:41], v13, off
	v_lshlrev_b64 v[40:41], 2, v[52:53]
	v_add_co_u32_e32 v13, vcc, s22, v40
	v_addc_co_u32_e32 v60, vcc, v11, v41, vcc
	v_lshlrev_b64 v[40:41], 2, v[44:45]
	v_add_co_u32_e32 v61, vcc, s22, v40
	v_addc_co_u32_e32 v11, vcc, v11, v41, vcc
	v_lshlrev_b64 v[40:41], 2, v[56:57]
	v_add_co_u32_e32 v44, vcc, s10, v40
	v_add_co_u32_e64 v45, s[2:3], 16, v61
	v_mov_b32_e32 v56, s11
	v_cndmask_b32_e64 v44, v45, v44, s[0:1]
	v_addc_co_u32_e32 v45, vcc, v56, v41, vcc
	v_addc_co_u32_e64 v52, vcc, 0, v11, s[2:3]
	v_cndmask_b32_e64 v45, v52, v45, s[0:1]
	v_lshlrev_b64 v[52:53], 2, v[54:55]
	v_add_co_u32_e32 v54, vcc, s10, v52
	v_addc_co_u32_e32 v55, vcc, v56, v53, vcc
	v_add_co_u32_e32 v56, vcc, 16, v13
	v_cndmask_b32_e64 v54, v56, v54, s[0:1]
	v_addc_co_u32_e32 v56, vcc, 0, v60, vcc
	v_cndmask_b32_e64 v55, v56, v55, s[0:1]
	global_load_dword v56, v[54:55], off
	global_load_dword v57, v[44:45], off
	s_waitcnt vmcnt(1)
	global_store_dword v[34:35], v56, off
	s_waitcnt vmcnt(1)
	global_store_dword v[38:39], v57, off
	v_add_co_u32_e32 v34, vcc, s12, v40
	v_add_co_u32_e64 v35, s[2:3], 32, v61
	v_mov_b32_e32 v38, s13
	v_cndmask_b32_e64 v34, v35, v34, s[0:1]
	v_addc_co_u32_e32 v35, vcc, v38, v41, vcc
	v_addc_co_u32_e64 v39, vcc, 0, v11, s[2:3]
	v_cndmask_b32_e64 v35, v39, v35, s[0:1]
	v_add_co_u32_e32 v39, vcc, s12, v52
	v_addc_co_u32_e32 v44, vcc, v38, v53, vcc
	v_add_co_u32_e32 v38, vcc, 32, v13
	v_cndmask_b32_e64 v38, v38, v39, s[0:1]
	v_addc_co_u32_e32 v39, vcc, 0, v60, vcc
	v_cndmask_b32_e64 v39, v39, v44, s[0:1]
	global_load_dword v44, v[38:39], off
	global_load_dword v45, v[34:35], off
	v_mov_b32_e32 v34, s21
	v_add_co_u32_e32 v38, vcc, s15, v52
	v_addc_co_u32_e32 v39, vcc, v34, v53, vcc
	v_add_co_u32_e32 v35, vcc, s15, v40
	v_addc_co_u32_e32 v40, vcc, v34, v41, vcc
	;; [unrolled: 2-line block ×3, first 2 shown]
	v_cndmask_b32_e64 v34, v34, v35, s[0:1]
	v_cndmask_b32_e64 v35, v11, v40, s[0:1]
	v_add_co_u32_e32 v11, vcc, 48, v13
	v_addc_co_u32_e32 v13, vcc, 0, v60, vcc
	s_waitcnt vmcnt(1)
	global_store_dword v[42:43], v44, off
	s_waitcnt vmcnt(1)
	global_store_dword v[46:47], v45, off
	v_cndmask_b32_e64 v38, v11, v38, s[0:1]
	v_cndmask_b32_e64 v39, v13, v39, s[0:1]
	global_load_dword v11, v[38:39], off
	global_load_dword v13, v[34:35], off
	v_add_co_u32_e32 v16, vcc, s43, v16
	s_mov_b64 s[2:3], vcc
	v_add_co_u32_e32 v28, vcc, -2, v28
	v_addc_co_u32_e32 v29, vcc, -1, v29, vcc
	v_add_co_u32_e32 v14, vcc, s43, v14
	s_mov_b64 s[4:5], vcc
	v_addc_co_u32_e64 v17, vcc, 0, v17, s[2:3]
	v_cmp_eq_u64_e64 s[2:3], 0, v[28:29]
	v_add_co_u32_e32 v26, vcc, 0x200, v26
	v_add_u32_e32 v34, 1, v9
	v_addc_co_u32_e64 v15, s[4:5], 0, v15, s[4:5]
	s_or_b64 s[8:9], s[2:3], s[8:9]
	v_addc_co_u32_e32 v27, vcc, 0, v27, vcc
	global_store_dword v[6:7], v34, off
	v_add_u32_e32 v7, 2, v1
	v_add_u32_e32 v6, 2, v9
	;; [unrolled: 1-line block ×4, first 2 shown]
	global_store_dword v[30:31], v7, off
	global_store_dword v[32:33], v6, off
	;; [unrolled: 1-line block ×4, first 2 shown]
	s_waitcnt vmcnt(6)
	global_store_dword v[48:49], v11, off
	s_waitcnt vmcnt(6)
	global_store_dword v[50:51], v13, off
	s_andn2_b64 exec, exec, s[8:9]
	s_cbranch_execnz .LBB120_6
; %bb.7:
	s_or_b64 exec, exec, s[8:9]
	v_lshlrev_b64 v[6:7], 6, v[24:25]
	v_add_co_u32_e32 v4, vcc, v4, v6
	v_addc_co_u32_e32 v5, vcc, v5, v7, vcc
	v_cmp_ne_u64_e32 vcc, v[22:23], v[24:25]
	s_orn2_b64 s[2:3], vcc, exec
.LBB120_8:
	s_or_b64 exec, exec, s[6:7]
	s_andn2_b64 s[4:5], s[36:37], exec
	s_and_b64 s[2:3], s[2:3], exec
	s_or_b64 s[36:37], s[4:5], s[2:3]
.LBB120_9:
	s_or_b64 exec, exec, s[38:39]
	s_and_b64 exec, exec, s[36:37]
	s_cbranch_execz .LBB120_22
; %bb.10:
	v_lshlrev_b64 v[8:9], 2, v[4:5]
	v_mov_b32_e32 v1, s35
	v_add_co_u32_e32 v6, vcc, s34, v8
	v_lshlrev_b64 v[10:11], 4, v[4:5]
	v_addc_co_u32_e32 v7, vcc, v1, v9, vcc
	v_or_b32_e32 v12, v10, v2
	v_or_b32_e32 v10, v10, v0
	v_mad_u64_u32 v[0:1], s[2:3], s16, 12, v[20:21]
	v_mov_b32_e32 v14, v1
	v_mad_u64_u32 v[14:15], s[2:3], s17, 12, v[14:15]
	v_mov_b32_e32 v1, v14
	v_add_co_u32_e32 v0, vcc, v0, v8
	v_addc_co_u32_e32 v1, vcc, v1, v9, vcc
	s_mul_hi_u32 s2, s20, 12
	s_mul_i32 s3, s20, 12
	v_mov_b32_e32 v3, s2
	v_subrev_co_u32_e32 v0, vcc, s3, v0
	v_subb_co_u32_e32 v1, vcc, v1, v3, vcc
	v_lshlrev_b64 v[8:9], 2, v[0:1]
	v_mov_b32_e32 v0, s27
	v_add_co_u32_e32 v3, vcc, s26, v8
	v_addc_co_u32_e32 v18, vcc, v0, v9, vcc
	v_lshlrev_b64 v[0:1], 6, v[4:5]
	v_lshl_or_b32 v0, v2, 4, v0
	s_add_u32 s8, s22, 16
	v_mov_b32_e32 v14, s23
	v_add_co_u32_e32 v0, vcc, s22, v0
	s_addc_u32 s9, s23, 0
	v_addc_co_u32_e32 v1, vcc, v1, v14, vcc
	s_add_u32 s10, s22, 32
	v_add_co_u32_e32 v0, vcc, 8, v0
	s_addc_u32 s11, s23, 0
	v_addc_co_u32_e32 v1, vcc, 0, v1, vcc
	s_add_u32 s12, s22, 48
	v_mov_b32_e32 v13, v11
	v_mov_b32_e32 v14, s25
	v_add_co_u32_e32 v19, vcc, s24, v8
	v_cndmask_b32_e64 v8, 0, 1, s[28:29]
	s_addc_u32 s13, s23, 0
	v_addc_co_u32_e32 v20, vcc, v14, v9, vcc
	s_mov_b64 s[4:5], 0
	v_cndmask_b32_e64 v21, v13, v11, s[0:1]
	v_cndmask_b32_e64 v22, v12, v10, s[0:1]
	v_mov_b32_e32 v23, s23
	v_cmp_ne_u32_e64 s[0:1], 1, v8
	s_mov_b64 s[6:7], 0
	s_branch .LBB120_12
.LBB120_11:                             ;   in Loop: Header=BB120_12 Depth=1
	global_load_dword v10, v[10:11], off
	v_add_co_u32_e32 v4, vcc, 64, v4
	v_addc_co_u32_e32 v5, vcc, 0, v5, vcc
	v_add_co_u32_e32 v6, vcc, 0x100, v6
	s_add_u32 s6, s6, 0x400
	v_addc_co_u32_e32 v7, vcc, 0, v7, vcc
	s_addc_u32 s7, s7, 0
	v_add_co_u32_e32 v0, vcc, 0x1000, v0
	v_cmp_le_i64_e64 s[2:3], s[18:19], v[4:5]
	s_or_b64 s[4:5], s[2:3], s[4:5]
	v_addc_co_u32_e32 v1, vcc, 0, v1, vcc
	s_waitcnt vmcnt(0)
	global_store_dword v[8:9], v10, off offset:12
	s_andn2_b64 exec, exec, s[4:5]
	s_cbranch_execz .LBB120_22
.LBB120_12:                             ; =>This Inner Loop Header: Depth=1
	v_mov_b32_e32 v15, s7
	v_add_co_u32_e32 v8, vcc, s6, v22
	global_load_dword v14, v[6:7], off
	v_addc_co_u32_e32 v9, vcc, v21, v15, vcc
	v_lshlrev_b64 v[8:9], 2, v[8:9]
	v_add_co_u32_e32 v8, vcc, s22, v8
	v_addc_co_u32_e32 v9, vcc, v23, v9, vcc
	global_load_dword v16, v[8:9], off
	v_add_co_u32_e64 v10, s[2:3], s6, v19
	v_lshlrev_b64 v[12:13], 4, v[4:5]
	v_addc_co_u32_e64 v11, s[2:3], v20, v15, s[2:3]
	v_or_b32_e32 v12, v12, v2
	v_add_co_u32_e64 v8, s[2:3], s6, v3
	s_and_b64 vcc, exec, s[0:1]
	v_addc_co_u32_e64 v9, s[2:3], v18, v15, s[2:3]
	v_lshlrev_b64 v[12:13], 2, v[12:13]
	s_waitcnt vmcnt(1)
	v_subrev_u32_e32 v14, s20, v14
	v_lshl_add_u32 v14, v14, 2, s14
	v_add_u32_e32 v15, 1, v14
	global_store_dwordx2 v[10:11], v[14:15], off
	s_waitcnt vmcnt(1)
	global_store_dword v[8:9], v16, off
	s_cbranch_vccnz .LBB120_14
; %bb.13:                               ;   in Loop: Header=BB120_12 Depth=1
	v_mov_b32_e32 v15, s9
	v_add_co_u32_e32 v16, vcc, s8, v12
	v_addc_co_u32_e32 v17, vcc, v15, v13, vcc
	s_cbranch_execz .LBB120_15
	s_branch .LBB120_16
.LBB120_14:                             ;   in Loop: Header=BB120_12 Depth=1
                                        ; implicit-def: $vgpr16_vgpr17
.LBB120_15:                             ;   in Loop: Header=BB120_12 Depth=1
	v_add_co_u32_e32 v16, vcc, -4, v0
	v_addc_co_u32_e32 v17, vcc, -1, v1, vcc
.LBB120_16:                             ;   in Loop: Header=BB120_12 Depth=1
	global_load_dword v15, v[16:17], off
	v_add_u32_e32 v16, 2, v14
	s_and_b64 vcc, exec, s[0:1]
	global_store_dword v[10:11], v16, off offset:8
	s_waitcnt vmcnt(1)
	global_store_dword v[8:9], v15, off offset:4
	v_pk_mov_b32 v[16:17], v[0:1], v[0:1] op_sel:[0,1]
	s_cbranch_vccnz .LBB120_18
; %bb.17:                               ;   in Loop: Header=BB120_12 Depth=1
	v_mov_b32_e32 v15, s11
	v_add_co_u32_e32 v16, vcc, s10, v12
	v_addc_co_u32_e32 v17, vcc, v15, v13, vcc
.LBB120_18:                             ;   in Loop: Header=BB120_12 Depth=1
	global_load_dword v15, v[16:17], off
	s_and_b64 vcc, exec, s[0:1]
	v_add_u32_e32 v14, 3, v14
	s_waitcnt vmcnt(0)
	global_store_dword v[8:9], v15, off offset:8
	global_store_dword v[10:11], v14, off offset:12
	s_cbranch_vccnz .LBB120_20
; %bb.19:                               ;   in Loop: Header=BB120_12 Depth=1
	v_mov_b32_e32 v11, s13
	v_add_co_u32_e32 v10, vcc, s12, v12
	v_addc_co_u32_e32 v11, vcc, v11, v13, vcc
	s_cbranch_execnz .LBB120_11
	s_branch .LBB120_21
.LBB120_20:                             ;   in Loop: Header=BB120_12 Depth=1
                                        ; implicit-def: $vgpr10_vgpr11
.LBB120_21:                             ;   in Loop: Header=BB120_12 Depth=1
	v_add_co_u32_e32 v10, vcc, 4, v0
	v_addc_co_u32_e32 v11, vcc, 0, v1, vcc
	s_branch .LBB120_11
.LBB120_22:
	s_endpgm
	.section	.rodata,"a",@progbits
	.p2align	6, 0x0
	.amdhsa_kernel _ZN9rocsparseL32bsr2csr_block_per_row_2_7_kernelILj256ELj4EfliEEv20rocsparse_direction_T3_S2_21rocsparse_index_base_PKT1_PKT2_PKS2_S2_S3_PS4_PS7_PS2_
		.amdhsa_group_segment_fixed_size 0
		.amdhsa_private_segment_fixed_size 0
		.amdhsa_kernarg_size 72
		.amdhsa_user_sgpr_count 6
		.amdhsa_user_sgpr_private_segment_buffer 1
		.amdhsa_user_sgpr_dispatch_ptr 0
		.amdhsa_user_sgpr_queue_ptr 0
		.amdhsa_user_sgpr_kernarg_segment_ptr 1
		.amdhsa_user_sgpr_dispatch_id 0
		.amdhsa_user_sgpr_flat_scratch_init 0
		.amdhsa_user_sgpr_kernarg_preload_length 0
		.amdhsa_user_sgpr_kernarg_preload_offset 0
		.amdhsa_user_sgpr_private_segment_size 0
		.amdhsa_uses_dynamic_stack 0
		.amdhsa_system_sgpr_private_segment_wavefront_offset 0
		.amdhsa_system_sgpr_workgroup_id_x 1
		.amdhsa_system_sgpr_workgroup_id_y 0
		.amdhsa_system_sgpr_workgroup_id_z 0
		.amdhsa_system_sgpr_workgroup_info 0
		.amdhsa_system_vgpr_workitem_id 0
		.amdhsa_next_free_vgpr 62
		.amdhsa_next_free_sgpr 44
		.amdhsa_accum_offset 64
		.amdhsa_reserve_vcc 1
		.amdhsa_reserve_flat_scratch 0
		.amdhsa_float_round_mode_32 0
		.amdhsa_float_round_mode_16_64 0
		.amdhsa_float_denorm_mode_32 3
		.amdhsa_float_denorm_mode_16_64 3
		.amdhsa_dx10_clamp 1
		.amdhsa_ieee_mode 1
		.amdhsa_fp16_overflow 0
		.amdhsa_tg_split 0
		.amdhsa_exception_fp_ieee_invalid_op 0
		.amdhsa_exception_fp_denorm_src 0
		.amdhsa_exception_fp_ieee_div_zero 0
		.amdhsa_exception_fp_ieee_overflow 0
		.amdhsa_exception_fp_ieee_underflow 0
		.amdhsa_exception_fp_ieee_inexact 0
		.amdhsa_exception_int_div_zero 0
	.end_amdhsa_kernel
	.section	.text._ZN9rocsparseL32bsr2csr_block_per_row_2_7_kernelILj256ELj4EfliEEv20rocsparse_direction_T3_S2_21rocsparse_index_base_PKT1_PKT2_PKS2_S2_S3_PS4_PS7_PS2_,"axG",@progbits,_ZN9rocsparseL32bsr2csr_block_per_row_2_7_kernelILj256ELj4EfliEEv20rocsparse_direction_T3_S2_21rocsparse_index_base_PKT1_PKT2_PKS2_S2_S3_PS4_PS7_PS2_,comdat
.Lfunc_end120:
	.size	_ZN9rocsparseL32bsr2csr_block_per_row_2_7_kernelILj256ELj4EfliEEv20rocsparse_direction_T3_S2_21rocsparse_index_base_PKT1_PKT2_PKS2_S2_S3_PS4_PS7_PS2_, .Lfunc_end120-_ZN9rocsparseL32bsr2csr_block_per_row_2_7_kernelILj256ELj4EfliEEv20rocsparse_direction_T3_S2_21rocsparse_index_base_PKT1_PKT2_PKS2_S2_S3_PS4_PS7_PS2_
                                        ; -- End function
	.section	.AMDGPU.csdata,"",@progbits
; Kernel info:
; codeLenInByte = 2780
; NumSgprs: 48
; NumVgprs: 62
; NumAgprs: 0
; TotalNumVgprs: 62
; ScratchSize: 0
; MemoryBound: 0
; FloatMode: 240
; IeeeMode: 1
; LDSByteSize: 0 bytes/workgroup (compile time only)
; SGPRBlocks: 5
; VGPRBlocks: 7
; NumSGPRsForWavesPerEU: 48
; NumVGPRsForWavesPerEU: 62
; AccumOffset: 64
; Occupancy: 8
; WaveLimiterHint : 1
; COMPUTE_PGM_RSRC2:SCRATCH_EN: 0
; COMPUTE_PGM_RSRC2:USER_SGPR: 6
; COMPUTE_PGM_RSRC2:TRAP_HANDLER: 0
; COMPUTE_PGM_RSRC2:TGID_X_EN: 1
; COMPUTE_PGM_RSRC2:TGID_Y_EN: 0
; COMPUTE_PGM_RSRC2:TGID_Z_EN: 0
; COMPUTE_PGM_RSRC2:TIDIG_COMP_CNT: 0
; COMPUTE_PGM_RSRC3_GFX90A:ACCUM_OFFSET: 15
; COMPUTE_PGM_RSRC3_GFX90A:TG_SPLIT: 0
	.section	.text._ZN9rocsparseL32bsr2csr_block_per_row_2_7_kernelILj256ELj5EfliEEv20rocsparse_direction_T3_S2_21rocsparse_index_base_PKT1_PKT2_PKS2_S2_S3_PS4_PS7_PS2_,"axG",@progbits,_ZN9rocsparseL32bsr2csr_block_per_row_2_7_kernelILj256ELj5EfliEEv20rocsparse_direction_T3_S2_21rocsparse_index_base_PKT1_PKT2_PKS2_S2_S3_PS4_PS7_PS2_,comdat
	.globl	_ZN9rocsparseL32bsr2csr_block_per_row_2_7_kernelILj256ELj5EfliEEv20rocsparse_direction_T3_S2_21rocsparse_index_base_PKT1_PKT2_PKS2_S2_S3_PS4_PS7_PS2_ ; -- Begin function _ZN9rocsparseL32bsr2csr_block_per_row_2_7_kernelILj256ELj5EfliEEv20rocsparse_direction_T3_S2_21rocsparse_index_base_PKT1_PKT2_PKS2_S2_S3_PS4_PS7_PS2_
	.p2align	8
	.type	_ZN9rocsparseL32bsr2csr_block_per_row_2_7_kernelILj256ELj5EfliEEv20rocsparse_direction_T3_S2_21rocsparse_index_base_PKT1_PKT2_PKS2_S2_S3_PS4_PS7_PS2_,@function
_ZN9rocsparseL32bsr2csr_block_per_row_2_7_kernelILj256ELj5EfliEEv20rocsparse_direction_T3_S2_21rocsparse_index_base_PKT1_PKT2_PKS2_S2_S3_PS4_PS7_PS2_: ; @_ZN9rocsparseL32bsr2csr_block_per_row_2_7_kernelILj256ELj5EfliEEv20rocsparse_direction_T3_S2_21rocsparse_index_base_PKT1_PKT2_PKS2_S2_S3_PS4_PS7_PS2_
; %bb.0:
	s_load_dwordx2 s[2:3], s[4:5], 0x18
	s_load_dword s31, s[4:5], 0x2c
	s_load_dwordx2 s[0:1], s[4:5], 0x38
	s_ashr_i32 s7, s6, 31
	s_lshl_b64 s[8:9], s[6:7], 3
	s_waitcnt lgkmcnt(0)
	s_add_u32 s2, s2, s8
	v_or_b32_e32 v1, s6, v0
	s_addc_u32 s3, s3, s9
	v_cmp_eq_u32_e32 vcc, 0, v1
	s_and_saveexec_b64 s[8:9], vcc
	s_cbranch_execz .LBB121_2
; %bb.1:
	v_mov_b32_e32 v2, s31
	v_mov_b32_e32 v3, 0
	global_store_dwordx2 v3, v[2:3], s[0:1]
.LBB121_2:
	s_or_b64 exec, exec, s[8:9]
	v_and_b32_e32 v32, 7, v0
	v_cmp_gt_u32_e32 vcc, 5, v32
	s_and_saveexec_b64 s[8:9], vcc
	s_cbranch_execz .LBB121_15
; %bb.3:
	s_load_dwordx4 s[12:15], s[2:3], 0x0
	s_load_dword s30, s[4:5], 0xc
	v_lshrrev_b32_e32 v2, 3, v0
	v_mov_b32_e32 v5, 0
	v_mov_b32_e32 v8, s1
	s_mov_b32 s2, 0
	s_waitcnt lgkmcnt(0)
	s_sub_u32 s35, s12, s30
	s_subb_u32 s36, s13, 0
	s_sub_u32 s14, s14, s30
	s_mul_i32 s3, s36, 25
	s_mul_hi_u32 s7, s35, 25
	s_subb_u32 s15, s15, 0
	s_add_i32 s7, s7, s3
	s_sub_u32 s34, s14, s35
	s_mul_i32 s3, s35, 25
	s_subb_u32 s33, s15, s36
	v_mov_b32_e32 v0, s3
	v_mov_b32_e32 v1, s7
	s_mul_i32 s3, s33, 5
	s_mul_hi_u32 s7, s34, 5
	s_add_i32 s3, s7, s3
	s_mul_i32 s7, s34, 5
	v_mad_u64_u32 v[6:7], s[8:9], s7, v32, v[0:1]
	s_add_u32 s8, s7, s31
	v_mul_lo_u32 v3, s3, v32
	s_addc_u32 s3, s3, 0
	v_mov_b32_e32 v1, s3
	s_mul_i32 s3, s6, 5
	v_add_u32_e32 v7, v3, v7
	v_add_co_u32_e32 v0, vcc, s8, v6
	v_add3_u32 v4, v32, s3, 1
	v_addc_co_u32_e32 v1, vcc, v1, v7, vcc
	v_lshlrev_b64 v[4:5], 3, v[4:5]
	v_add_co_u32_e32 v4, vcc, s0, v4
	v_addc_co_u32_e32 v5, vcc, v8, v5, vcc
	global_store_dwordx2 v[4:5], v[0:1], off
	v_mov_b32_e32 v1, s36
	v_add_co_u32_e32 v0, vcc, s35, v2
	v_addc_co_u32_e32 v1, vcc, 0, v1, vcc
	v_cmp_gt_i64_e32 vcc, s[14:15], v[0:1]
	s_and_b64 exec, exec, vcc
	s_cbranch_execz .LBB121_15
; %bb.4:
	v_mov_b32_e32 v4, s13
	v_add_co_u32_e32 v5, vcc, s12, v2
	v_addc_co_u32_e32 v4, vcc, 0, v4, vcc
	s_load_dwordx2 s[18:19], s[4:5], 0x20
	s_load_dwordx2 s[22:23], s[4:5], 0x30
	s_load_dword s0, s[4:5], 0x0
	s_load_dwordx2 s[16:17], s[4:5], 0x10
	s_load_dwordx2 s[20:21], s[4:5], 0x40
	v_mov_b32_e32 v8, s2
	v_subrev_co_u32_e32 v5, vcc, s30, v5
	v_subb_co_u32_e32 v8, vcc, v4, v8, vcc
	v_add_co_u32_e32 v4, vcc, 32, v5
	s_waitcnt lgkmcnt(0)
	s_cmp_eq_u32 s0, 0
	v_addc_co_u32_e32 v5, vcc, 0, v8, vcc
	s_cselect_b64 s[0:1], -1, 0
	v_mov_b32_e32 v8, s15
	v_cmp_lt_i64_e32 vcc, s[14:15], v[4:5]
	s_not_b64 s[2:3], s[12:13]
	v_cndmask_b32_e32 v5, v8, v5, vcc
	v_mov_b32_e32 v8, s14
	s_add_u32 s2, s2, s30
	v_cndmask_b32_e32 v4, v8, v4, vcc
	s_addc_u32 s3, s3, 0
	v_mov_b32_e32 v8, s3
	v_add_co_u32_e32 v4, vcc, s2, v4
	v_addc_co_u32_e32 v5, vcc, v8, v5, vcc
	v_sub_co_u32_e32 v4, vcc, v4, v2
	v_subbrev_co_u32_e32 v5, vcc, 0, v5, vcc
	s_mov_b64 s[2:3], 0x145f
	v_mul_u32_u24_e32 v33, 5, v32
	v_cmp_lt_u64_e32 vcc, s[2:3], v[4:5]
	s_mov_b64 s[2:3], 0
                                        ; implicit-def: $vgpr8_vgpr9
	s_and_saveexec_b64 s[4:5], vcc
	s_xor_b64 s[24:25], exec, s[4:5]
	s_cbranch_execnz .LBB121_7
; %bb.5:
	s_andn2_saveexec_b64 s[4:5], s[24:25]
	s_cbranch_execnz .LBB121_12
.LBB121_6:
	s_or_b64 exec, exec, s[4:5]
	s_and_b64 exec, exec, s[2:3]
	s_cbranch_execnz .LBB121_13
	s_branch .LBB121_15
.LBB121_7:
	v_mad_u64_u32 v[12:13], s[2:3], s34, v32, 0
	v_mov_b32_e32 v8, v13
	v_mad_u64_u32 v[10:11], s[2:3], s7, v32, 0
	v_mad_u64_u32 v[8:9], s[2:3], s33, v32, v[8:9]
	v_add_u32_e32 v11, v11, v3
	v_mul_lo_u32 v3, v8, 20
	v_mad_u64_u32 v[8:9], s[2:3], v12, 20, 0
	s_mul_i32 s2, s13, 0x64
	s_mul_hi_u32 s3, s12, 0x64
	s_add_i32 s3, s3, s2
	s_mul_i32 s2, s12, 0x64
	v_mov_b32_e32 v14, s2
	v_mov_b32_e32 v15, s3
	v_mad_u64_u32 v[12:13], s[2:3], v12, 20, v[14:15]
	v_add_u32_e32 v13, v3, v13
	v_mad_u64_u32 v[12:13], s[2:3], v2, 20, v[12:13]
	s_mul_hi_u32 s2, s30, 0x64
	s_mul_i32 s3, s30, 0x64
	v_add_u32_e32 v9, v9, v3
	v_mov_b32_e32 v3, s2
	v_subrev_co_u32_e32 v20, vcc, s3, v12
	v_subb_co_u32_e32 v21, vcc, v13, v3, vcc
	v_mov_b32_e32 v22, s21
	v_add_co_u32_e32 v3, vcc, s20, v20
	v_addc_co_u32_e32 v23, vcc, v22, v21, vcc
	s_movk_i32 s4, 0x280
	v_alignbit_b32 v16, v5, v4, 5
	v_add_co_u32_e32 v12, vcc, 12, v3
	v_lshrrev_b32_e32 v14, 5, v5
	v_mad_u64_u32 v[16:17], s[2:3], v16, s4, 0
	v_addc_co_u32_e32 v13, vcc, 0, v23, vcc
	v_mad_u64_u32 v[14:15], s[2:3], v14, s4, 0
	v_mov_b32_e32 v18, v17
	v_add_co_u32_e32 v18, vcc, v18, v14
	v_addc_co_u32_e32 v18, vcc, 0, v15, vcc
	v_mov_b32_e32 v19, 0
	v_cmp_ne_u64_e32 vcc, 0, v[18:19]
	v_add_u32_e32 v17, v17, v14
	v_add_co_u32_e64 v18, s[2:3], v3, v16
	v_addc_co_u32_e64 v19, s[2:3], v23, v17, s[2:3]
	v_add_co_u32_e64 v14, s[2:3], 12, v18
	v_addc_co_u32_e64 v15, s[2:3], 0, v19, s[2:3]
	v_cmp_lt_u64_e64 s[2:3], v[14:15], v[12:13]
	s_or_b64 s[4:5], s[2:3], vcc
	v_add_co_u32_e64 v12, s[2:3], 16, v3
	v_addc_co_u32_e64 v13, s[2:3], 0, v23, s[2:3]
	v_add_co_u32_e64 v14, s[2:3], 16, v18
	v_addc_co_u32_e64 v15, s[2:3], 0, v19, s[2:3]
	v_cmp_lt_u64_e64 s[2:3], v[14:15], v[12:13]
	s_or_b64 s[6:7], s[2:3], vcc
	;; [unrolled: 6-line block ×4, first 2 shown]
	v_mad_u64_u32 v[10:11], s[2:3], s12, 25, v[10:11]
	v_mov_b32_e32 v12, v11
	v_mad_u64_u32 v[12:13], s[2:3], s13, 25, v[12:13]
	v_mov_b32_e32 v11, v12
	v_mad_u64_u32 v[2:3], s[2:3], v2, 5, v[10:11]
	v_not_b32_e32 v10, 24
	v_mad_u64_u32 v[2:3], s[2:3], s30, v10, v[2:3]
	s_mul_i32 s2, s30, 0x3fffffff
	v_add_u32_e32 v3, s2, v3
	v_lshlrev_b64 v[2:3], 2, v[2:3]
	v_add_co_u32_e64 v10, s[2:3], s20, v2
	v_addc_co_u32_e64 v11, s[2:3], v22, v3, s[2:3]
	v_add_co_u32_e64 v12, s[2:3], v10, v16
	v_addc_co_u32_e64 v13, s[2:3], v11, v17, s[2:3]
	v_cmp_lt_u64_e64 s[2:3], v[12:13], v[10:11]
	s_or_b64 s[28:29], s[2:3], vcc
	v_mov_b32_e32 v14, s23
	v_add_co_u32_e64 v15, s[2:3], s22, v20
	v_addc_co_u32_e64 v18, s[2:3], v14, v21, s[2:3]
	v_add_co_u32_e64 v10, s[2:3], 12, v15
	v_addc_co_u32_e64 v11, s[2:3], 0, v18, s[2:3]
	;; [unrolled: 2-line block ×4, first 2 shown]
	v_cmp_lt_u64_e64 s[2:3], v[12:13], v[10:11]
	s_or_b64 s[38:39], s[2:3], vcc
	v_add_co_u32_e64 v10, s[2:3], 16, v15
	v_addc_co_u32_e64 v11, s[2:3], 0, v18, s[2:3]
	v_add_co_u32_e64 v12, s[2:3], 16, v19
	v_addc_co_u32_e64 v13, s[2:3], 0, v20, s[2:3]
	v_cmp_lt_u64_e64 s[2:3], v[12:13], v[10:11]
	s_or_b64 s[40:41], s[2:3], vcc
	v_add_co_u32_e64 v10, s[2:3], 8, v15
	v_addc_co_u32_e64 v11, s[2:3], 0, v18, s[2:3]
	v_add_co_u32_e64 v12, s[2:3], 8, v19
	v_addc_co_u32_e64 v13, s[2:3], 0, v20, s[2:3]
	;; [unrolled: 6-line block ×3, first 2 shown]
	s_or_b64 s[4:5], s[4:5], s[6:7]
	v_cmp_lt_u64_e64 s[2:3], v[12:13], v[10:11]
	s_or_b64 s[4:5], s[4:5], s[8:9]
	s_or_b64 s[44:45], s[2:3], vcc
	v_add_co_u32_e64 v2, s[2:3], s22, v2
	s_or_b64 s[4:5], s[4:5], s[10:11]
	v_addc_co_u32_e64 v3, s[2:3], v14, v3, s[2:3]
	s_or_b64 s[4:5], s[4:5], s[28:29]
	v_add_co_u32_e64 v10, s[2:3], v2, v16
	s_or_b64 s[4:5], s[4:5], s[38:39]
	v_addc_co_u32_e64 v11, s[2:3], v3, v17, s[2:3]
	s_or_b64 s[4:5], s[4:5], s[40:41]
	v_cmp_lt_u64_e64 s[2:3], v[10:11], v[2:3]
	s_or_b64 s[4:5], s[4:5], s[42:43]
	s_or_b64 s[2:3], s[2:3], vcc
	s_or_b64 s[4:5], s[4:5], s[44:45]
	s_or_b64 s[4:5], s[4:5], s[2:3]
	s_movk_i32 s37, 0x64
	s_mov_b64 s[26:27], 0
	s_mov_b64 s[2:3], -1
	s_xor_b64 s[4:5], s[4:5], -1
	s_and_saveexec_b64 s[28:29], s[4:5]
	s_cbranch_execz .LBB121_11
; %bb.8:
	v_lshrrev_b64 v[2:3], 5, v[4:5]
	v_lshlrev_b32_e32 v4, 2, v32
	v_mov_b32_e32 v5, s17
	v_add_co_u32_e32 v10, vcc, s16, v4
	v_addc_co_u32_e32 v11, vcc, 0, v5, vcc
	v_lshlrev_b32_e32 v4, 2, v33
	v_add_co_u32_e32 v14, vcc, s16, v4
	v_addc_co_u32_e32 v15, vcc, 0, v5, vcc
	v_add_co_u32_e32 v12, vcc, 1, v2
	v_addc_co_u32_e32 v13, vcc, 0, v3, vcc
	;; [unrolled: 2-line block ×3, first 2 shown]
	v_lshlrev_b64 v[4:5], 2, v[0:1]
	v_mov_b32_e32 v20, s19
	v_add_co_u32_e32 v4, vcc, s18, v4
	v_addc_co_u32_e32 v5, vcc, v5, v20, vcc
	s_movk_i32 s2, 0x80
	v_add_co_u32_e32 v20, vcc, s2, v4
	v_and_b32_e32 v16, -2, v12
	v_mov_b32_e32 v17, v13
	v_addc_co_u32_e32 v21, vcc, 0, v5, vcc
	v_pk_mov_b32 v[4:5], v[2:3], v[2:3] op_sel:[0,1]
	s_mov_b32 s38, s30
	s_mov_b32 s39, s35
	;; [unrolled: 1-line block ×3, first 2 shown]
	v_mov_b32_e32 v18, v6
	v_mov_b32_e32 v19, v7
	s_mov_b32 s41, s31
	s_movk_i32 s42, 0x50
	v_pk_mov_b32 v[22:23], v[16:17], v[16:17] op_sel:[0,1]
	v_pk_mov_b32 v[2:3], v[0:1], v[0:1] op_sel:[0,1]
.LBB121_9:                              ; =>This Inner Loop Header: Depth=1
	v_mad_u64_u32 v[28:29], s[2:3], v2, s37, v[10:11]
	v_mul_lo_u32 v35, v3, s37
	v_mad_u64_u32 v[26:27], s[2:3], v2, s37, v[14:15]
	v_mad_u64_u32 v[24:25], s[2:3], v4, s37, v[10:11]
	v_mul_lo_u32 v34, v5, s37
	v_mad_u64_u32 v[30:31], s[2:3], v4, s37, v[14:15]
	v_add_u32_e32 v29, v35, v29
	v_add_u32_e32 v27, v35, v27
	;; [unrolled: 1-line block ×4, first 2 shown]
	v_cndmask_b32_e64 v36, v28, v26, s[0:1]
	v_cndmask_b32_e64 v37, v29, v27, s[0:1]
	;; [unrolled: 1-line block ×4, first 2 shown]
	global_load_dword v46, v[36:37], off
	global_load_dword v47, v[34:35], off
	v_mov_b32_e32 v34, s36
	v_mov_b32_e32 v35, s40
	v_subrev_co_u32_e32 v36, vcc, s39, v4
	v_subrev_co_u32_e64 v37, s[2:3], s35, v2
	v_subb_co_u32_e64 v41, s[2:3], v3, v34, s[2:3]
	v_subb_co_u32_e32 v39, vcc, v5, v35, vcc
	v_mad_u64_u32 v[34:35], s[2:3], v36, 5, v[18:19]
	v_mad_u64_u32 v[36:37], s[2:3], v37, 5, v[6:7]
	v_add_co_u32_e32 v42, vcc, 4, v30
	v_add_co_u32_e64 v43, s[2:3], 20, v28
	v_add_co_u32_e64 v44, s[4:5], 20, v24
	v_mov_b32_e32 v40, v37
	v_add_co_u32_e64 v45, s[6:7], 4, v26
	v_addc_co_u32_e32 v37, vcc, 0, v31, vcc
	v_addc_co_u32_e64 v48, vcc, 0, v29, s[2:3]
	v_addc_co_u32_e64 v49, vcc, 0, v25, s[4:5]
	v_mad_u64_u32 v[40:41], s[2:3], v41, 5, v[40:41]
	v_mov_b32_e32 v38, v35
	v_cndmask_b32_e64 v42, v44, v42, s[0:1]
	v_cndmask_b32_e64 v44, v43, v45, s[0:1]
	;; [unrolled: 1-line block ×3, first 2 shown]
	v_mov_b32_e32 v37, v40
	v_addc_co_u32_e64 v35, s[6:7], 0, v27, s[6:7]
	v_mad_u64_u32 v[38:39], s[2:3], v39, 5, v[38:39]
	v_lshlrev_b64 v[36:37], 2, v[36:37]
	v_mov_b32_e32 v53, s23
	v_cndmask_b32_e64 v45, v48, v35, s[0:1]
	v_mov_b32_e32 v35, v38
	v_add_co_u32_e32 v38, vcc, s22, v36
	v_lshlrev_b64 v[34:35], 2, v[34:35]
	v_addc_co_u32_e32 v39, vcc, v53, v37, vcc
	v_add_co_u32_e32 v40, vcc, s22, v34
	v_addc_co_u32_e32 v41, vcc, v53, v35, vcc
	s_waitcnt vmcnt(1)
	global_store_dword v[38:39], v46, off
	s_waitcnt vmcnt(1)
	global_store_dword v[40:41], v47, off
	global_load_dword v46, v[44:45], off
	s_nop 0
	global_load_dword v47, v[42:43], off
	v_add_co_u32_e32 v38, vcc, 8, v30
	v_add_co_u32_e64 v39, s[2:3], 40, v28
	v_add_co_u32_e64 v40, s[4:5], 40, v24
	v_addc_co_u32_e32 v43, vcc, 0, v31, vcc
	v_addc_co_u32_e64 v44, vcc, 0, v29, s[2:3]
	v_addc_co_u32_e64 v45, vcc, 0, v25, s[4:5]
	v_add_co_u32_e32 v48, vcc, 4, v36
	v_addc_co_u32_e32 v49, vcc, 0, v37, vcc
	v_add_co_u32_e64 v41, s[6:7], 8, v26
	v_add_co_u32_e32 v50, vcc, 4, v34
	v_addc_co_u32_e64 v42, s[6:7], 0, v27, s[6:7]
	v_addc_co_u32_e32 v51, vcc, 0, v35, vcc
	v_cndmask_b32_e64 v38, v40, v38, s[0:1]
	v_cndmask_b32_e64 v40, v39, v41, s[0:1]
	;; [unrolled: 1-line block ×3, first 2 shown]
	v_add_co_u32_e32 v42, vcc, s22, v48
	v_cndmask_b32_e64 v39, v45, v43, s[0:1]
	v_addc_co_u32_e32 v43, vcc, v53, v49, vcc
	v_add_co_u32_e32 v44, vcc, s22, v50
	v_addc_co_u32_e32 v45, vcc, v53, v51, vcc
	s_waitcnt vmcnt(1)
	global_store_dword v[42:43], v46, off
	s_waitcnt vmcnt(1)
	global_store_dword v[44:45], v47, off
	global_load_dword v46, v[40:41], off
	s_nop 0
	global_load_dword v47, v[38:39], off
	v_add_co_u32_e32 v38, vcc, 12, v30
	v_add_co_u32_e64 v39, s[2:3], 60, v28
	v_add_co_u32_e64 v40, s[4:5], 60, v24
	v_addc_co_u32_e32 v43, vcc, 0, v31, vcc
	v_addc_co_u32_e64 v44, vcc, 0, v29, s[2:3]
	v_addc_co_u32_e64 v45, vcc, 0, v25, s[4:5]
	v_add_co_u32_e32 v52, vcc, 8, v36
	v_addc_co_u32_e32 v54, vcc, 0, v37, vcc
	v_add_co_u32_e64 v41, s[6:7], 12, v26
	v_add_co_u32_e32 v55, vcc, 8, v34
	v_addc_co_u32_e64 v42, s[6:7], 0, v27, s[6:7]
	v_addc_co_u32_e32 v56, vcc, 0, v35, vcc
	v_cndmask_b32_e64 v38, v40, v38, s[0:1]
	v_cndmask_b32_e64 v40, v39, v41, s[0:1]
	;; [unrolled: 1-line block ×3, first 2 shown]
	v_add_co_u32_e32 v42, vcc, s22, v52
	v_cndmask_b32_e64 v39, v45, v43, s[0:1]
	v_addc_co_u32_e32 v43, vcc, v53, v54, vcc
	v_add_co_u32_e32 v44, vcc, s22, v55
	v_addc_co_u32_e32 v45, vcc, v53, v56, vcc
	v_add_co_u32_e64 v2, s[2:3], 64, v2
	v_addc_co_u32_e64 v3, s[2:3], 0, v3, s[2:3]
	v_add_co_u32_e64 v30, s[6:7], 16, v30
	v_add_co_u32_e64 v28, s[8:9], s42, v28
	;; [unrolled: 1-line block ×4, first 2 shown]
	v_addc_co_u32_e64 v27, s[2:3], 0, v27, s[2:3]
	v_addc_co_u32_e64 v31, s[2:3], 0, v31, s[6:7]
	;; [unrolled: 1-line block ×4, first 2 shown]
	v_cndmask_b32_e64 v24, v24, v30, s[0:1]
	v_cndmask_b32_e64 v25, v25, v31, s[0:1]
	;; [unrolled: 1-line block ×4, first 2 shown]
	v_add_co_u32_e64 v22, s[4:5], -2, v22
	v_addc_co_u32_e64 v23, s[4:5], -1, v23, s[4:5]
	s_waitcnt vmcnt(1)
	global_store_dword v[42:43], v46, off
	s_waitcnt vmcnt(1)
	global_store_dword v[44:45], v47, off
	global_load_dword v44, v[40:41], off
	s_nop 0
	global_load_dword v45, v[38:39], off
	global_load_dword v57, v[20:21], off offset:-128
	global_load_dword v58, v[20:21], off
	v_add_co_u32_e64 v41, s[2:3], 12, v36
	v_addc_co_u32_e64 v46, s[2:3], 0, v37, s[2:3]
	v_add_co_u32_e64 v47, s[2:3], 12, v34
	v_addc_co_u32_e64 v59, s[2:3], 0, v35, s[2:3]
	v_add_co_u32_e64 v30, s[2:3], s22, v41
	v_addc_co_u32_e64 v31, s[2:3], v53, v46, s[2:3]
	v_add_co_u32_e64 v42, s[2:3], s22, v47
	v_addc_co_u32_e64 v43, s[2:3], v53, v59, s[2:3]
	v_add_co_u32_e32 v20, vcc, 0x100, v20
	v_addc_co_u32_e32 v21, vcc, 0, v21, vcc
	v_cmp_eq_u64_e32 vcc, 0, v[22:23]
	v_mov_b32_e32 v39, s21
	s_or_b64 s[26:27], vcc, s[26:27]
	v_add_co_u32_e32 v28, vcc, s20, v36
	v_addc_co_u32_e32 v29, vcc, v39, v37, vcc
	v_mov_b32_e32 v40, s31
	v_mov_b32_e32 v38, s41
	v_add_co_u32_e64 v4, s[4:5], 64, v4
	v_addc_co_u32_e64 v5, s[4:5], 0, v5, s[4:5]
	s_waitcnt vmcnt(3)
	global_store_dword v[30:31], v44, off
	s_waitcnt vmcnt(3)
	global_store_dword v[42:43], v45, off
	global_load_dword v60, v[26:27], off
	global_load_dword v61, v[24:25], off
	v_add_co_u32_e32 v24, vcc, s20, v34
	v_addc_co_u32_e32 v25, vcc, v39, v35, vcc
	v_add_co_u32_e32 v62, vcc, 16, v36
	v_addc_co_u32_e32 v63, vcc, 0, v37, vcc
	;; [unrolled: 2-line block ×11, first 2 shown]
	v_add_co_u32_e32 v50, vcc, s22, v62
	s_waitcnt vmcnt(5)
	v_subrev_u32_e32 v41, s30, v57
	v_addc_co_u32_e32 v51, vcc, v53, v63, vcc
	s_waitcnt vmcnt(4)
	v_subrev_u32_e32 v39, s38, v58
	v_mad_u64_u32 v[40:41], s[2:3], v41, 5, v[40:41]
	v_add_co_u32_e32 v52, vcc, s22, v64
	v_mad_u64_u32 v[38:39], s[2:3], v39, 5, v[38:39]
	global_store_dword v[28:29], v40, off
	global_store_dword v[24:25], v38, off
	v_add_u32_e32 v25, 1, v40
	v_addc_co_u32_e32 v53, vcc, v53, v65, vcc
	v_add_u32_e32 v24, 1, v38
	v_add_u32_e32 v28, 2, v38
	;; [unrolled: 1-line block ×7, first 2 shown]
	global_store_dword v[26:27], v25, off
	global_store_dword v[30:31], v24, off
	;; [unrolled: 1-line block ×8, first 2 shown]
	s_waitcnt vmcnt(11)
	global_store_dword v[50:51], v60, off
	s_waitcnt vmcnt(11)
	global_store_dword v[52:53], v61, off
	s_andn2_b64 exec, exec, s[26:27]
	s_cbranch_execnz .LBB121_9
; %bb.10:
	s_or_b64 exec, exec, s[26:27]
	v_lshlrev_b64 v[2:3], 5, v[16:17]
	v_add_co_u32_e32 v0, vcc, v0, v2
	v_addc_co_u32_e32 v1, vcc, v1, v3, vcc
	v_cmp_ne_u64_e32 vcc, v[12:13], v[16:17]
	s_orn2_b64 s[2:3], vcc, exec
.LBB121_11:
	s_or_b64 exec, exec, s[28:29]
	s_and_b64 s[2:3], s[2:3], exec
	s_andn2_saveexec_b64 s[4:5], s[24:25]
	s_cbranch_execz .LBB121_6
.LBB121_12:
	v_mad_u64_u32 v[2:3], s[6:7], s34, v32, 0
	v_mov_b32_e32 v4, v3
	v_mad_u64_u32 v[8:9], s[6:7], v2, 20, 0
	v_mad_u64_u32 v[4:5], s[6:7], s33, v32, v[4:5]
	v_mov_b32_e32 v2, v9
	v_mad_u64_u32 v[2:3], s[6:7], v4, 20, v[2:3]
	v_mov_b32_e32 v9, v2
	s_or_b64 s[2:3], s[2:3], exec
	s_or_b64 exec, exec, s[4:5]
	s_and_b64 exec, exec, s[2:3]
	s_cbranch_execz .LBB121_15
.LBB121_13:
	v_mov_b32_e32 v2, 0x50
	v_mad_u64_u32 v[2:3], s[2:3], s12, v2, v[8:9]
	s_mul_i32 s2, s13, 0x50
	v_add_u32_e32 v3, s2, v3
	v_mad_u64_u32 v[2:3], s[2:3], v0, 20, v[2:3]
	v_mov_b32_e32 v4, v3
	v_mad_u64_u32 v[4:5], s[2:3], v1, 20, v[4:5]
	s_mul_hi_u32 s2, s30, 0x50
	s_mul_i32 s3, s30, 0x50
	v_mov_b32_e32 v3, v4
	v_mov_b32_e32 v4, s2
	v_subrev_co_u32_e32 v5, vcc, s3, v2
	v_subb_co_u32_e32 v4, vcc, v3, v4, vcc
	v_mov_b32_e32 v2, s23
	v_add_co_u32_e32 v9, vcc, s22, v5
	v_addc_co_u32_e32 v11, vcc, v2, v4, vcc
	v_lshlrev_b64 v[2:3], 2, v[0:1]
	v_mov_b32_e32 v6, s19
	v_add_co_u32_e32 v2, vcc, s18, v2
	v_addc_co_u32_e32 v3, vcc, v6, v3, vcc
	v_mov_b32_e32 v6, s21
	v_add_co_u32_e32 v12, vcc, s20, v5
	v_addc_co_u32_e32 v13, vcc, v6, v4, vcc
	s_movk_i32 s4, 0x64
	v_pk_mov_b32 v[6:7], s[16:17], s[16:17] op_sel:[0,1]
	v_mad_u64_u32 v[6:7], s[2:3], v0, s4, v[6:7]
	v_mov_b32_e32 v8, v7
	v_mad_u64_u32 v[14:15], s[2:3], v1, s4, v[8:9]
	v_lshlrev_b32_e32 v4, 2, v33
	v_mov_b32_e32 v5, v14
	v_lshlrev_b32_e32 v8, 2, v32
	s_mov_b64 s[4:5], 0
	v_mov_b32_e32 v10, s31
	s_movk_i32 s8, 0x50
	s_mov_b64 s[6:7], 0
.LBB121_14:                             ; =>This Inner Loop Header: Depth=1
	v_add_co_u32_e32 v16, vcc, v6, v8
	v_addc_co_u32_e32 v17, vcc, 0, v5, vcc
	v_add_co_u32_e32 v18, vcc, v6, v4
	v_addc_co_u32_e32 v19, vcc, 0, v5, vcc
	;; [unrolled: 2-line block ×8, first 2 shown]
	global_load_dword v7, v[2:3], off
	v_add_co_u32_e32 v32, vcc, 16, v18
	v_addc_co_u32_e32 v33, vcc, 0, v19, vcc
	v_cndmask_b32_e64 v15, v17, v19, s[0:1]
	v_cndmask_b32_e64 v14, v16, v18, s[0:1]
	v_add_co_u32_e32 v16, vcc, s8, v16
	v_cndmask_b32_e64 v19, v23, v21, s[0:1]
	v_cndmask_b32_e64 v18, v22, v20, s[0:1]
	global_load_dword v14, v[14:15], off
	v_cndmask_b32_e64 v21, v27, v25, s[0:1]
	v_cndmask_b32_e64 v20, v26, v24, s[0:1]
	;; [unrolled: 1-line block ×4, first 2 shown]
	v_addc_co_u32_e32 v25, vcc, 0, v17, vcc
	v_cndmask_b32_e64 v24, v16, v32, s[0:1]
	global_load_dword v15, v[18:19], off
	global_load_dword v16, v[20:21], off
	;; [unrolled: 1-line block ×3, first 2 shown]
	v_cndmask_b32_e64 v25, v25, v33, s[0:1]
	global_load_dword v21, v[24:25], off
	v_add_co_u32_e64 v0, s[2:3], 32, v0
	v_mov_b32_e32 v18, s7
	v_add_co_u32_e32 v22, vcc, s6, v9
	v_addc_co_u32_e64 v1, s[2:3], 0, v1, s[2:3]
	v_add_co_u32_e64 v24, s[2:3], s6, v12
	v_addc_co_u32_e32 v23, vcc, v11, v18, vcc
	s_add_u32 s6, s6, 0x280
	v_addc_co_u32_e64 v25, s[2:3], v13, v18, s[2:3]
	v_add_co_u32_e32 v2, vcc, 0x80, v2
	s_addc_u32 s7, s7, 0
	v_cmp_le_i64_e64 s[2:3], s[14:15], v[0:1]
	v_addc_co_u32_e32 v3, vcc, 0, v3, vcc
	s_or_b64 s[4:5], s[2:3], s[4:5]
	v_add_co_u32_e32 v6, vcc, 0xc80, v6
	v_addc_co_u32_e32 v5, vcc, 0, v5, vcc
	s_waitcnt vmcnt(5)
	v_subrev_u32_e32 v7, s30, v7
	v_mad_u64_u32 v[18:19], s[2:3], v7, 5, v[10:11]
	v_add_u32_e32 v20, 2, v18
	v_add_u32_e32 v19, 1, v18
	v_add_u32_e32 v27, 4, v18
	v_add_u32_e32 v26, 3, v18
	global_store_dwordx3 v[24:25], v[18:20], off
	s_waitcnt vmcnt(2)
	global_store_dwordx4 v[22:23], v[14:17], off
	global_store_dwordx2 v[24:25], v[26:27], off offset:12
	s_waitcnt vmcnt(3)
	global_store_dword v[22:23], v21, off offset:16
	s_andn2_b64 exec, exec, s[4:5]
	s_cbranch_execnz .LBB121_14
.LBB121_15:
	s_endpgm
	.section	.rodata,"a",@progbits
	.p2align	6, 0x0
	.amdhsa_kernel _ZN9rocsparseL32bsr2csr_block_per_row_2_7_kernelILj256ELj5EfliEEv20rocsparse_direction_T3_S2_21rocsparse_index_base_PKT1_PKT2_PKS2_S2_S3_PS4_PS7_PS2_
		.amdhsa_group_segment_fixed_size 0
		.amdhsa_private_segment_fixed_size 0
		.amdhsa_kernarg_size 72
		.amdhsa_user_sgpr_count 6
		.amdhsa_user_sgpr_private_segment_buffer 1
		.amdhsa_user_sgpr_dispatch_ptr 0
		.amdhsa_user_sgpr_queue_ptr 0
		.amdhsa_user_sgpr_kernarg_segment_ptr 1
		.amdhsa_user_sgpr_dispatch_id 0
		.amdhsa_user_sgpr_flat_scratch_init 0
		.amdhsa_user_sgpr_kernarg_preload_length 0
		.amdhsa_user_sgpr_kernarg_preload_offset 0
		.amdhsa_user_sgpr_private_segment_size 0
		.amdhsa_uses_dynamic_stack 0
		.amdhsa_system_sgpr_private_segment_wavefront_offset 0
		.amdhsa_system_sgpr_workgroup_id_x 1
		.amdhsa_system_sgpr_workgroup_id_y 0
		.amdhsa_system_sgpr_workgroup_id_z 0
		.amdhsa_system_sgpr_workgroup_info 0
		.amdhsa_system_vgpr_workitem_id 0
		.amdhsa_next_free_vgpr 66
		.amdhsa_next_free_sgpr 46
		.amdhsa_accum_offset 68
		.amdhsa_reserve_vcc 1
		.amdhsa_reserve_flat_scratch 0
		.amdhsa_float_round_mode_32 0
		.amdhsa_float_round_mode_16_64 0
		.amdhsa_float_denorm_mode_32 3
		.amdhsa_float_denorm_mode_16_64 3
		.amdhsa_dx10_clamp 1
		.amdhsa_ieee_mode 1
		.amdhsa_fp16_overflow 0
		.amdhsa_tg_split 0
		.amdhsa_exception_fp_ieee_invalid_op 0
		.amdhsa_exception_fp_denorm_src 0
		.amdhsa_exception_fp_ieee_div_zero 0
		.amdhsa_exception_fp_ieee_overflow 0
		.amdhsa_exception_fp_ieee_underflow 0
		.amdhsa_exception_fp_ieee_inexact 0
		.amdhsa_exception_int_div_zero 0
	.end_amdhsa_kernel
	.section	.text._ZN9rocsparseL32bsr2csr_block_per_row_2_7_kernelILj256ELj5EfliEEv20rocsparse_direction_T3_S2_21rocsparse_index_base_PKT1_PKT2_PKS2_S2_S3_PS4_PS7_PS2_,"axG",@progbits,_ZN9rocsparseL32bsr2csr_block_per_row_2_7_kernelILj256ELj5EfliEEv20rocsparse_direction_T3_S2_21rocsparse_index_base_PKT1_PKT2_PKS2_S2_S3_PS4_PS7_PS2_,comdat
.Lfunc_end121:
	.size	_ZN9rocsparseL32bsr2csr_block_per_row_2_7_kernelILj256ELj5EfliEEv20rocsparse_direction_T3_S2_21rocsparse_index_base_PKT1_PKT2_PKS2_S2_S3_PS4_PS7_PS2_, .Lfunc_end121-_ZN9rocsparseL32bsr2csr_block_per_row_2_7_kernelILj256ELj5EfliEEv20rocsparse_direction_T3_S2_21rocsparse_index_base_PKT1_PKT2_PKS2_S2_S3_PS4_PS7_PS2_
                                        ; -- End function
	.section	.AMDGPU.csdata,"",@progbits
; Kernel info:
; codeLenInByte = 3388
; NumSgprs: 50
; NumVgprs: 66
; NumAgprs: 0
; TotalNumVgprs: 66
; ScratchSize: 0
; MemoryBound: 0
; FloatMode: 240
; IeeeMode: 1
; LDSByteSize: 0 bytes/workgroup (compile time only)
; SGPRBlocks: 6
; VGPRBlocks: 8
; NumSGPRsForWavesPerEU: 50
; NumVGPRsForWavesPerEU: 66
; AccumOffset: 68
; Occupancy: 7
; WaveLimiterHint : 1
; COMPUTE_PGM_RSRC2:SCRATCH_EN: 0
; COMPUTE_PGM_RSRC2:USER_SGPR: 6
; COMPUTE_PGM_RSRC2:TRAP_HANDLER: 0
; COMPUTE_PGM_RSRC2:TGID_X_EN: 1
; COMPUTE_PGM_RSRC2:TGID_Y_EN: 0
; COMPUTE_PGM_RSRC2:TGID_Z_EN: 0
; COMPUTE_PGM_RSRC2:TIDIG_COMP_CNT: 0
; COMPUTE_PGM_RSRC3_GFX90A:ACCUM_OFFSET: 16
; COMPUTE_PGM_RSRC3_GFX90A:TG_SPLIT: 0
	.section	.text._ZN9rocsparseL32bsr2csr_block_per_row_2_7_kernelILj256ELj6EfliEEv20rocsparse_direction_T3_S2_21rocsparse_index_base_PKT1_PKT2_PKS2_S2_S3_PS4_PS7_PS2_,"axG",@progbits,_ZN9rocsparseL32bsr2csr_block_per_row_2_7_kernelILj256ELj6EfliEEv20rocsparse_direction_T3_S2_21rocsparse_index_base_PKT1_PKT2_PKS2_S2_S3_PS4_PS7_PS2_,comdat
	.globl	_ZN9rocsparseL32bsr2csr_block_per_row_2_7_kernelILj256ELj6EfliEEv20rocsparse_direction_T3_S2_21rocsparse_index_base_PKT1_PKT2_PKS2_S2_S3_PS4_PS7_PS2_ ; -- Begin function _ZN9rocsparseL32bsr2csr_block_per_row_2_7_kernelILj256ELj6EfliEEv20rocsparse_direction_T3_S2_21rocsparse_index_base_PKT1_PKT2_PKS2_S2_S3_PS4_PS7_PS2_
	.p2align	8
	.type	_ZN9rocsparseL32bsr2csr_block_per_row_2_7_kernelILj256ELj6EfliEEv20rocsparse_direction_T3_S2_21rocsparse_index_base_PKT1_PKT2_PKS2_S2_S3_PS4_PS7_PS2_,@function
_ZN9rocsparseL32bsr2csr_block_per_row_2_7_kernelILj256ELj6EfliEEv20rocsparse_direction_T3_S2_21rocsparse_index_base_PKT1_PKT2_PKS2_S2_S3_PS4_PS7_PS2_: ; @_ZN9rocsparseL32bsr2csr_block_per_row_2_7_kernelILj256ELj6EfliEEv20rocsparse_direction_T3_S2_21rocsparse_index_base_PKT1_PKT2_PKS2_S2_S3_PS4_PS7_PS2_
; %bb.0:
	s_load_dwordx2 s[2:3], s[4:5], 0x18
	s_load_dword s34, s[4:5], 0x2c
	s_load_dwordx2 s[0:1], s[4:5], 0x38
	s_ashr_i32 s7, s6, 31
	s_lshl_b64 s[8:9], s[6:7], 3
	s_waitcnt lgkmcnt(0)
	s_add_u32 s2, s2, s8
	v_or_b32_e32 v1, s6, v0
	s_addc_u32 s3, s3, s9
	v_cmp_eq_u32_e32 vcc, 0, v1
	s_and_saveexec_b64 s[8:9], vcc
	s_cbranch_execz .LBB122_2
; %bb.1:
	v_mov_b32_e32 v2, s34
	v_mov_b32_e32 v3, 0
	global_store_dwordx2 v3, v[2:3], s[0:1]
.LBB122_2:
	s_or_b64 exec, exec, s[8:9]
	v_and_b32_e32 v36, 7, v0
	v_cmp_gt_u32_e32 vcc, 6, v36
	s_and_saveexec_b64 s[8:9], vcc
	s_cbranch_execz .LBB122_13
; %bb.3:
	s_load_dwordx4 s[12:15], s[2:3], 0x0
	s_load_dword s33, s[4:5], 0xc
	v_lshrrev_b32_e32 v2, 3, v0
	s_mul_i32 s6, s6, 6
	v_mov_b32_e32 v5, 0
	v_add3_u32 v4, v36, s6, 1
	s_waitcnt lgkmcnt(0)
	s_sub_u32 s35, s12, s33
	s_subb_u32 s36, s13, 0
	s_sub_u32 s14, s14, s33
	s_mul_i32 s2, s36, 36
	s_mul_hi_u32 s3, s35, 36
	s_subb_u32 s15, s15, 0
	s_add_i32 s3, s3, s2
	s_mul_i32 s2, s35, 36
	v_mov_b32_e32 v1, s3
	s_sub_u32 s3, s14, s35
	v_mov_b32_e32 v0, s2
	s_subb_u32 s2, s15, s36
	s_mul_i32 s8, s2, 6
	s_mul_hi_u32 s9, s3, 6
	s_add_i32 s9, s9, s8
	s_mul_i32 s8, s3, 6
	v_mad_u64_u32 v[6:7], s[10:11], s8, v36, v[0:1]
	s_add_u32 s10, s8, s34
	v_mul_lo_u32 v3, s9, v36
	s_addc_u32 s9, s9, 0
	v_add_u32_e32 v7, v3, v7
	v_mov_b32_e32 v1, s9
	v_add_co_u32_e32 v0, vcc, s10, v6
	v_addc_co_u32_e32 v1, vcc, v1, v7, vcc
	v_lshlrev_b64 v[4:5], 3, v[4:5]
	v_mov_b32_e32 v8, s1
	v_add_co_u32_e32 v4, vcc, s0, v4
	v_addc_co_u32_e32 v5, vcc, v8, v5, vcc
	global_store_dwordx2 v[4:5], v[0:1], off
	v_mov_b32_e32 v1, s36
	v_add_co_u32_e32 v0, vcc, s35, v2
	v_addc_co_u32_e32 v1, vcc, 0, v1, vcc
	s_mov_b32 s7, 0
	v_cmp_gt_i64_e32 vcc, s[14:15], v[0:1]
	s_and_b64 exec, exec, vcc
	s_cbranch_execz .LBB122_13
; %bb.4:
	v_mad_u64_u32 v[8:9], s[0:1], s8, v36, 0
	v_add_u32_e32 v9, v9, v3
	v_mov_b32_e32 v3, s13
	v_add_co_u32_e32 v4, vcc, s12, v2
	s_load_dwordx2 s[22:23], s[4:5], 0x20
	s_load_dwordx2 s[16:17], s[4:5], 0x30
	s_load_dwordx2 s[20:21], s[4:5], 0x10
	s_load_dword s6, s[4:5], 0x0
	s_load_dwordx2 s[18:19], s[4:5], 0x40
	v_addc_co_u32_e32 v3, vcc, 0, v3, vcc
	v_mov_b32_e32 v5, s7
	v_subrev_co_u32_e32 v4, vcc, s33, v4
	v_subb_co_u32_e32 v3, vcc, v3, v5, vcc
	v_add_co_u32_e32 v4, vcc, 32, v4
	s_waitcnt lgkmcnt(0)
	s_cmp_eq_u32 s6, 0
	v_addc_co_u32_e32 v5, vcc, 0, v3, vcc
	s_cselect_b64 s[0:1], -1, 0
	v_mov_b32_e32 v3, s15
	v_cmp_lt_i64_e32 vcc, s[14:15], v[4:5]
	s_not_b64 s[4:5], s[12:13]
	v_cndmask_b32_e32 v3, v3, v5, vcc
	v_mov_b32_e32 v5, s14
	s_add_u32 s4, s4, s33
	v_cndmask_b32_e32 v4, v5, v4, vcc
	s_addc_u32 s5, s5, 0
	v_mov_b32_e32 v5, s5
	v_add_co_u32_e32 v4, vcc, s4, v4
	v_addc_co_u32_e32 v3, vcc, v5, v3, vcc
	v_sub_co_u32_e32 v4, vcc, v4, v2
	v_subbrev_co_u32_e32 v5, vcc, 0, v3, vcc
	s_mov_b64 s[4:5], 0x17a0
	v_cmp_gt_u64_e64 s[24:25], s[4:5], v[4:5]
	s_mov_b64 s[4:5], 0x179f
	v_mul_u32_u24_e32 v37, 6, v36
	v_cmp_lt_u64_e32 vcc, s[4:5], v[4:5]
	s_and_saveexec_b64 s[26:27], vcc
	s_cbranch_execz .LBB122_10
; %bb.5:
	v_mad_u64_u32 v[10:11], s[4:5], s3, v36, 0
	v_mov_b32_e32 v12, v11
	v_mad_u64_u32 v[12:13], s[2:3], s2, v36, v[12:13]
	s_mul_i32 s2, s13, 0x90
	s_mul_hi_u32 s3, s12, 0x90
	s_add_i32 s3, s3, s2
	s_mul_i32 s2, s12, 0x90
	v_mov_b32_e32 v14, s2
	v_mov_b32_e32 v15, s3
	v_mad_u64_u32 v[10:11], s[2:3], v10, 24, v[14:15]
	v_mov_b32_e32 v14, v11
	v_mad_u64_u32 v[12:13], s[2:3], v12, 24, v[14:15]
	;; [unrolled: 2-line block ×3, first 2 shown]
	s_mul_hi_u32 s2, s33, 0x90
	s_mul_i32 s3, s33, 0x90
	v_mov_b32_e32 v3, s2
	v_subrev_co_u32_e32 v18, vcc, s3, v10
	v_subb_co_u32_e32 v19, vcc, v11, v3, vcc
	v_mov_b32_e32 v20, s19
	v_add_co_u32_e32 v3, vcc, s18, v18
	v_addc_co_u32_e32 v21, vcc, v20, v19, vcc
	s_movk_i32 s4, 0x300
	v_alignbit_b32 v14, v5, v4, 5
	v_add_co_u32_e32 v10, vcc, 16, v3
	v_lshrrev_b32_e32 v12, 5, v5
	v_mad_u64_u32 v[14:15], s[2:3], v14, s4, 0
	v_addc_co_u32_e32 v11, vcc, 0, v21, vcc
	v_mad_u64_u32 v[12:13], s[2:3], v12, s4, 0
	v_mov_b32_e32 v16, v15
	v_add_co_u32_e32 v16, vcc, v16, v12
	v_addc_co_u32_e32 v16, vcc, 0, v13, vcc
	v_mov_b32_e32 v17, 0
	v_cmp_ne_u64_e32 vcc, 0, v[16:17]
	v_add_u32_e32 v15, v15, v12
	v_add_co_u32_e64 v16, s[2:3], v3, v14
	v_addc_co_u32_e64 v17, s[2:3], v21, v15, s[2:3]
	v_add_co_u32_e64 v12, s[2:3], 16, v16
	v_addc_co_u32_e64 v13, s[2:3], 0, v17, s[2:3]
	v_cmp_lt_u64_e64 s[2:3], v[12:13], v[10:11]
	s_or_b64 s[4:5], s[2:3], vcc
	v_add_co_u32_e64 v10, s[2:3], 20, v3
	v_addc_co_u32_e64 v11, s[2:3], 0, v21, s[2:3]
	v_add_co_u32_e64 v12, s[2:3], 20, v16
	v_addc_co_u32_e64 v13, s[2:3], 0, v17, s[2:3]
	v_cmp_lt_u64_e64 s[2:3], v[12:13], v[10:11]
	s_or_b64 s[6:7], s[2:3], vcc
	;; [unrolled: 6-line block ×5, first 2 shown]
	v_mad_u64_u32 v[10:11], s[2:3], s12, 36, v[8:9]
	v_mov_b32_e32 v12, v11
	v_mad_u64_u32 v[12:13], s[2:3], s13, 36, v[12:13]
	v_mov_b32_e32 v11, v12
	v_mad_u64_u32 v[2:3], s[2:3], v2, 6, v[10:11]
	v_not_b32_e32 v10, 35
	v_mad_u64_u32 v[2:3], s[2:3], s33, v10, v[2:3]
	s_mul_i32 s2, s33, 0x3fffffff
	v_add_u32_e32 v3, s2, v3
	v_lshlrev_b64 v[2:3], 2, v[2:3]
	v_add_co_u32_e64 v10, s[2:3], s18, v2
	v_addc_co_u32_e64 v11, s[2:3], v20, v3, s[2:3]
	v_add_co_u32_e64 v12, s[2:3], v10, v14
	v_addc_co_u32_e64 v13, s[2:3], v11, v15, s[2:3]
	v_cmp_lt_u64_e64 s[2:3], v[12:13], v[10:11]
	s_or_b64 s[38:39], s[2:3], vcc
	v_mov_b32_e32 v16, s17
	v_add_co_u32_e64 v17, s[2:3], s16, v18
	v_addc_co_u32_e64 v18, s[2:3], v16, v19, s[2:3]
	v_add_co_u32_e64 v10, s[2:3], 16, v17
	v_addc_co_u32_e64 v11, s[2:3], 0, v18, s[2:3]
	;; [unrolled: 2-line block ×4, first 2 shown]
	v_cmp_lt_u64_e64 s[2:3], v[12:13], v[10:11]
	s_or_b64 s[40:41], s[2:3], vcc
	v_add_co_u32_e64 v10, s[2:3], 20, v17
	v_addc_co_u32_e64 v11, s[2:3], 0, v18, s[2:3]
	v_add_co_u32_e64 v12, s[2:3], 20, v19
	v_addc_co_u32_e64 v13, s[2:3], 0, v20, s[2:3]
	v_cmp_lt_u64_e64 s[2:3], v[12:13], v[10:11]
	s_or_b64 s[42:43], s[2:3], vcc
	v_add_co_u32_e64 v10, s[2:3], 12, v17
	v_addc_co_u32_e64 v11, s[2:3], 0, v18, s[2:3]
	v_add_co_u32_e64 v12, s[2:3], 12, v19
	v_addc_co_u32_e64 v13, s[2:3], 0, v20, s[2:3]
	;; [unrolled: 6-line block ×3, first 2 shown]
	v_cmp_lt_u64_e64 s[2:3], v[12:13], v[10:11]
	s_or_b64 s[46:47], s[2:3], vcc
	v_add_co_u32_e64 v10, s[2:3], 4, v17
	v_addc_co_u32_e64 v11, s[2:3], 0, v18, s[2:3]
	s_or_b64 s[4:5], s[4:5], s[6:7]
	v_add_co_u32_e64 v12, s[2:3], 4, v19
	s_or_b64 s[4:5], s[4:5], s[8:9]
	v_addc_co_u32_e64 v13, s[2:3], 0, v20, s[2:3]
	s_or_b64 s[4:5], s[4:5], s[10:11]
	v_cmp_lt_u64_e64 s[2:3], v[12:13], v[10:11]
	s_or_b64 s[4:5], s[4:5], s[30:31]
	s_or_b64 s[48:49], s[2:3], vcc
	v_add_co_u32_e64 v2, s[2:3], s16, v2
	s_or_b64 s[4:5], s[4:5], s[38:39]
	v_addc_co_u32_e64 v3, s[2:3], v16, v3, s[2:3]
	s_or_b64 s[4:5], s[4:5], s[40:41]
	v_add_co_u32_e64 v10, s[2:3], v2, v14
	s_or_b64 s[4:5], s[4:5], s[42:43]
	v_addc_co_u32_e64 v11, s[2:3], v3, v15, s[2:3]
	s_or_b64 s[4:5], s[4:5], s[44:45]
	v_cmp_lt_u64_e64 s[2:3], v[10:11], v[2:3]
	s_or_b64 s[4:5], s[4:5], s[46:47]
	s_or_b64 s[2:3], s[2:3], vcc
	s_or_b64 s[4:5], s[4:5], s[48:49]
	s_or_b64 s[4:5], s[4:5], s[2:3]
	s_movk_i32 s37, 0x90
	s_mov_b64 s[28:29], 0
	s_mov_b64 s[2:3], -1
	s_xor_b64 s[4:5], s[4:5], -1
	s_and_saveexec_b64 s[30:31], s[4:5]
	s_cbranch_execz .LBB122_9
; %bb.6:
	v_lshrrev_b64 v[2:3], 5, v[4:5]
	v_lshlrev_b32_e32 v4, 2, v36
	v_mov_b32_e32 v5, s21
	v_add_co_u32_e32 v10, vcc, s20, v4
	v_addc_co_u32_e32 v11, vcc, 0, v5, vcc
	v_lshlrev_b32_e32 v4, 2, v37
	v_add_co_u32_e32 v14, vcc, s20, v4
	v_addc_co_u32_e32 v15, vcc, 0, v5, vcc
	v_add_co_u32_e32 v12, vcc, 1, v2
	v_addc_co_u32_e32 v13, vcc, 0, v3, vcc
	;; [unrolled: 2-line block ×3, first 2 shown]
	v_lshlrev_b64 v[4:5], 2, v[0:1]
	v_mov_b32_e32 v20, s23
	v_add_co_u32_e32 v4, vcc, s22, v4
	v_addc_co_u32_e32 v5, vcc, v5, v20, vcc
	s_movk_i32 s2, 0x80
	v_add_co_u32_e32 v20, vcc, s2, v4
	v_and_b32_e32 v16, -2, v12
	v_mov_b32_e32 v17, v13
	v_addc_co_u32_e32 v21, vcc, 0, v5, vcc
	v_pk_mov_b32 v[4:5], v[2:3], v[2:3] op_sel:[0,1]
	s_mov_b32 s38, s33
	s_mov_b32 s39, s35
	;; [unrolled: 1-line block ×3, first 2 shown]
	v_mov_b32_e32 v18, v6
	v_mov_b32_e32 v19, v7
	s_mov_b32 s41, s34
	s_movk_i32 s42, 0x48
	s_movk_i32 s43, 0x60
	;; [unrolled: 1-line block ×3, first 2 shown]
	v_pk_mov_b32 v[22:23], v[16:17], v[16:17] op_sel:[0,1]
	v_pk_mov_b32 v[2:3], v[0:1], v[0:1] op_sel:[0,1]
.LBB122_7:                              ; =>This Inner Loop Header: Depth=1
	v_mad_u64_u32 v[24:25], s[2:3], v4, s37, v[10:11]
	v_mad_u64_u32 v[28:29], s[2:3], v2, s37, v[10:11]
	v_mul_lo_u32 v33, v3, s37
	v_mad_u64_u32 v[30:31], s[2:3], v4, s37, v[14:15]
	v_mad_u64_u32 v[26:27], s[2:3], v2, s37, v[14:15]
	v_mul_lo_u32 v32, v5, s37
	v_mov_b32_e32 v35, s36
	v_subrev_co_u32_e64 v40, s[2:3], s35, v2
	v_add_u32_e32 v29, v33, v29
	v_add_u32_e32 v27, v33, v27
	;; [unrolled: 1-line block ×4, first 2 shown]
	v_cndmask_b32_e64 v34, v28, v26, s[0:1]
	v_subb_co_u32_e64 v43, s[2:3], v3, v35, s[2:3]
	v_cndmask_b32_e64 v35, v29, v27, s[0:1]
	v_cndmask_b32_e64 v32, v24, v30, s[0:1]
	;; [unrolled: 1-line block ×3, first 2 shown]
	global_load_dword v56, v[34:35], off
	global_load_dword v57, v[32:33], off
	v_mov_b32_e32 v38, s40
	v_subrev_co_u32_e32 v39, vcc, s39, v4
	v_subb_co_u32_e32 v45, vcc, v5, v38, vcc
	v_mad_u64_u32 v[38:39], s[2:3], v39, 6, v[18:19]
	v_mad_u64_u32 v[40:41], s[2:3], v40, 6, v[6:7]
	v_add_co_u32_e32 v42, vcc, 4, v30
	v_add_co_u32_e64 v44, s[2:3], 24, v28
	v_add_co_u32_e64 v46, s[4:5], 24, v24
	;; [unrolled: 1-line block ×3, first 2 shown]
	v_mov_b32_e32 v34, v41
	v_addc_co_u32_e32 v35, vcc, 0, v31, vcc
	v_mov_b32_e32 v32, v39
	v_addc_co_u32_e64 v33, s[6:7], 0, v27, s[6:7]
	v_addc_co_u32_e64 v39, vcc, 0, v29, s[2:3]
	v_addc_co_u32_e64 v41, vcc, 0, v25, s[4:5]
	v_mad_u64_u32 v[48:49], s[2:3], v43, 6, v[34:35]
	v_cndmask_b32_e64 v42, v46, v42, s[0:1]
	v_cndmask_b32_e64 v44, v44, v47, s[0:1]
	v_mad_u64_u32 v[46:47], s[2:3], v45, 6, v[32:33]
	v_cndmask_b32_e64 v43, v41, v35, s[0:1]
	v_mov_b32_e32 v41, v48
	v_cndmask_b32_e64 v45, v39, v33, s[0:1]
	v_mov_b32_e32 v39, v46
	v_lshlrev_b64 v[32:33], 2, v[40:41]
	v_mov_b32_e32 v55, s17
	v_lshlrev_b64 v[34:35], 2, v[38:39]
	v_add_co_u32_e32 v50, vcc, s16, v32
	v_add_co_u32_e64 v52, s[2:3], s16, v34
	v_addc_co_u32_e32 v51, vcc, v55, v33, vcc
	v_addc_co_u32_e64 v53, vcc, v55, v35, s[2:3]
	v_add_co_u32_e64 v58, s[10:11], 48, v28
	v_add_co_u32_e64 v41, s[2:3], 8, v26
	;; [unrolled: 1-line block ×3, first 2 shown]
	v_add_co_u32_e32 v39, vcc, 48, v24
	v_or_b32_e32 v40, 1, v40
	v_or_b32_e32 v38, 1, v38
	v_addc_co_u32_e32 v49, vcc, 0, v25, vcc
	s_waitcnt vmcnt(1)
	global_store_dword v[50:51], v56, off
	s_waitcnt vmcnt(1)
	global_store_dword v[52:53], v57, off
	global_load_dword v50, v[44:45], off
	global_load_dword v51, v[42:43], off
	v_cndmask_b32_e64 v44, v58, v41, s[0:1]
	v_mov_b32_e32 v41, v48
	v_cndmask_b32_e64 v42, v39, v54, s[0:1]
	v_mov_b32_e32 v39, v46
	v_lshlrev_b64 v[40:41], 2, v[40:41]
	v_addc_co_u32_e64 v45, s[2:3], 0, v27, s[2:3]
	v_addc_co_u32_e64 v43, s[2:3], 0, v31, s[8:9]
	;; [unrolled: 1-line block ×3, first 2 shown]
	v_lshlrev_b64 v[38:39], 2, v[38:39]
	v_add_co_u32_e32 v46, vcc, s16, v40
	v_cndmask_b32_e64 v45, v47, v45, s[0:1]
	v_add_co_u32_e64 v48, s[2:3], s16, v38
	v_addc_co_u32_e32 v47, vcc, v55, v41, vcc
	v_cndmask_b32_e64 v43, v49, v43, s[0:1]
	v_addc_co_u32_e64 v49, vcc, v55, v39, s[2:3]
	v_add_co_u32_e64 v52, s[4:5], 12, v30
	v_add_co_u32_e64 v61, s[8:9], 20, v32
	s_waitcnt vmcnt(1)
	global_store_dword v[46:47], v50, off
	s_waitcnt vmcnt(1)
	global_store_dword v[48:49], v51, off
	global_load_dword v50, v[44:45], off
	s_nop 0
	global_load_dword v51, v[42:43], off
	v_add_co_u32_e32 v43, vcc, s42, v28
	v_add_co_u32_e64 v42, s[2:3], s42, v24
	v_addc_co_u32_e32 v47, vcc, 0, v29, vcc
	v_addc_co_u32_e64 v48, vcc, 0, v25, s[2:3]
	v_cndmask_b32_e64 v42, v42, v52, s[0:1]
	v_add_co_u32_e32 v52, vcc, 8, v32
	v_add_co_u32_e64 v53, s[2:3], 8, v34
	v_add_co_u32_e64 v44, s[6:7], 12, v26
	v_addc_co_u32_e64 v46, s[4:5], 0, v31, s[4:5]
	v_addc_co_u32_e32 v54, vcc, 0, v33, vcc
	v_addc_co_u32_e64 v56, vcc, 0, v35, s[2:3]
	v_addc_co_u32_e64 v45, s[6:7], 0, v27, s[6:7]
	v_cndmask_b32_e64 v44, v43, v44, s[0:1]
	v_cndmask_b32_e64 v43, v48, v46, s[0:1]
	v_add_co_u32_e32 v46, vcc, s16, v52
	v_cndmask_b32_e64 v45, v47, v45, s[0:1]
	v_add_co_u32_e64 v48, s[2:3], s16, v53
	v_addc_co_u32_e32 v47, vcc, v55, v54, vcc
	v_addc_co_u32_e64 v49, vcc, v55, v56, s[2:3]
	s_waitcnt vmcnt(1)
	global_store_dword v[46:47], v50, off
	s_waitcnt vmcnt(1)
	global_store_dword v[48:49], v51, off
	global_load_dword v48, v[44:45], off
	s_nop 0
	global_load_dword v49, v[42:43], off
	v_add_co_u32_e32 v42, vcc, 16, v30
	v_add_co_u32_e64 v43, s[2:3], s43, v28
	v_add_co_u32_e64 v44, s[4:5], s43, v24
	;; [unrolled: 1-line block ×3, first 2 shown]
	v_addc_co_u32_e64 v46, s[6:7], 0, v27, s[6:7]
	v_addc_co_u32_e32 v47, vcc, 0, v31, vcc
	v_addc_co_u32_e64 v50, vcc, 0, v29, s[2:3]
	v_addc_co_u32_e64 v51, vcc, 0, v25, s[4:5]
	v_cndmask_b32_e64 v42, v44, v42, s[0:1]
	v_cndmask_b32_e64 v44, v43, v45, s[0:1]
	v_cndmask_b32_e64 v43, v51, v47, s[0:1]
	v_cndmask_b32_e64 v45, v50, v46, s[0:1]
	v_add_co_u32_e32 v50, vcc, 12, v32
	v_add_co_u32_e64 v51, s[2:3], 12, v34
	v_addc_co_u32_e32 v57, vcc, 0, v33, vcc
	v_addc_co_u32_e64 v58, vcc, 0, v35, s[2:3]
	v_add_co_u32_e32 v46, vcc, s16, v50
	v_addc_co_u32_e32 v47, vcc, v55, v57, vcc
	v_add_co_u32_e64 v24, s[4:5], s44, v24
	v_add_co_u32_e64 v26, s[6:7], 20, v26
	v_addc_co_u32_e64 v27, s[6:7], 0, v27, s[6:7]
	v_add_co_u32_e64 v28, s[2:3], s44, v28
	v_add_co_u32_e64 v38, s[6:7], s18, v38
	v_cndmask_b32_e64 v26, v28, v26, s[0:1]
	s_waitcnt vmcnt(1)
	global_store_dword v[46:47], v48, off
	v_add_co_u32_e32 v46, vcc, s16, v51
	v_addc_co_u32_e32 v47, vcc, v55, v58, vcc
	s_waitcnt vmcnt(1)
	global_store_dword v[46:47], v49, off
	global_load_dword v46, v[44:45], off
	s_nop 0
	global_load_dword v47, v[42:43], off
	global_load_dword v59, v[20:21], off offset:-128
	global_load_dword v60, v[20:21], off
	v_add_co_u32_e32 v30, vcc, 20, v30
	v_addc_co_u32_e32 v31, vcc, 0, v31, vcc
	v_addc_co_u32_e64 v25, vcc, 0, v25, s[4:5]
	v_add_co_u32_e64 v48, s[4:5], 16, v32
	v_addc_co_u32_e64 v49, s[4:5], 0, v33, s[4:5]
	v_add_co_u32_e64 v44, s[4:5], s16, v48
	v_addc_co_u32_e64 v45, s[4:5], v55, v49, s[4:5]
	v_mov_b32_e32 v43, s19
	v_add_co_u32_e64 v40, s[4:5], s18, v40
	v_addc_co_u32_e64 v29, vcc, 0, v29, s[2:3]
	v_addc_co_u32_e64 v41, s[4:5], v43, v41, s[4:5]
	v_addc_co_u32_e64 v39, s[6:7], v43, v39, s[6:7]
	v_cndmask_b32_e64 v24, v24, v30, s[0:1]
	v_add_co_u32_e32 v28, vcc, s18, v32
	v_add_co_u32_e64 v30, s[2:3], s18, v34
	v_add_co_u32_e64 v62, s[6:7], 20, v34
	v_cndmask_b32_e64 v25, v25, v31, s[0:1]
	v_cndmask_b32_e64 v27, v29, v27, s[0:1]
	v_addc_co_u32_e32 v29, vcc, v43, v33, vcc
	v_addc_co_u32_e64 v31, vcc, v43, v35, s[2:3]
	v_addc_co_u32_e64 v64, vcc, 0, v33, s[8:9]
	;; [unrolled: 1-line block ×3, first 2 shown]
	v_mov_b32_e32 v42, s41
	s_waitcnt vmcnt(3)
	global_store_dword v[44:45], v46, off
	v_add_co_u32_e64 v45, s[4:5], 16, v34
	v_addc_co_u32_e64 v63, vcc, 0, v35, s[4:5]
	v_add_co_u32_e32 v32, vcc, s16, v45
	v_addc_co_u32_e32 v33, vcc, v55, v63, vcc
	s_waitcnt vmcnt(3)
	global_store_dword v[32:33], v47, off
	global_load_dword v66, v[26:27], off
	global_load_dword v67, v[24:25], off
	v_add_co_u32_e32 v32, vcc, s18, v52
	v_add_co_u32_e64 v34, s[2:3], s18, v53
	v_add_co_u32_e64 v44, s[4:5], s18, v50
	v_add_co_u32_e64 v26, s[6:7], s18, v51
	v_add_co_u32_e64 v24, s[8:9], s18, v48
	v_addc_co_u32_e32 v33, vcc, v43, v54, vcc
	v_add_co_u32_e32 v46, vcc, s18, v45
	v_addc_co_u32_e64 v35, s[2:3], v43, v56, s[2:3]
	v_addc_co_u32_e64 v45, s[2:3], v43, v57, s[4:5]
	;; [unrolled: 1-line block ×4, first 2 shown]
	v_add_co_u32_e64 v48, s[2:3], s18, v61
	v_add_co_u32_e64 v50, s[4:5], s18, v62
	v_addc_co_u32_e32 v47, vcc, v43, v63, vcc
	v_addc_co_u32_e64 v49, s[2:3], v43, v64, s[2:3]
	v_addc_co_u32_e64 v51, s[2:3], v43, v65, s[4:5]
	v_add_co_u32_e32 v52, vcc, s16, v61
	v_add_co_u32_e64 v54, s[2:3], s16, v62
	v_addc_co_u32_e32 v53, vcc, v55, v64, vcc
	v_addc_co_u32_e64 v55, vcc, v55, v65, s[2:3]
	v_add_co_u32_e32 v20, vcc, 0x100, v20
	v_add_co_u32_e64 v22, s[4:5], -2, v22
	v_mov_b32_e32 v56, s34
	v_add_co_u32_e64 v2, s[2:3], 64, v2
	v_addc_co_u32_e64 v23, s[4:5], -1, v23, s[4:5]
	v_addc_co_u32_e32 v21, vcc, 0, v21, vcc
	s_waitcnt vmcnt(5)
	v_subrev_u32_e32 v57, s33, v59
	v_add_co_u32_e64 v4, s[6:7], 64, v4
	v_addc_co_u32_e64 v3, s[2:3], 0, v3, s[2:3]
	v_cmp_eq_u64_e32 vcc, 0, v[22:23]
	s_waitcnt vmcnt(4)
	v_subrev_u32_e32 v43, s38, v60
	v_mad_u64_u32 v[56:57], s[2:3], v57, 6, v[56:57]
	v_addc_co_u32_e64 v5, s[4:5], 0, v5, s[6:7]
	s_or_b64 s[28:29], vcc, s[28:29]
	v_mad_u64_u32 v[42:43], s[2:3], v43, 6, v[42:43]
	global_store_dword v[28:29], v56, off
	global_store_dword v[30:31], v42, off
	v_add_u32_e32 v29, 1, v56
	v_add_u32_e32 v28, 1, v42
	v_add_u32_e32 v30, 2, v42
	v_add_u32_e32 v31, 2, v56
	v_add_u32_e32 v43, 3, v42
	v_add_u32_e32 v57, 3, v56
	v_add_u32_e32 v58, 4, v42
	v_add_u32_e32 v42, 5, v42
	v_add_u32_e32 v59, 4, v56
	v_add_u32_e32 v56, 5, v56
	global_store_dword v[40:41], v29, off
	global_store_dword v[38:39], v28, off
	;; [unrolled: 1-line block ×10, first 2 shown]
	s_waitcnt vmcnt(13)
	global_store_dword v[52:53], v66, off
	s_waitcnt vmcnt(13)
	global_store_dword v[54:55], v67, off
	s_andn2_b64 exec, exec, s[28:29]
	s_cbranch_execnz .LBB122_7
; %bb.8:
	s_or_b64 exec, exec, s[28:29]
	v_lshlrev_b64 v[2:3], 5, v[16:17]
	v_add_co_u32_e32 v0, vcc, v0, v2
	v_addc_co_u32_e32 v1, vcc, v1, v3, vcc
	v_cmp_ne_u64_e32 vcc, v[12:13], v[16:17]
	s_orn2_b64 s[2:3], vcc, exec
.LBB122_9:
	s_or_b64 exec, exec, s[30:31]
	s_andn2_b64 s[4:5], s[24:25], exec
	s_and_b64 s[2:3], s[2:3], exec
	s_or_b64 s[24:25], s[4:5], s[2:3]
.LBB122_10:
	s_or_b64 exec, exec, s[26:27]
	s_and_b64 exec, exec, s[24:25]
	s_cbranch_execz .LBB122_13
; %bb.11:
	s_movk_i32 s4, 0x90
	v_pk_mov_b32 v[6:7], s[20:21], s[20:21] op_sel:[0,1]
	v_mad_u64_u32 v[6:7], s[2:3], v0, s4, v[6:7]
	v_mov_b32_e32 v10, v7
	v_mad_u64_u32 v[10:11], s[2:3], v1, s4, v[10:11]
	v_mad_u64_u32 v[8:9], s[2:3], s12, 30, v[8:9]
	v_mov_b32_e32 v5, v10
	v_mov_b32_e32 v10, v9
	v_mad_u64_u32 v[10:11], s[2:3], s13, 30, v[10:11]
	v_mov_b32_e32 v9, v10
	v_mad_u64_u32 v[8:9], s[2:3], v0, 6, v[8:9]
	v_lshlrev_b64 v[2:3], 2, v[0:1]
	v_mov_b32_e32 v10, v9
	v_mov_b32_e32 v4, s23
	v_add_co_u32_e32 v2, vcc, s22, v2
	v_mad_u64_u32 v[10:11], s[2:3], v1, 6, v[10:11]
	v_addc_co_u32_e32 v3, vcc, v4, v3, vcc
	s_mul_hi_u32 s2, s33, 30
	s_mul_i32 s3, s33, 30
	v_mov_b32_e32 v7, v10
	v_mov_b32_e32 v9, s2
	v_subrev_co_u32_e32 v8, vcc, s3, v8
	v_subb_co_u32_e32 v9, vcc, v7, v9, vcc
	v_lshlrev_b64 v[10:11], 2, v[8:9]
	v_mov_b32_e32 v7, s17
	v_add_co_u32_e32 v8, vcc, s16, v10
	v_addc_co_u32_e32 v7, vcc, v11, v7, vcc
	v_add_co_u32_e32 v8, vcc, 16, v8
	v_addc_co_u32_e32 v9, vcc, 0, v7, vcc
	v_mov_b32_e32 v7, s19
	v_add_co_u32_e32 v10, vcc, s18, v10
	v_addc_co_u32_e32 v7, vcc, v11, v7, vcc
	v_add_co_u32_e32 v10, vcc, 12, v10
	v_lshlrev_b32_e32 v4, 2, v36
	v_addc_co_u32_e32 v11, vcc, 0, v7, vcc
	v_lshlrev_b32_e32 v12, 2, v37
	s_mov_b64 s[4:5], 0
	v_mov_b32_e32 v14, s34
	s_movk_i32 s6, 0x48
	s_movk_i32 s7, 0x60
	;; [unrolled: 1-line block ×5, first 2 shown]
.LBB122_12:                             ; =>This Inner Loop Header: Depth=1
	v_add_co_u32_e32 v13, vcc, v6, v4
	v_addc_co_u32_e32 v15, vcc, 0, v5, vcc
	v_add_co_u32_e32 v18, vcc, v6, v12
	v_addc_co_u32_e32 v19, vcc, 0, v5, vcc
	;; [unrolled: 2-line block ×10, first 2 shown]
	v_cndmask_b32_e64 v16, v13, v18, s[0:1]
	v_add_co_u32_e32 v18, vcc, 20, v18
	global_load_dword v7, v[2:3], off
	v_cndmask_b32_e64 v17, v15, v19, s[0:1]
	v_addc_co_u32_e32 v19, vcc, 0, v19, vcc
	v_add_co_u32_e32 v13, vcc, s8, v13
	v_addc_co_u32_e32 v15, vcc, 0, v15, vcc
	v_cndmask_b32_e64 v21, v23, v21, s[0:1]
	v_cndmask_b32_e64 v20, v22, v20, s[0:1]
	global_load_dword v16, v[16:17], off
	v_cndmask_b32_e64 v23, v27, v25, s[0:1]
	v_cndmask_b32_e64 v22, v26, v24, s[0:1]
	;; [unrolled: 1-line block ×8, first 2 shown]
	global_load_dword v17, v[20:21], off
	global_load_dword v18, v[22:23], off
	;; [unrolled: 1-line block ×5, first 2 shown]
	v_add_co_u32_e32 v0, vcc, 32, v0
	v_addc_co_u32_e32 v1, vcc, 0, v1, vcc
	v_add_co_u32_e32 v2, vcc, s9, v2
	v_addc_co_u32_e32 v3, vcc, 0, v3, vcc
	v_cmp_le_i64_e64 s[2:3], s[14:15], v[0:1]
	v_add_co_u32_e32 v6, vcc, s10, v6
	s_or_b64 s[4:5], s[2:3], s[4:5]
	v_addc_co_u32_e32 v5, vcc, 0, v5, vcc
	s_waitcnt vmcnt(6)
	v_subrev_u32_e32 v7, s33, v7
	v_mad_u64_u32 v[20:21], s[2:3], v7, 6, v[14:15]
	v_add_u32_e32 v22, 2, v20
	v_add_u32_e32 v21, 1, v20
	;; [unrolled: 1-line block ×5, first 2 shown]
	global_store_dwordx3 v[10:11], v[20:22], off offset:-12
	s_waitcnt vmcnt(3)
	global_store_dwordx4 v[8:9], v[16:19], off offset:-16
	global_store_dwordx3 v[10:11], v[24:26], off
	s_waitcnt vmcnt(3)
	global_store_dwordx2 v[8:9], v[30:31], off
	v_add_co_u32_e32 v8, vcc, 0x300, v8
	v_addc_co_u32_e32 v9, vcc, 0, v9, vcc
	v_add_co_u32_e32 v10, vcc, 0x300, v10
	v_addc_co_u32_e32 v11, vcc, 0, v11, vcc
	s_andn2_b64 exec, exec, s[4:5]
	s_cbranch_execnz .LBB122_12
.LBB122_13:
	s_endpgm
	.section	.rodata,"a",@progbits
	.p2align	6, 0x0
	.amdhsa_kernel _ZN9rocsparseL32bsr2csr_block_per_row_2_7_kernelILj256ELj6EfliEEv20rocsparse_direction_T3_S2_21rocsparse_index_base_PKT1_PKT2_PKS2_S2_S3_PS4_PS7_PS2_
		.amdhsa_group_segment_fixed_size 0
		.amdhsa_private_segment_fixed_size 0
		.amdhsa_kernarg_size 72
		.amdhsa_user_sgpr_count 6
		.amdhsa_user_sgpr_private_segment_buffer 1
		.amdhsa_user_sgpr_dispatch_ptr 0
		.amdhsa_user_sgpr_queue_ptr 0
		.amdhsa_user_sgpr_kernarg_segment_ptr 1
		.amdhsa_user_sgpr_dispatch_id 0
		.amdhsa_user_sgpr_flat_scratch_init 0
		.amdhsa_user_sgpr_kernarg_preload_length 0
		.amdhsa_user_sgpr_kernarg_preload_offset 0
		.amdhsa_user_sgpr_private_segment_size 0
		.amdhsa_uses_dynamic_stack 0
		.amdhsa_system_sgpr_private_segment_wavefront_offset 0
		.amdhsa_system_sgpr_workgroup_id_x 1
		.amdhsa_system_sgpr_workgroup_id_y 0
		.amdhsa_system_sgpr_workgroup_id_z 0
		.amdhsa_system_sgpr_workgroup_info 0
		.amdhsa_system_vgpr_workitem_id 0
		.amdhsa_next_free_vgpr 68
		.amdhsa_next_free_sgpr 50
		.amdhsa_accum_offset 68
		.amdhsa_reserve_vcc 1
		.amdhsa_reserve_flat_scratch 0
		.amdhsa_float_round_mode_32 0
		.amdhsa_float_round_mode_16_64 0
		.amdhsa_float_denorm_mode_32 3
		.amdhsa_float_denorm_mode_16_64 3
		.amdhsa_dx10_clamp 1
		.amdhsa_ieee_mode 1
		.amdhsa_fp16_overflow 0
		.amdhsa_tg_split 0
		.amdhsa_exception_fp_ieee_invalid_op 0
		.amdhsa_exception_fp_denorm_src 0
		.amdhsa_exception_fp_ieee_div_zero 0
		.amdhsa_exception_fp_ieee_overflow 0
		.amdhsa_exception_fp_ieee_underflow 0
		.amdhsa_exception_fp_ieee_inexact 0
		.amdhsa_exception_int_div_zero 0
	.end_amdhsa_kernel
	.section	.text._ZN9rocsparseL32bsr2csr_block_per_row_2_7_kernelILj256ELj6EfliEEv20rocsparse_direction_T3_S2_21rocsparse_index_base_PKT1_PKT2_PKS2_S2_S3_PS4_PS7_PS2_,"axG",@progbits,_ZN9rocsparseL32bsr2csr_block_per_row_2_7_kernelILj256ELj6EfliEEv20rocsparse_direction_T3_S2_21rocsparse_index_base_PKT1_PKT2_PKS2_S2_S3_PS4_PS7_PS2_,comdat
.Lfunc_end122:
	.size	_ZN9rocsparseL32bsr2csr_block_per_row_2_7_kernelILj256ELj6EfliEEv20rocsparse_direction_T3_S2_21rocsparse_index_base_PKT1_PKT2_PKS2_S2_S3_PS4_PS7_PS2_, .Lfunc_end122-_ZN9rocsparseL32bsr2csr_block_per_row_2_7_kernelILj256ELj6EfliEEv20rocsparse_direction_T3_S2_21rocsparse_index_base_PKT1_PKT2_PKS2_S2_S3_PS4_PS7_PS2_
                                        ; -- End function
	.section	.AMDGPU.csdata,"",@progbits
; Kernel info:
; codeLenInByte = 3792
; NumSgprs: 54
; NumVgprs: 68
; NumAgprs: 0
; TotalNumVgprs: 68
; ScratchSize: 0
; MemoryBound: 0
; FloatMode: 240
; IeeeMode: 1
; LDSByteSize: 0 bytes/workgroup (compile time only)
; SGPRBlocks: 6
; VGPRBlocks: 8
; NumSGPRsForWavesPerEU: 54
; NumVGPRsForWavesPerEU: 68
; AccumOffset: 68
; Occupancy: 7
; WaveLimiterHint : 1
; COMPUTE_PGM_RSRC2:SCRATCH_EN: 0
; COMPUTE_PGM_RSRC2:USER_SGPR: 6
; COMPUTE_PGM_RSRC2:TRAP_HANDLER: 0
; COMPUTE_PGM_RSRC2:TGID_X_EN: 1
; COMPUTE_PGM_RSRC2:TGID_Y_EN: 0
; COMPUTE_PGM_RSRC2:TGID_Z_EN: 0
; COMPUTE_PGM_RSRC2:TIDIG_COMP_CNT: 0
; COMPUTE_PGM_RSRC3_GFX90A:ACCUM_OFFSET: 16
; COMPUTE_PGM_RSRC3_GFX90A:TG_SPLIT: 0
	.section	.text._ZN9rocsparseL32bsr2csr_block_per_row_2_7_kernelILj256ELj7EfliEEv20rocsparse_direction_T3_S2_21rocsparse_index_base_PKT1_PKT2_PKS2_S2_S3_PS4_PS7_PS2_,"axG",@progbits,_ZN9rocsparseL32bsr2csr_block_per_row_2_7_kernelILj256ELj7EfliEEv20rocsparse_direction_T3_S2_21rocsparse_index_base_PKT1_PKT2_PKS2_S2_S3_PS4_PS7_PS2_,comdat
	.globl	_ZN9rocsparseL32bsr2csr_block_per_row_2_7_kernelILj256ELj7EfliEEv20rocsparse_direction_T3_S2_21rocsparse_index_base_PKT1_PKT2_PKS2_S2_S3_PS4_PS7_PS2_ ; -- Begin function _ZN9rocsparseL32bsr2csr_block_per_row_2_7_kernelILj256ELj7EfliEEv20rocsparse_direction_T3_S2_21rocsparse_index_base_PKT1_PKT2_PKS2_S2_S3_PS4_PS7_PS2_
	.p2align	8
	.type	_ZN9rocsparseL32bsr2csr_block_per_row_2_7_kernelILj256ELj7EfliEEv20rocsparse_direction_T3_S2_21rocsparse_index_base_PKT1_PKT2_PKS2_S2_S3_PS4_PS7_PS2_,@function
_ZN9rocsparseL32bsr2csr_block_per_row_2_7_kernelILj256ELj7EfliEEv20rocsparse_direction_T3_S2_21rocsparse_index_base_PKT1_PKT2_PKS2_S2_S3_PS4_PS7_PS2_: ; @_ZN9rocsparseL32bsr2csr_block_per_row_2_7_kernelILj256ELj7EfliEEv20rocsparse_direction_T3_S2_21rocsparse_index_base_PKT1_PKT2_PKS2_S2_S3_PS4_PS7_PS2_
; %bb.0:
	s_load_dwordx2 s[2:3], s[4:5], 0x18
	s_load_dword s34, s[4:5], 0x2c
	s_load_dwordx2 s[0:1], s[4:5], 0x38
	s_ashr_i32 s7, s6, 31
	s_lshl_b64 s[8:9], s[6:7], 3
	s_waitcnt lgkmcnt(0)
	s_add_u32 s2, s2, s8
	v_or_b32_e32 v1, s6, v0
	s_addc_u32 s3, s3, s9
	v_cmp_eq_u32_e32 vcc, 0, v1
	s_and_saveexec_b64 s[8:9], vcc
	s_cbranch_execz .LBB123_2
; %bb.1:
	v_mov_b32_e32 v2, s34
	v_mov_b32_e32 v3, 0
	global_store_dwordx2 v3, v[2:3], s[0:1]
.LBB123_2:
	s_or_b64 exec, exec, s[8:9]
	v_and_b32_e32 v37, 7, v0
	v_cmp_ne_u32_e32 vcc, 7, v37
	s_and_saveexec_b64 s[8:9], vcc
	s_cbranch_execz .LBB123_15
; %bb.3:
	s_load_dwordx4 s[12:15], s[2:3], 0x0
	s_load_dword s33, s[4:5], 0xc
	v_lshrrev_b32_e32 v4, 3, v0
	v_mov_b32_e32 v3, 0
	v_mov_b32_e32 v8, s1
	s_mov_b32 s2, 0
	s_waitcnt lgkmcnt(0)
	s_sub_u32 s37, s12, s33
	s_subb_u32 s38, s13, 0
	s_sub_u32 s14, s14, s33
	s_mul_i32 s3, s38, 49
	s_mul_hi_u32 s7, s37, 49
	s_subb_u32 s15, s15, 0
	s_add_i32 s7, s7, s3
	s_sub_u32 s36, s14, s37
	s_mul_i32 s3, s37, 49
	s_subb_u32 s35, s15, s38
	v_mov_b32_e32 v0, s3
	v_mov_b32_e32 v1, s7
	s_mul_i32 s3, s35, 7
	s_mul_hi_u32 s7, s36, 7
	s_add_i32 s3, s7, s3
	s_mul_i32 s7, s36, 7
	v_mad_u64_u32 v[6:7], s[8:9], s7, v37, v[0:1]
	s_add_u32 s8, s7, s34
	v_mul_lo_u32 v5, s3, v37
	s_addc_u32 s3, s3, 0
	v_mov_b32_e32 v1, s3
	s_mul_i32 s3, s6, 7
	v_add_u32_e32 v7, v5, v7
	v_add_co_u32_e32 v0, vcc, s8, v6
	v_add3_u32 v2, v37, s3, 1
	v_addc_co_u32_e32 v1, vcc, v1, v7, vcc
	v_lshlrev_b64 v[2:3], 3, v[2:3]
	v_add_co_u32_e32 v2, vcc, s0, v2
	v_addc_co_u32_e32 v3, vcc, v8, v3, vcc
	global_store_dwordx2 v[2:3], v[0:1], off
	v_mov_b32_e32 v1, s38
	v_add_co_u32_e32 v0, vcc, s37, v4
	v_addc_co_u32_e32 v1, vcc, 0, v1, vcc
	v_cmp_gt_i64_e32 vcc, s[14:15], v[0:1]
	s_and_b64 exec, exec, vcc
	s_cbranch_execz .LBB123_15
; %bb.4:
	v_mov_b32_e32 v2, s13
	v_add_co_u32_e32 v3, vcc, s12, v4
	v_addc_co_u32_e32 v2, vcc, 0, v2, vcc
	s_load_dwordx2 s[18:19], s[4:5], 0x20
	s_load_dwordx2 s[22:23], s[4:5], 0x30
	s_load_dword s0, s[4:5], 0x0
	s_load_dwordx2 s[20:21], s[4:5], 0x10
	s_load_dwordx2 s[16:17], s[4:5], 0x40
	v_mov_b32_e32 v8, s2
	v_subrev_co_u32_e32 v3, vcc, s33, v3
	v_subb_co_u32_e32 v8, vcc, v2, v8, vcc
	v_add_co_u32_e32 v2, vcc, 32, v3
	s_waitcnt lgkmcnt(0)
	s_cmp_eq_u32 s0, 0
	v_addc_co_u32_e32 v3, vcc, 0, v8, vcc
	s_cselect_b64 s[0:1], -1, 0
	v_mov_b32_e32 v8, s15
	v_cmp_lt_i64_e32 vcc, s[14:15], v[2:3]
	s_not_b64 s[2:3], s[12:13]
	v_cndmask_b32_e32 v3, v8, v3, vcc
	v_mov_b32_e32 v8, s14
	s_add_u32 s2, s2, s33
	v_cndmask_b32_e32 v2, v8, v2, vcc
	s_addc_u32 s3, s3, 0
	v_mov_b32_e32 v8, s3
	v_add_co_u32_e32 v2, vcc, s2, v2
	v_addc_co_u32_e32 v3, vcc, v8, v3, vcc
	v_sub_co_u32_e32 v2, vcc, v2, v4
	v_subbrev_co_u32_e32 v3, vcc, 0, v3, vcc
	s_mov_b64 s[2:3], 0x1a9f
	v_mul_u32_u24_e32 v39, 7, v37
	v_cmp_lt_u64_e32 vcc, s[2:3], v[2:3]
	s_mov_b64 s[2:3], 0
                                        ; implicit-def: $vgpr8_vgpr9
	s_and_saveexec_b64 s[4:5], vcc
	s_xor_b64 s[24:25], exec, s[4:5]
	s_cbranch_execnz .LBB123_7
; %bb.5:
	s_andn2_saveexec_b64 s[4:5], s[24:25]
	s_cbranch_execnz .LBB123_12
.LBB123_6:
	s_or_b64 exec, exec, s[4:5]
	s_and_b64 exec, exec, s[2:3]
	s_cbranch_execnz .LBB123_13
	s_branch .LBB123_15
.LBB123_7:
	v_mad_u64_u32 v[12:13], s[2:3], s36, v37, 0
	v_mov_b32_e32 v8, v13
	v_mad_u64_u32 v[10:11], s[2:3], s7, v37, 0
	v_mad_u64_u32 v[8:9], s[2:3], s35, v37, v[8:9]
	v_add_u32_e32 v11, v11, v5
	v_mul_lo_u32 v5, v8, 28
	v_mad_u64_u32 v[8:9], s[2:3], v12, 28, 0
	s_mul_i32 s2, s13, 0xc4
	s_mul_hi_u32 s3, s12, 0xc4
	s_add_i32 s3, s3, s2
	s_mul_i32 s2, s12, 0xc4
	v_mov_b32_e32 v14, s2
	v_mov_b32_e32 v15, s3
	v_mad_u64_u32 v[12:13], s[2:3], v12, 28, v[14:15]
	v_add_u32_e32 v13, v5, v13
	v_mad_u64_u32 v[12:13], s[2:3], v4, 28, v[12:13]
	s_mul_hi_u32 s2, s33, 0xc4
	s_mul_i32 s3, s33, 0xc4
	v_add_u32_e32 v9, v9, v5
	v_mov_b32_e32 v5, s2
	v_subrev_co_u32_e32 v20, vcc, s3, v12
	v_subb_co_u32_e32 v21, vcc, v13, v5, vcc
	v_mov_b32_e32 v22, s17
	v_add_co_u32_e32 v5, vcc, s16, v20
	v_addc_co_u32_e32 v23, vcc, v22, v21, vcc
	s_movk_i32 s4, 0x380
	v_alignbit_b32 v16, v3, v2, 5
	v_add_co_u32_e32 v12, vcc, 20, v5
	v_lshrrev_b32_e32 v14, 5, v3
	v_mad_u64_u32 v[16:17], s[2:3], v16, s4, 0
	v_addc_co_u32_e32 v13, vcc, 0, v23, vcc
	v_mad_u64_u32 v[14:15], s[2:3], v14, s4, 0
	v_mov_b32_e32 v18, v17
	v_add_co_u32_e32 v18, vcc, v18, v14
	v_addc_co_u32_e32 v18, vcc, 0, v15, vcc
	v_mov_b32_e32 v19, 0
	v_cmp_ne_u64_e32 vcc, 0, v[18:19]
	v_add_u32_e32 v17, v17, v14
	v_add_co_u32_e64 v18, s[2:3], v5, v16
	v_addc_co_u32_e64 v19, s[2:3], v23, v17, s[2:3]
	v_add_co_u32_e64 v14, s[2:3], 20, v18
	v_addc_co_u32_e64 v15, s[2:3], 0, v19, s[2:3]
	v_cmp_lt_u64_e64 s[2:3], v[14:15], v[12:13]
	s_or_b64 s[4:5], s[2:3], vcc
	v_add_co_u32_e64 v12, s[2:3], 24, v5
	v_addc_co_u32_e64 v13, s[2:3], 0, v23, s[2:3]
	v_add_co_u32_e64 v14, s[2:3], 24, v18
	v_addc_co_u32_e64 v15, s[2:3], 0, v19, s[2:3]
	v_cmp_lt_u64_e64 s[2:3], v[14:15], v[12:13]
	s_or_b64 s[6:7], s[2:3], vcc
	;; [unrolled: 6-line block ×6, first 2 shown]
	v_mad_u64_u32 v[10:11], s[2:3], s12, 49, v[10:11]
	v_mov_b32_e32 v12, v11
	v_mad_u64_u32 v[12:13], s[2:3], s13, 49, v[12:13]
	v_mov_b32_e32 v11, v12
	v_mad_u64_u32 v[4:5], s[2:3], v4, 7, v[10:11]
	v_not_b32_e32 v10, 48
	v_mad_u64_u32 v[4:5], s[2:3], s33, v10, v[4:5]
	s_mul_i32 s2, s33, 0x3fffffff
	v_add_u32_e32 v5, s2, v5
	v_lshlrev_b64 v[4:5], 2, v[4:5]
	v_add_co_u32_e64 v10, s[2:3], s16, v4
	v_addc_co_u32_e64 v11, s[2:3], v22, v5, s[2:3]
	v_add_co_u32_e64 v12, s[2:3], v10, v16
	v_addc_co_u32_e64 v13, s[2:3], v11, v17, s[2:3]
	v_cmp_lt_u64_e64 s[2:3], v[12:13], v[10:11]
	s_or_b64 s[40:41], s[2:3], vcc
	v_mov_b32_e32 v14, s23
	v_add_co_u32_e64 v15, s[2:3], s22, v20
	v_addc_co_u32_e64 v18, s[2:3], v14, v21, s[2:3]
	v_add_co_u32_e64 v10, s[2:3], 20, v15
	v_addc_co_u32_e64 v11, s[2:3], 0, v18, s[2:3]
	;; [unrolled: 2-line block ×4, first 2 shown]
	v_cmp_lt_u64_e64 s[2:3], v[12:13], v[10:11]
	s_or_b64 s[42:43], s[2:3], vcc
	v_add_co_u32_e64 v10, s[2:3], 24, v15
	v_addc_co_u32_e64 v11, s[2:3], 0, v18, s[2:3]
	v_add_co_u32_e64 v12, s[2:3], 24, v19
	v_addc_co_u32_e64 v13, s[2:3], 0, v20, s[2:3]
	v_cmp_lt_u64_e64 s[2:3], v[12:13], v[10:11]
	s_or_b64 s[44:45], s[2:3], vcc
	v_add_co_u32_e64 v10, s[2:3], 16, v15
	v_addc_co_u32_e64 v11, s[2:3], 0, v18, s[2:3]
	v_add_co_u32_e64 v12, s[2:3], 16, v19
	v_addc_co_u32_e64 v13, s[2:3], 0, v20, s[2:3]
	v_cmp_lt_u64_e64 s[2:3], v[12:13], v[10:11]
	s_or_b64 s[46:47], s[2:3], vcc
	v_add_co_u32_e64 v10, s[2:3], 12, v15
	v_addc_co_u32_e64 v11, s[2:3], 0, v18, s[2:3]
	v_add_co_u32_e64 v12, s[2:3], 12, v19
	v_addc_co_u32_e64 v13, s[2:3], 0, v20, s[2:3]
	v_cmp_lt_u64_e64 s[2:3], v[12:13], v[10:11]
	s_or_b64 s[48:49], s[2:3], vcc
	v_add_co_u32_e64 v10, s[2:3], 8, v15
	v_addc_co_u32_e64 v11, s[2:3], 0, v18, s[2:3]
	v_add_co_u32_e64 v12, s[2:3], 8, v19
	v_addc_co_u32_e64 v13, s[2:3], 0, v20, s[2:3]
	v_cmp_lt_u64_e64 s[2:3], v[12:13], v[10:11]
	s_or_b64 s[4:5], s[4:5], s[6:7]
	s_or_b64 s[50:51], s[2:3], vcc
	v_add_co_u32_e64 v10, s[2:3], 4, v15
	s_or_b64 s[4:5], s[4:5], s[8:9]
	v_addc_co_u32_e64 v11, s[2:3], 0, v18, s[2:3]
	s_or_b64 s[4:5], s[4:5], s[10:11]
	v_add_co_u32_e64 v12, s[2:3], 4, v19
	s_or_b64 s[4:5], s[4:5], s[28:29]
	v_addc_co_u32_e64 v13, s[2:3], 0, v20, s[2:3]
	s_or_b64 s[4:5], s[4:5], s[30:31]
	v_cmp_lt_u64_e64 s[2:3], v[12:13], v[10:11]
	s_or_b64 s[4:5], s[4:5], s[40:41]
	s_or_b64 s[52:53], s[2:3], vcc
	v_add_co_u32_e64 v4, s[2:3], s22, v4
	s_or_b64 s[4:5], s[4:5], s[42:43]
	v_addc_co_u32_e64 v5, s[2:3], v14, v5, s[2:3]
	s_or_b64 s[4:5], s[4:5], s[44:45]
	v_add_co_u32_e64 v10, s[2:3], v4, v16
	s_or_b64 s[4:5], s[4:5], s[46:47]
	v_addc_co_u32_e64 v11, s[2:3], v5, v17, s[2:3]
	s_or_b64 s[4:5], s[4:5], s[48:49]
	v_cmp_lt_u64_e64 s[2:3], v[10:11], v[4:5]
	s_or_b64 s[4:5], s[4:5], s[50:51]
	s_or_b64 s[2:3], s[2:3], vcc
	s_or_b64 s[4:5], s[4:5], s[52:53]
	s_or_b64 s[4:5], s[4:5], s[2:3]
	s_movk_i32 s39, 0xc4
	s_mov_b64 s[26:27], 0
	s_mov_b64 s[2:3], -1
	s_xor_b64 s[4:5], s[4:5], -1
	s_and_saveexec_b64 s[28:29], s[4:5]
	s_cbranch_execz .LBB123_11
; %bb.8:
	v_lshlrev_b32_e32 v4, 2, v37
	v_mov_b32_e32 v5, s21
	v_add_co_u32_e32 v10, vcc, s20, v4
	v_addc_co_u32_e32 v11, vcc, 0, v5, vcc
	v_lshlrev_b32_e32 v4, 2, v39
	v_add_co_u32_e32 v14, vcc, s20, v4
	v_lshrrev_b64 v[2:3], 5, v[2:3]
	v_addc_co_u32_e32 v15, vcc, 0, v5, vcc
	v_add_co_u32_e32 v12, vcc, 1, v2
	v_addc_co_u32_e32 v13, vcc, 0, v3, vcc
	v_add_co_u32_e32 v2, vcc, 32, v0
	v_addc_co_u32_e32 v3, vcc, 0, v1, vcc
	v_lshlrev_b64 v[4:5], 2, v[0:1]
	v_mov_b32_e32 v20, s19
	v_add_co_u32_e32 v4, vcc, s18, v4
	v_addc_co_u32_e32 v5, vcc, v5, v20, vcc
	s_movk_i32 s2, 0x80
	v_add_co_u32_e32 v20, vcc, s2, v4
	v_and_b32_e32 v16, -2, v12
	v_mov_b32_e32 v17, v13
	v_addc_co_u32_e32 v21, vcc, 0, v5, vcc
	v_pk_mov_b32 v[4:5], v[2:3], v[2:3] op_sel:[0,1]
	s_mov_b32 s30, s33
	s_mov_b32 s31, s37
	s_mov_b32 s40, s38
	v_mov_b32_e32 v18, v6
	v_mov_b32_e32 v19, v7
	s_mov_b32 s41, s34
	s_movk_i32 s42, 0x54
	s_movk_i32 s43, 0x70
	;; [unrolled: 1-line block ×4, first 2 shown]
	v_pk_mov_b32 v[22:23], v[16:17], v[16:17] op_sel:[0,1]
	v_pk_mov_b32 v[2:3], v[0:1], v[0:1] op_sel:[0,1]
.LBB123_9:                              ; =>This Inner Loop Header: Depth=1
	v_mad_u64_u32 v[32:33], s[2:3], v2, s39, v[10:11]
	v_mul_lo_u32 v29, v3, s39
	v_mad_u64_u32 v[24:25], s[2:3], v2, s39, v[14:15]
	v_mad_u64_u32 v[26:27], s[2:3], v4, s39, v[10:11]
	v_mul_lo_u32 v28, v5, s39
	v_mad_u64_u32 v[34:35], s[2:3], v4, s39, v[14:15]
	v_add_u32_e32 v33, v29, v33
	v_add_u32_e32 v40, v29, v25
	;; [unrolled: 1-line block ×4, first 2 shown]
	v_cndmask_b32_e64 v30, v32, v24, s[0:1]
	v_cndmask_b32_e64 v31, v33, v40, s[0:1]
	;; [unrolled: 1-line block ×4, first 2 shown]
	global_load_dword v41, v[30:31], off
	global_load_dword v50, v[28:29], off
	v_mov_b32_e32 v28, s38
	v_mov_b32_e32 v29, s40
	v_subrev_co_u32_e32 v30, vcc, s31, v4
	v_subrev_co_u32_e64 v31, s[2:3], s37, v2
	v_subb_co_u32_e64 v43, s[2:3], v3, v28, s[2:3]
	v_subb_co_u32_e32 v45, vcc, v5, v29, vcc
	v_mad_u64_u32 v[28:29], s[2:3], v30, 7, v[18:19]
	v_mad_u64_u32 v[30:31], s[2:3], v31, 7, v[6:7]
	v_add_co_u32_e32 v42, vcc, 4, v34
	v_add_co_u32_e64 v44, s[2:3], 28, v32
	v_add_co_u32_e64 v46, s[4:5], 28, v26
	v_mov_b32_e32 v38, v31
	v_addc_co_u32_e32 v31, vcc, 0, v35, vcc
	v_addc_co_u32_e64 v51, vcc, 0, v33, s[2:3]
	v_addc_co_u32_e64 v52, vcc, 0, v27, s[4:5]
	v_mad_u64_u32 v[48:49], s[2:3], v43, 7, v[38:39]
	v_add_co_u32_e64 v47, s[6:7], 4, v24
	v_mov_b32_e32 v36, v29
	v_cndmask_b32_e64 v43, v52, v31, s[0:1]
	v_mov_b32_e32 v31, v48
	v_addc_co_u32_e64 v29, s[6:7], 0, v40, s[6:7]
	v_cndmask_b32_e64 v42, v46, v42, s[0:1]
	v_cndmask_b32_e64 v44, v44, v47, s[0:1]
	v_mad_u64_u32 v[46:47], s[2:3], v45, 7, v[36:37]
	v_lshlrev_b64 v[30:31], 2, v[30:31]
	v_mov_b32_e32 v25, s23
	v_cndmask_b32_e64 v45, v51, v29, s[0:1]
	v_mov_b32_e32 v29, v46
	v_add_co_u32_e32 v46, vcc, s22, v30
	v_lshlrev_b64 v[28:29], 2, v[28:29]
	v_addc_co_u32_e32 v47, vcc, v25, v31, vcc
	v_add_co_u32_e32 v48, vcc, s22, v28
	v_addc_co_u32_e32 v49, vcc, v25, v29, vcc
	v_mov_b32_e32 v65, s17
	s_waitcnt vmcnt(1)
	global_store_dword v[46:47], v41, off
	s_waitcnt vmcnt(1)
	global_store_dword v[48:49], v50, off
	global_load_dword v36, v[44:45], off
	global_load_dword v38, v[42:43], off
	v_add_co_u32_e32 v41, vcc, 8, v34
	v_add_co_u32_e64 v42, s[2:3], 56, v32
	v_add_co_u32_e64 v43, s[4:5], 56, v26
	v_addc_co_u32_e32 v47, vcc, 0, v35, vcc
	v_addc_co_u32_e64 v49, vcc, 0, v33, s[2:3]
	v_addc_co_u32_e64 v50, vcc, 0, v27, s[4:5]
	v_add_co_u32_e64 v44, s[6:7], 8, v24
	v_cndmask_b32_e64 v46, v43, v41, s[0:1]
	v_add_co_u32_e32 v41, vcc, 4, v30
	v_cndmask_b32_e64 v48, v42, v44, s[0:1]
	v_addc_co_u32_e32 v42, vcc, 0, v31, vcc
	v_add_co_u32_e32 v43, vcc, 4, v28
	v_addc_co_u32_e32 v44, vcc, 0, v29, vcc
	v_cndmask_b32_e64 v47, v50, v47, s[0:1]
	v_add_co_u32_e32 v50, vcc, s22, v41
	v_addc_co_u32_e32 v51, vcc, v25, v42, vcc
	v_addc_co_u32_e64 v45, s[6:7], 0, v40, s[6:7]
	v_add_co_u32_e32 v52, vcc, s22, v43
	v_cndmask_b32_e64 v49, v49, v45, s[0:1]
	v_addc_co_u32_e32 v53, vcc, v25, v44, vcc
	v_add_co_u32_e32 v45, vcc, 12, v34
	s_waitcnt vmcnt(1)
	global_store_dword v[50:51], v36, off
	s_waitcnt vmcnt(1)
	global_store_dword v[52:53], v38, off
	global_load_dword v36, v[48:49], off
	s_nop 0
	global_load_dword v38, v[46:47], off
	v_add_co_u32_e64 v47, s[2:3], s42, v32
	v_add_co_u32_e64 v46, s[4:5], s42, v26
	v_addc_co_u32_e32 v50, vcc, 0, v35, vcc
	v_addc_co_u32_e64 v51, vcc, 0, v33, s[2:3]
	v_addc_co_u32_e64 v52, vcc, 0, v27, s[4:5]
	v_cndmask_b32_e64 v46, v46, v45, s[0:1]
	v_add_co_u32_e32 v45, vcc, 8, v30
	v_addc_co_u32_e32 v54, vcc, 0, v31, vcc
	v_add_co_u32_e32 v55, vcc, 8, v28
	v_add_co_u32_e64 v48, s[6:7], 12, v24
	v_addc_co_u32_e32 v56, vcc, 0, v29, vcc
	v_addc_co_u32_e64 v49, s[6:7], 0, v40, s[6:7]
	v_cndmask_b32_e64 v48, v47, v48, s[0:1]
	v_cndmask_b32_e64 v47, v52, v50, s[0:1]
	v_add_co_u32_e32 v50, vcc, s22, v45
	v_cndmask_b32_e64 v49, v51, v49, s[0:1]
	v_addc_co_u32_e32 v51, vcc, v25, v54, vcc
	v_add_co_u32_e32 v52, vcc, s22, v55
	v_addc_co_u32_e32 v53, vcc, v25, v56, vcc
	s_waitcnt vmcnt(1)
	global_store_dword v[50:51], v36, off
	s_waitcnt vmcnt(1)
	global_store_dword v[52:53], v38, off
	global_load_dword v36, v[48:49], off
	s_nop 0
	global_load_dword v38, v[46:47], off
	v_add_co_u32_e32 v46, vcc, 16, v34
	v_add_co_u32_e64 v47, s[2:3], s43, v32
	v_add_co_u32_e64 v48, s[4:5], s43, v26
	v_addc_co_u32_e32 v51, vcc, 0, v35, vcc
	v_addc_co_u32_e64 v52, vcc, 0, v33, s[2:3]
	v_addc_co_u32_e64 v53, vcc, 0, v27, s[4:5]
	v_add_co_u32_e32 v57, vcc, 12, v30
	v_addc_co_u32_e32 v58, vcc, 0, v31, vcc
	v_add_co_u32_e64 v49, s[6:7], 16, v24
	v_add_co_u32_e32 v59, vcc, 12, v28
	v_addc_co_u32_e64 v50, s[6:7], 0, v40, s[6:7]
	v_addc_co_u32_e32 v60, vcc, 0, v29, vcc
	v_cndmask_b32_e64 v46, v48, v46, s[0:1]
	v_cndmask_b32_e64 v48, v47, v49, s[0:1]
	;; [unrolled: 1-line block ×3, first 2 shown]
	v_add_co_u32_e32 v50, vcc, s22, v57
	v_cndmask_b32_e64 v47, v53, v51, s[0:1]
	v_addc_co_u32_e32 v51, vcc, v25, v58, vcc
	v_add_co_u32_e32 v52, vcc, s22, v59
	v_addc_co_u32_e32 v53, vcc, v25, v60, vcc
	v_add_co_u32_e64 v2, s[2:3], 64, v2
	v_addc_co_u32_e64 v3, s[2:3], 0, v3, s[2:3]
	s_waitcnt vmcnt(1)
	global_store_dword v[50:51], v36, off
	s_waitcnt vmcnt(1)
	global_store_dword v[52:53], v38, off
	global_load_dword v61, v[48:49], off
	global_load_dword v62, v[46:47], off
	global_load_dword v63, v[20:21], off offset:-128
	global_load_dword v64, v[20:21], off
	v_add_co_u32_e64 v46, s[4:5], 20, v34
	v_add_co_u32_e64 v47, s[6:7], s44, v32
	;; [unrolled: 1-line block ×3, first 2 shown]
	v_addc_co_u32_e64 v51, s[4:5], 0, v35, s[4:5]
	v_addc_co_u32_e64 v52, s[4:5], 0, v33, s[6:7]
	;; [unrolled: 1-line block ×3, first 2 shown]
	v_add_co_u32_e64 v66, s[4:5], 16, v30
	v_addc_co_u32_e64 v67, s[4:5], 0, v31, s[4:5]
	v_add_co_u32_e64 v49, s[10:11], 20, v24
	v_add_co_u32_e64 v68, s[4:5], 16, v28
	v_addc_co_u32_e64 v50, s[10:11], 0, v40, s[10:11]
	v_addc_co_u32_e64 v69, s[4:5], 0, v29, s[4:5]
	v_cndmask_b32_e64 v46, v48, v46, s[0:1]
	v_cndmask_b32_e64 v48, v47, v49, s[0:1]
	;; [unrolled: 1-line block ×3, first 2 shown]
	v_add_co_u32_e64 v50, s[4:5], s22, v66
	v_cndmask_b32_e64 v47, v53, v51, s[0:1]
	v_addc_co_u32_e64 v51, s[4:5], v25, v67, s[4:5]
	v_add_co_u32_e64 v52, s[4:5], s22, v68
	v_addc_co_u32_e64 v53, s[4:5], v25, v69, s[4:5]
	v_add_co_u32_e32 v20, vcc, 0x100, v20
	v_add_co_u32_e64 v22, s[4:5], -2, v22
	v_addc_co_u32_e64 v23, s[4:5], -1, v23, s[4:5]
	v_addc_co_u32_e32 v21, vcc, 0, v21, vcc
	v_add_co_u32_e64 v34, s[6:7], 24, v34
	v_add_co_u32_e64 v26, s[10:11], s45, v26
	v_cmp_eq_u64_e32 vcc, 0, v[22:23]
	v_add_co_u32_e64 v24, s[2:3], 24, v24
	v_addc_co_u32_e64 v40, s[2:3], 0, v40, s[2:3]
	v_addc_co_u32_e64 v35, s[2:3], 0, v35, s[6:7]
	;; [unrolled: 1-line block ×3, first 2 shown]
	v_cndmask_b32_e64 v26, v26, v34, s[0:1]
	s_or_b64 s[26:27], vcc, s[26:27]
	v_add_co_u32_e32 v34, vcc, s16, v30
	v_cndmask_b32_e64 v27, v27, v35, s[0:1]
	s_waitcnt vmcnt(3)
	global_store_dword v[50:51], v61, off
	s_waitcnt vmcnt(3)
	global_store_dword v[52:53], v62, off
	global_load_dword v48, v[48:49], off
	s_nop 0
	global_load_dword v49, v[46:47], off
	v_addc_co_u32_e32 v35, vcc, v65, v31, vcc
	v_add_co_u32_e32 v46, vcc, s16, v28
	v_add_co_u32_e64 v32, s[8:9], s45, v32
	v_addc_co_u32_e32 v47, vcc, v65, v29, vcc
	v_cndmask_b32_e64 v32, v32, v24, s[0:1]
	v_add_co_u32_e32 v24, vcc, 20, v30
	v_addc_co_u32_e32 v51, vcc, 0, v31, vcc
	v_add_co_u32_e32 v52, vcc, 20, v28
	v_addc_co_u32_e32 v53, vcc, 0, v29, vcc
	;; [unrolled: 2-line block ×5, first 2 shown]
	v_add_co_u32_e32 v30, vcc, s16, v43
	v_addc_co_u32_e64 v33, s[2:3], 0, v33, s[8:9]
	v_addc_co_u32_e32 v31, vcc, v65, v44, vcc
	v_cndmask_b32_e64 v33, v33, v40, s[0:1]
	v_add_co_u32_e32 v40, vcc, s22, v24
	v_addc_co_u32_e32 v41, vcc, v25, v51, vcc
	v_add_co_u32_e32 v42, vcc, s22, v52
	v_addc_co_u32_e32 v43, vcc, v25, v53, vcc
	;; [unrolled: 2-line block ×3, first 2 shown]
	v_mov_b32_e32 v38, s34
	v_mov_b32_e32 v36, s41
	v_add_co_u32_e64 v4, s[4:5], 64, v4
	v_addc_co_u32_e64 v5, s[4:5], 0, v5, s[4:5]
	s_waitcnt vmcnt(1)
	global_store_dword v[40:41], v48, off
	s_waitcnt vmcnt(1)
	global_store_dword v[42:43], v49, off
	global_load_dword v72, v[32:33], off
	global_load_dword v73, v[26:27], off
	v_add_co_u32_e32 v26, vcc, s16, v55
	v_addc_co_u32_e32 v27, vcc, v65, v56, vcc
	v_add_co_u32_e32 v32, vcc, s16, v57
	v_addc_co_u32_e32 v33, vcc, v65, v58, vcc
	;; [unrolled: 2-line block ×10, first 2 shown]
	v_subrev_u32_e32 v62, s33, v63
	v_subrev_u32_e32 v60, s30, v64
	v_mad_u64_u32 v[62:63], s[2:3], v62, 7, v[38:39]
	v_add_co_u32_e32 v24, vcc, s22, v70
	v_mad_u64_u32 v[60:61], s[2:3], v60, 7, v[36:37]
	global_store_dword v[34:35], v62, off
	global_store_dword v[46:47], v60, off
	v_add_u32_e32 v35, 1, v62
	v_addc_co_u32_e32 v25, vcc, v25, v71, vcc
	v_add_u32_e32 v34, 1, v60
	v_add_u32_e32 v36, 2, v60
	;; [unrolled: 1-line block ×11, first 2 shown]
	global_store_dword v[28:29], v35, off
	global_store_dword v[30:31], v34, off
	;; [unrolled: 1-line block ×12, first 2 shown]
	s_waitcnt vmcnt(15)
	global_store_dword v[58:59], v72, off
	s_waitcnt vmcnt(15)
	global_store_dword v[24:25], v73, off
	s_andn2_b64 exec, exec, s[26:27]
	s_cbranch_execnz .LBB123_9
; %bb.10:
	s_or_b64 exec, exec, s[26:27]
	v_lshlrev_b64 v[2:3], 5, v[16:17]
	v_add_co_u32_e32 v0, vcc, v0, v2
	v_addc_co_u32_e32 v1, vcc, v1, v3, vcc
	v_cmp_ne_u64_e32 vcc, v[12:13], v[16:17]
	s_orn2_b64 s[2:3], vcc, exec
.LBB123_11:
	s_or_b64 exec, exec, s[28:29]
	s_and_b64 s[2:3], s[2:3], exec
	s_andn2_saveexec_b64 s[4:5], s[24:25]
	s_cbranch_execz .LBB123_6
.LBB123_12:
	v_mad_u64_u32 v[2:3], s[6:7], s36, v37, 0
	v_mov_b32_e32 v4, v3
	v_mad_u64_u32 v[8:9], s[6:7], v2, 28, 0
	v_mad_u64_u32 v[4:5], s[6:7], s35, v37, v[4:5]
	v_mov_b32_e32 v2, v9
	v_mad_u64_u32 v[2:3], s[6:7], v4, 28, v[2:3]
	v_mov_b32_e32 v9, v2
	s_or_b64 s[2:3], s[2:3], exec
	s_or_b64 exec, exec, s[4:5]
	s_and_b64 exec, exec, s[2:3]
	s_cbranch_execz .LBB123_15
.LBB123_13:
	v_mov_b32_e32 v2, 0xa8
	v_mad_u64_u32 v[2:3], s[2:3], s12, v2, v[8:9]
	s_mul_i32 s2, s13, 0xa8
	v_add_u32_e32 v3, s2, v3
	v_mad_u64_u32 v[2:3], s[2:3], v0, 28, v[2:3]
	v_mov_b32_e32 v4, v3
	v_mad_u64_u32 v[4:5], s[2:3], v1, 28, v[4:5]
	s_mul_hi_u32 s2, s33, 0xa8
	s_mul_i32 s3, s33, 0xa8
	v_mov_b32_e32 v3, v4
	v_mov_b32_e32 v4, s2
	v_subrev_co_u32_e32 v10, vcc, s3, v2
	v_subb_co_u32_e32 v14, vcc, v3, v4, vcc
	v_mov_b32_e32 v2, s23
	v_add_co_u32_e32 v9, vcc, s22, v10
	v_addc_co_u32_e32 v11, vcc, v2, v14, vcc
	v_lshlrev_b64 v[2:3], 2, v[0:1]
	s_movk_i32 s4, 0xc4
	v_pk_mov_b32 v[6:7], s[20:21], s[20:21] op_sel:[0,1]
	v_mov_b32_e32 v4, s19
	v_add_co_u32_e32 v2, vcc, s18, v2
	v_mad_u64_u32 v[6:7], s[2:3], v0, s4, v[6:7]
	v_addc_co_u32_e32 v3, vcc, v4, v3, vcc
	v_mov_b32_e32 v8, v7
	v_mad_u64_u32 v[12:13], s[2:3], v1, s4, v[8:9]
	v_mov_b32_e32 v8, s17
	v_add_co_u32_e32 v7, vcc, s16, v10
	v_lshlrev_b32_e32 v4, 2, v37
	v_mov_b32_e32 v5, v12
	v_addc_co_u32_e32 v12, vcc, v8, v14, vcc
	v_lshlrev_b32_e32 v8, 2, v39
	s_mov_b64 s[4:5], 0
	v_mov_b32_e32 v10, s34
	s_movk_i32 s8, 0x54
	s_movk_i32 s9, 0x70
	;; [unrolled: 1-line block ×4, first 2 shown]
	s_mov_b64 s[6:7], 0
.LBB123_14:                             ; =>This Inner Loop Header: Depth=1
	v_add_co_u32_e32 v16, vcc, v6, v4
	v_addc_co_u32_e32 v17, vcc, 0, v5, vcc
	v_add_co_u32_e32 v18, vcc, v6, v8
	v_addc_co_u32_e32 v19, vcc, 0, v5, vcc
	;; [unrolled: 2-line block ×12, first 2 shown]
	global_load_dword v13, v[2:3], off
	v_add_co_u32_e32 v40, vcc, 24, v18
	v_addc_co_u32_e32 v41, vcc, 0, v19, vcc
	v_cndmask_b32_e64 v15, v17, v19, s[0:1]
	v_cndmask_b32_e64 v14, v16, v18, s[0:1]
	v_add_co_u32_e32 v16, vcc, s11, v16
	v_cndmask_b32_e64 v19, v23, v21, s[0:1]
	v_cndmask_b32_e64 v18, v22, v20, s[0:1]
	global_load_dword v14, v[14:15], off
	v_cndmask_b32_e64 v21, v27, v25, s[0:1]
	v_cndmask_b32_e64 v20, v26, v24, s[0:1]
	;; [unrolled: 1-line block ×8, first 2 shown]
	v_addc_co_u32_e32 v31, vcc, 0, v17, vcc
	v_cndmask_b32_e64 v30, v16, v40, s[0:1]
	global_load_dword v15, v[18:19], off
	global_load_dword v16, v[20:21], off
	;; [unrolled: 1-line block ×5, first 2 shown]
	v_cndmask_b32_e64 v31, v31, v41, s[0:1]
	global_load_dword v24, v[30:31], off
	v_add_co_u32_e64 v0, s[2:3], 32, v0
	v_mov_b32_e32 v18, s7
	v_add_co_u32_e32 v30, vcc, s6, v9
	v_addc_co_u32_e64 v1, s[2:3], 0, v1, s[2:3]
	v_add_co_u32_e64 v32, s[2:3], s6, v7
	v_addc_co_u32_e32 v31, vcc, v11, v18, vcc
	s_add_u32 s6, s6, 0x380
	v_addc_co_u32_e64 v33, s[2:3], v12, v18, s[2:3]
	v_add_co_u32_e32 v2, vcc, 0x80, v2
	s_addc_u32 s7, s7, 0
	v_cmp_le_i64_e64 s[2:3], s[14:15], v[0:1]
	v_addc_co_u32_e32 v3, vcc, 0, v3, vcc
	s_or_b64 s[4:5], s[2:3], s[4:5]
	v_add_co_u32_e32 v6, vcc, 0x1880, v6
	v_addc_co_u32_e32 v5, vcc, 0, v5, vcc
	s_waitcnt vmcnt(7)
	v_subrev_u32_e32 v13, s33, v13
	v_mad_u64_u32 v[26:27], s[2:3], v13, 7, v[10:11]
	v_add_u32_e32 v28, 2, v26
	v_add_u32_e32 v27, 1, v26
	;; [unrolled: 1-line block ×6, first 2 shown]
	global_store_dwordx3 v[32:33], v[26:28], off
	s_waitcnt vmcnt(4)
	global_store_dwordx4 v[30:31], v[14:17], off
	global_store_dwordx4 v[32:33], v[18:21], off offset:12
	s_waitcnt vmcnt(3)
	global_store_dwordx3 v[30:31], v[22:24], off offset:16
	s_andn2_b64 exec, exec, s[4:5]
	s_cbranch_execnz .LBB123_14
.LBB123_15:
	s_endpgm
	.section	.rodata,"a",@progbits
	.p2align	6, 0x0
	.amdhsa_kernel _ZN9rocsparseL32bsr2csr_block_per_row_2_7_kernelILj256ELj7EfliEEv20rocsparse_direction_T3_S2_21rocsparse_index_base_PKT1_PKT2_PKS2_S2_S3_PS4_PS7_PS2_
		.amdhsa_group_segment_fixed_size 0
		.amdhsa_private_segment_fixed_size 0
		.amdhsa_kernarg_size 72
		.amdhsa_user_sgpr_count 6
		.amdhsa_user_sgpr_private_segment_buffer 1
		.amdhsa_user_sgpr_dispatch_ptr 0
		.amdhsa_user_sgpr_queue_ptr 0
		.amdhsa_user_sgpr_kernarg_segment_ptr 1
		.amdhsa_user_sgpr_dispatch_id 0
		.amdhsa_user_sgpr_flat_scratch_init 0
		.amdhsa_user_sgpr_kernarg_preload_length 0
		.amdhsa_user_sgpr_kernarg_preload_offset 0
		.amdhsa_user_sgpr_private_segment_size 0
		.amdhsa_uses_dynamic_stack 0
		.amdhsa_system_sgpr_private_segment_wavefront_offset 0
		.amdhsa_system_sgpr_workgroup_id_x 1
		.amdhsa_system_sgpr_workgroup_id_y 0
		.amdhsa_system_sgpr_workgroup_id_z 0
		.amdhsa_system_sgpr_workgroup_info 0
		.amdhsa_system_vgpr_workitem_id 0
		.amdhsa_next_free_vgpr 74
		.amdhsa_next_free_sgpr 54
		.amdhsa_accum_offset 76
		.amdhsa_reserve_vcc 1
		.amdhsa_reserve_flat_scratch 0
		.amdhsa_float_round_mode_32 0
		.amdhsa_float_round_mode_16_64 0
		.amdhsa_float_denorm_mode_32 3
		.amdhsa_float_denorm_mode_16_64 3
		.amdhsa_dx10_clamp 1
		.amdhsa_ieee_mode 1
		.amdhsa_fp16_overflow 0
		.amdhsa_tg_split 0
		.amdhsa_exception_fp_ieee_invalid_op 0
		.amdhsa_exception_fp_denorm_src 0
		.amdhsa_exception_fp_ieee_div_zero 0
		.amdhsa_exception_fp_ieee_overflow 0
		.amdhsa_exception_fp_ieee_underflow 0
		.amdhsa_exception_fp_ieee_inexact 0
		.amdhsa_exception_int_div_zero 0
	.end_amdhsa_kernel
	.section	.text._ZN9rocsparseL32bsr2csr_block_per_row_2_7_kernelILj256ELj7EfliEEv20rocsparse_direction_T3_S2_21rocsparse_index_base_PKT1_PKT2_PKS2_S2_S3_PS4_PS7_PS2_,"axG",@progbits,_ZN9rocsparseL32bsr2csr_block_per_row_2_7_kernelILj256ELj7EfliEEv20rocsparse_direction_T3_S2_21rocsparse_index_base_PKT1_PKT2_PKS2_S2_S3_PS4_PS7_PS2_,comdat
.Lfunc_end123:
	.size	_ZN9rocsparseL32bsr2csr_block_per_row_2_7_kernelILj256ELj7EfliEEv20rocsparse_direction_T3_S2_21rocsparse_index_base_PKT1_PKT2_PKS2_S2_S3_PS4_PS7_PS2_, .Lfunc_end123-_ZN9rocsparseL32bsr2csr_block_per_row_2_7_kernelILj256ELj7EfliEEv20rocsparse_direction_T3_S2_21rocsparse_index_base_PKT1_PKT2_PKS2_S2_S3_PS4_PS7_PS2_
                                        ; -- End function
	.section	.AMDGPU.csdata,"",@progbits
; Kernel info:
; codeLenInByte = 4092
; NumSgprs: 58
; NumVgprs: 74
; NumAgprs: 0
; TotalNumVgprs: 74
; ScratchSize: 0
; MemoryBound: 0
; FloatMode: 240
; IeeeMode: 1
; LDSByteSize: 0 bytes/workgroup (compile time only)
; SGPRBlocks: 7
; VGPRBlocks: 9
; NumSGPRsForWavesPerEU: 58
; NumVGPRsForWavesPerEU: 74
; AccumOffset: 76
; Occupancy: 6
; WaveLimiterHint : 1
; COMPUTE_PGM_RSRC2:SCRATCH_EN: 0
; COMPUTE_PGM_RSRC2:USER_SGPR: 6
; COMPUTE_PGM_RSRC2:TRAP_HANDLER: 0
; COMPUTE_PGM_RSRC2:TGID_X_EN: 1
; COMPUTE_PGM_RSRC2:TGID_Y_EN: 0
; COMPUTE_PGM_RSRC2:TGID_Z_EN: 0
; COMPUTE_PGM_RSRC2:TIDIG_COMP_CNT: 0
; COMPUTE_PGM_RSRC3_GFX90A:ACCUM_OFFSET: 18
; COMPUTE_PGM_RSRC3_GFX90A:TG_SPLIT: 0
	.section	.text._ZN9rocsparseL33bsr2csr_block_per_row_8_32_kernelILj1024ELj8EfliEEv20rocsparse_direction_T3_S2_21rocsparse_index_base_PKT1_PKT2_PKS2_S2_S3_PS4_PS7_PS2_,"axG",@progbits,_ZN9rocsparseL33bsr2csr_block_per_row_8_32_kernelILj1024ELj8EfliEEv20rocsparse_direction_T3_S2_21rocsparse_index_base_PKT1_PKT2_PKS2_S2_S3_PS4_PS7_PS2_,comdat
	.globl	_ZN9rocsparseL33bsr2csr_block_per_row_8_32_kernelILj1024ELj8EfliEEv20rocsparse_direction_T3_S2_21rocsparse_index_base_PKT1_PKT2_PKS2_S2_S3_PS4_PS7_PS2_ ; -- Begin function _ZN9rocsparseL33bsr2csr_block_per_row_8_32_kernelILj1024ELj8EfliEEv20rocsparse_direction_T3_S2_21rocsparse_index_base_PKT1_PKT2_PKS2_S2_S3_PS4_PS7_PS2_
	.p2align	8
	.type	_ZN9rocsparseL33bsr2csr_block_per_row_8_32_kernelILj1024ELj8EfliEEv20rocsparse_direction_T3_S2_21rocsparse_index_base_PKT1_PKT2_PKS2_S2_S3_PS4_PS7_PS2_,@function
_ZN9rocsparseL33bsr2csr_block_per_row_8_32_kernelILj1024ELj8EfliEEv20rocsparse_direction_T3_S2_21rocsparse_index_base_PKT1_PKT2_PKS2_S2_S3_PS4_PS7_PS2_: ; @_ZN9rocsparseL33bsr2csr_block_per_row_8_32_kernelILj1024ELj8EfliEEv20rocsparse_direction_T3_S2_21rocsparse_index_base_PKT1_PKT2_PKS2_S2_S3_PS4_PS7_PS2_
; %bb.0:
	s_load_dwordx2 s[2:3], s[4:5], 0x18
	s_load_dwordx2 s[12:13], s[4:5], 0x28
	;; [unrolled: 1-line block ×3, first 2 shown]
	s_ashr_i32 s7, s6, 31
	s_lshl_b64 s[8:9], s[6:7], 3
	s_waitcnt lgkmcnt(0)
	s_add_u32 s2, s2, s8
	v_or_b32_e32 v1, s6, v0
	s_addc_u32 s3, s3, s9
	v_cmp_eq_u32_e32 vcc, 0, v1
	s_and_saveexec_b64 s[8:9], vcc
	s_cbranch_execz .LBB124_2
; %bb.1:
	v_mov_b32_e32 v2, s13
	v_mov_b32_e32 v3, 0
	global_store_dwordx2 v3, v[2:3], s[0:1]
.LBB124_2:
	s_or_b64 exec, exec, s[8:9]
	v_and_b32_e32 v22, 7, v0
	v_bfe_u32 v23, v0, 3, 3
	v_max_i32_e32 v1, v23, v22
	v_cmp_gt_i32_e32 vcc, s12, v1
	s_and_saveexec_b64 s[8:9], vcc
	s_cbranch_execz .LBB124_11
; %bb.3:
	s_load_dwordx4 s[8:11], s[2:3], 0x0
	s_load_dword s30, s[4:5], 0xc
	s_mul_i32 s20, s12, s12
	v_lshrrev_b32_e32 v2, 6, v0
	s_mov_b32 s31, 0
	v_mov_b32_e32 v9, 0
	s_waitcnt lgkmcnt(0)
	s_sub_u32 s35, s8, s30
	s_subb_u32 s7, s9, 0
	s_sub_u32 s10, s10, s30
	s_mul_i32 s2, s7, s20
	s_mul_hi_u32 s3, s35, s20
	s_subb_u32 s11, s11, 0
	s_add_i32 s19, s3, s2
	s_sub_u32 s34, s10, s35
	s_mul_i32 s18, s35, s20
	s_subb_u32 s33, s11, s7
	s_mul_i32 s2, s33, s12
	s_mul_hi_u32 s3, s34, s12
	s_mul_i32 s15, s34, s12
	v_pk_mov_b32 v[0:1], s[18:19], s[18:19] op_sel:[0,1]
	s_add_i32 s14, s3, s2
	v_mad_u64_u32 v[4:5], s[2:3], s15, v23, v[0:1]
	v_mov_b32_e32 v0, v5
	v_mad_u64_u32 v[0:1], s[2:3], s14, v23, v[0:1]
	s_add_u32 s2, s15, s13
	v_mov_b32_e32 v3, v0
	v_add_co_u32_e32 v0, vcc, s2, v4
	s_mul_i32 s2, s6, s12
	s_addc_u32 s3, s14, 0
	v_add_u32_e32 v6, s2, v23
	v_mov_b32_e32 v1, s3
	v_ashrrev_i32_e32 v7, 31, v6
	v_addc_co_u32_e32 v1, vcc, v1, v3, vcc
	v_lshlrev_b64 v[6:7], 3, v[6:7]
	v_mov_b32_e32 v5, s1
	v_add_co_u32_e32 v6, vcc, s0, v6
	v_addc_co_u32_e32 v7, vcc, v5, v7, vcc
	global_store_dwordx2 v[6:7], v[0:1], off offset:8
	v_mov_b32_e32 v1, s7
	v_add_co_u32_e32 v0, vcc, s35, v2
	v_addc_co_u32_e32 v1, vcc, 0, v1, vcc
	v_cmp_gt_i64_e32 vcc, s[10:11], v[0:1]
	s_and_b64 exec, exec, vcc
	s_cbranch_execz .LBB124_11
; %bb.4:
	s_load_dwordx2 s[22:23], s[4:5], 0x20
	s_load_dwordx2 s[14:15], s[4:5], 0x30
	s_load_dwordx2 s[16:17], s[4:5], 0x40
	s_load_dwordx2 s[0:1], s[4:5], 0x10
	s_load_dword s2, s[4:5], 0x0
	v_mul_lo_u32 v8, v22, s12
	v_lshlrev_b64 v[10:11], 2, v[8:9]
	s_mov_b32 s21, s31
	s_waitcnt lgkmcnt(0)
	v_mov_b32_e32 v5, s1
	v_add_co_u32_e32 v7, vcc, s0, v10
	v_addc_co_u32_e32 v8, vcc, v5, v11, vcc
	v_lshlrev_b32_e32 v10, 2, v23
	v_add_co_u32_e32 v7, vcc, v7, v10
	v_addc_co_u32_e32 v12, vcc, 0, v8, vcc
	v_mul_lo_u32 v8, v23, s12
	v_lshlrev_b64 v[8:9], 2, v[8:9]
	v_add_co_u32_e32 v8, vcc, s0, v8
	v_addc_co_u32_e32 v5, vcc, v5, v9, vcc
	v_lshlrev_b32_e32 v9, 2, v22
	v_add_co_u32_e32 v13, vcc, v8, v9
	v_mov_b32_e32 v8, s9
	v_add_co_u32_e64 v9, s[0:1], s8, v2
	v_addc_co_u32_e64 v8, s[0:1], 0, v8, s[0:1]
	v_mov_b32_e32 v10, s31
	v_subrev_co_u32_e64 v9, s[0:1], s30, v9
	v_subb_co_u32_e64 v10, s[0:1], v8, v10, s[0:1]
	v_add_co_u32_e64 v8, s[0:1], 16, v9
	v_addc_co_u32_e64 v9, s[0:1], 0, v10, s[0:1]
	v_mov_b32_e32 v10, s11
	v_cmp_lt_i64_e64 s[0:1], s[10:11], v[8:9]
	s_cmp_eq_u32 s2, 0
	v_addc_co_u32_e32 v5, vcc, 0, v5, vcc
	v_cndmask_b32_e64 v9, v10, v9, s[0:1]
	v_mov_b32_e32 v10, s10
	s_cselect_b64 vcc, -1, 0
	v_cndmask_b32_e64 v8, v10, v8, s[0:1]
	s_not_b64 s[0:1], s[8:9]
	s_add_u32 s0, s0, s30
	s_addc_u32 s1, s1, 0
	v_mov_b32_e32 v10, s1
	v_add_co_u32_e64 v8, s[0:1], s0, v8
	v_addc_co_u32_e64 v9, s[0:1], v10, v9, s[0:1]
	v_sub_co_u32_e64 v10, s[0:1], v8, v2
	v_subbrev_co_u32_e64 v11, s[0:1], 0, v9, s[0:1]
	s_mov_b32 s24, s12
	s_mov_b32 s25, s31
	v_add_u32_e32 v6, s13, v22
	v_cmp_lt_u64_e64 s[0:1], 15, v[10:11]
	s_mov_b64 s[2:3], -1
	v_cndmask_b32_e32 v9, v12, v5, vcc
	v_cndmask_b32_e32 v8, v7, v13, vcc
	s_and_saveexec_b64 s[26:27], s[0:1]
	s_cbranch_execz .LBB124_8
; %bb.5:
	v_add_co_u32_e32 v14, vcc, v4, v22
	v_addc_co_u32_e32 v15, vcc, 0, v3, vcc
	v_lshrrev_b64 v[2:3], 4, v[10:11]
	v_add_co_u32_e32 v10, vcc, 1, v2
	v_addc_co_u32_e32 v11, vcc, 0, v3, vcc
	v_add_co_u32_e32 v2, vcc, 16, v0
	v_addc_co_u32_e32 v3, vcc, 0, v1, vcc
	v_lshlrev_b64 v[4:5], 2, v[0:1]
	v_mov_b32_e32 v18, s23
	v_add_co_u32_e32 v4, vcc, s22, v4
	v_addc_co_u32_e32 v5, vcc, v5, v18, vcc
	v_add_co_u32_e32 v18, vcc, 64, v4
	v_and_b32_e32 v12, -2, v10
	v_mov_b32_e32 v13, v11
	v_addc_co_u32_e32 v19, vcc, 0, v5, vcc
	v_pk_mov_b32 v[4:5], v[2:3], v[2:3] op_sel:[0,1]
	s_mov_b32 s13, s30
	s_mov_b32 s36, s30
	;; [unrolled: 1-line block ×5, first 2 shown]
	v_mov_b32_e32 v16, v14
	v_mov_b32_e32 v17, v15
	s_mov_b32 s40, s12
	v_mov_b32_e32 v7, v6
	s_mov_b32 s41, s20
	s_mov_b64 s[28:29], 0
	v_mov_b32_e32 v24, s7
	v_pk_mov_b32 v[20:21], v[12:13], v[12:13] op_sel:[0,1]
	v_pk_mov_b32 v[2:3], v[0:1], v[0:1] op_sel:[0,1]
.LBB124_6:                              ; =>This Inner Loop Header: Depth=1
	v_mad_u64_u32 v[28:29], s[0:1], v2, s20, 0
	v_mov_b32_e32 v32, v29
	v_mad_u64_u32 v[26:27], s[0:1], v4, s41, 0
	v_mad_u64_u32 v[32:33], s[0:1], v3, s20, v[32:33]
	v_mov_b32_e32 v30, v27
	v_mov_b32_e32 v29, v32
	v_mad_u64_u32 v[30:31], s[0:1], v5, s41, v[30:31]
	v_lshlrev_b64 v[28:29], 2, v[28:29]
	v_mov_b32_e32 v27, v30
	v_add_co_u32_e32 v28, vcc, v8, v28
	v_lshlrev_b64 v[26:27], 2, v[26:27]
	v_addc_co_u32_e32 v29, vcc, v9, v29, vcc
	global_load_dword v25, v[18:19], off offset:-64
	global_load_dword v36, v[18:19], off
	v_add_co_u32_e32 v26, vcc, v8, v26
	v_addc_co_u32_e32 v27, vcc, v9, v27, vcc
	global_load_dword v38, v[28:29], off
	global_load_dword v39, v[26:27], off
	v_subrev_co_u32_e32 v27, vcc, s35, v2
	v_mov_b32_e32 v28, s38
	v_subrev_co_u32_e64 v29, s[0:1], s37, v4
	v_subb_co_u32_e64 v33, s[0:1], v5, v28, s[0:1]
	v_mad_u64_u32 v[30:31], s[0:1], v27, s24, v[14:15]
	v_subb_co_u32_e32 v35, vcc, v3, v24, vcc
	v_mov_b32_e32 v34, v31
	v_add_co_u32_e32 v18, vcc, 0x80, v18
	v_add_co_u32_e64 v20, s[6:7], -2, v20
	v_mad_u64_u32 v[28:29], s[0:1], v29, s39, v[16:17]
	v_mad_u64_u32 v[34:35], s[0:1], v35, s24, v[34:35]
	v_addc_co_u32_e64 v21, s[6:7], -1, v21, s[6:7]
	v_addc_co_u32_e32 v19, vcc, 0, v19, vcc
	v_mov_b32_e32 v32, v29
	v_mov_b32_e32 v31, v34
	v_cmp_eq_u64_e32 vcc, 0, v[20:21]
	v_mad_u64_u32 v[32:33], s[0:1], v33, s39, v[32:33]
	v_lshlrev_b64 v[30:31], 2, v[30:31]
	v_mov_b32_e32 v37, s17
	s_or_b64 s[28:29], vcc, s[28:29]
	v_mov_b32_e32 v29, v32
	v_add_co_u32_e32 v32, vcc, s16, v30
	v_lshlrev_b64 v[28:29], 2, v[28:29]
	v_addc_co_u32_e32 v33, vcc, v37, v31, vcc
	v_add_co_u32_e32 v34, vcc, s16, v28
	v_addc_co_u32_e32 v35, vcc, v37, v29, vcc
	v_mov_b32_e32 v40, s15
	v_add_co_u32_e32 v30, vcc, s14, v30
	v_add_co_u32_e64 v4, s[2:3], 32, v4
	v_add_co_u32_e64 v2, s[4:5], 32, v2
	v_addc_co_u32_e32 v31, vcc, v40, v31, vcc
	v_mov_b32_e32 v26, v7
	v_addc_co_u32_e64 v5, s[0:1], 0, v5, s[2:3]
	v_addc_co_u32_e64 v3, s[0:1], 0, v3, s[4:5]
	v_add_co_u32_e32 v28, vcc, s14, v28
	v_addc_co_u32_e32 v29, vcc, v40, v29, vcc
	s_waitcnt vmcnt(3)
	v_subrev_u32_e32 v25, s13, v25
	s_waitcnt vmcnt(2)
	v_subrev_u32_e32 v27, s36, v36
	v_mad_u64_u32 v[36:37], s[0:1], v25, s12, v[6:7]
	v_mad_u64_u32 v[26:27], s[0:1], v27, s40, v[26:27]
	global_store_dword v[32:33], v36, off
	global_store_dword v[34:35], v26, off
	s_waitcnt vmcnt(3)
	global_store_dword v[30:31], v38, off
	s_waitcnt vmcnt(3)
	global_store_dword v[28:29], v39, off
	s_andn2_b64 exec, exec, s[28:29]
	s_cbranch_execnz .LBB124_6
; %bb.7:
	s_or_b64 exec, exec, s[28:29]
	v_lshlrev_b64 v[2:3], 4, v[12:13]
	v_add_co_u32_e32 v0, vcc, v0, v2
	v_addc_co_u32_e32 v1, vcc, v1, v3, vcc
	v_cmp_ne_u64_e32 vcc, v[10:11], v[12:13]
	s_orn2_b64 s[2:3], vcc, exec
.LBB124_8:
	s_or_b64 exec, exec, s[26:27]
	s_and_b64 exec, exec, s[2:3]
	s_cbranch_execz .LBB124_11
; %bb.9:
	v_mad_u64_u32 v[2:3], s[0:1], v0, s20, 0
	v_mov_b32_e32 v4, v3
	v_mad_u64_u32 v[4:5], s[0:1], v1, s20, v[4:5]
	v_mov_b32_e32 v3, v4
	v_lshlrev_b64 v[2:3], 2, v[2:3]
	v_mad_u64_u32 v[4:5], s[2:3], s34, v23, v[0:1]
	v_add_co_u32_e32 v2, vcc, v8, v2
	v_mov_b32_e32 v8, v5
	v_addc_co_u32_e32 v3, vcc, v9, v3, vcc
	v_mad_u64_u32 v[8:9], s[2:3], s33, v23, v[8:9]
	v_mov_b32_e32 v5, v8
	v_mov_b32_e32 v7, s31
	v_add_co_u32_e32 v4, vcc, s30, v4
	v_addc_co_u32_e32 v5, vcc, v5, v7, vcc
	v_mov_b32_e32 v7, s9
	v_subrev_co_u32_e32 v8, vcc, s8, v4
	v_subb_co_u32_e32 v7, vcc, v5, v7, vcc
	v_pk_mov_b32 v[4:5], s[18:19], s[18:19] op_sel:[0,1]
	v_mad_u64_u32 v[4:5], s[2:3], v8, s24, v[4:5]
	v_mov_b32_e32 v8, v5
	v_mad_u64_u32 v[8:9], s[2:3], v7, s24, v[8:9]
	v_mov_b32_e32 v5, v8
	v_add_co_u32_e32 v4, vcc, v4, v22
	v_addc_co_u32_e32 v5, vcc, 0, v5, vcc
	v_lshlrev_b64 v[8:9], 2, v[0:1]
	s_lshl_b64 s[0:1], s[20:21], 6
	s_lshl_b64 s[2:3], s[24:25], 6
	v_mov_b32_e32 v7, s23
	v_add_co_u32_e32 v8, vcc, s22, v8
	v_lshlrev_b64 v[4:5], 2, v[4:5]
	v_addc_co_u32_e32 v9, vcc, v7, v9, vcc
	s_mov_b64 s[4:5], 0
	v_mov_b32_e32 v7, s17
	v_mov_b32_e32 v10, s15
	;; [unrolled: 1-line block ×4, first 2 shown]
.LBB124_10:                             ; =>This Inner Loop Header: Depth=1
	global_load_dword v13, v[8:9], off
	global_load_dword v18, v[2:3], off
	v_add_co_u32_e32 v14, vcc, s16, v4
	v_addc_co_u32_e32 v15, vcc, v7, v5, vcc
	v_add_co_u32_e32 v16, vcc, s14, v4
	v_addc_co_u32_e32 v17, vcc, v10, v5, vcc
	;; [unrolled: 2-line block ×6, first 2 shown]
	v_cmp_le_i64_e32 vcc, s[10:11], v[0:1]
	s_or_b64 s[4:5], vcc, s[4:5]
	s_waitcnt vmcnt(1)
	v_subrev_u32_e32 v13, s30, v13
	s_waitcnt vmcnt(0)
	global_store_dword v[16:17], v18, off
	v_mad_u64_u32 v[16:17], s[6:7], v13, s12, v[6:7]
	global_store_dword v[14:15], v16, off
	s_andn2_b64 exec, exec, s[4:5]
	s_cbranch_execnz .LBB124_10
.LBB124_11:
	s_endpgm
	.section	.rodata,"a",@progbits
	.p2align	6, 0x0
	.amdhsa_kernel _ZN9rocsparseL33bsr2csr_block_per_row_8_32_kernelILj1024ELj8EfliEEv20rocsparse_direction_T3_S2_21rocsparse_index_base_PKT1_PKT2_PKS2_S2_S3_PS4_PS7_PS2_
		.amdhsa_group_segment_fixed_size 0
		.amdhsa_private_segment_fixed_size 0
		.amdhsa_kernarg_size 72
		.amdhsa_user_sgpr_count 6
		.amdhsa_user_sgpr_private_segment_buffer 1
		.amdhsa_user_sgpr_dispatch_ptr 0
		.amdhsa_user_sgpr_queue_ptr 0
		.amdhsa_user_sgpr_kernarg_segment_ptr 1
		.amdhsa_user_sgpr_dispatch_id 0
		.amdhsa_user_sgpr_flat_scratch_init 0
		.amdhsa_user_sgpr_kernarg_preload_length 0
		.amdhsa_user_sgpr_kernarg_preload_offset 0
		.amdhsa_user_sgpr_private_segment_size 0
		.amdhsa_uses_dynamic_stack 0
		.amdhsa_system_sgpr_private_segment_wavefront_offset 0
		.amdhsa_system_sgpr_workgroup_id_x 1
		.amdhsa_system_sgpr_workgroup_id_y 0
		.amdhsa_system_sgpr_workgroup_id_z 0
		.amdhsa_system_sgpr_workgroup_info 0
		.amdhsa_system_vgpr_workitem_id 0
		.amdhsa_next_free_vgpr 41
		.amdhsa_next_free_sgpr 42
		.amdhsa_accum_offset 44
		.amdhsa_reserve_vcc 1
		.amdhsa_reserve_flat_scratch 0
		.amdhsa_float_round_mode_32 0
		.amdhsa_float_round_mode_16_64 0
		.amdhsa_float_denorm_mode_32 3
		.amdhsa_float_denorm_mode_16_64 3
		.amdhsa_dx10_clamp 1
		.amdhsa_ieee_mode 1
		.amdhsa_fp16_overflow 0
		.amdhsa_tg_split 0
		.amdhsa_exception_fp_ieee_invalid_op 0
		.amdhsa_exception_fp_denorm_src 0
		.amdhsa_exception_fp_ieee_div_zero 0
		.amdhsa_exception_fp_ieee_overflow 0
		.amdhsa_exception_fp_ieee_underflow 0
		.amdhsa_exception_fp_ieee_inexact 0
		.amdhsa_exception_int_div_zero 0
	.end_amdhsa_kernel
	.section	.text._ZN9rocsparseL33bsr2csr_block_per_row_8_32_kernelILj1024ELj8EfliEEv20rocsparse_direction_T3_S2_21rocsparse_index_base_PKT1_PKT2_PKS2_S2_S3_PS4_PS7_PS2_,"axG",@progbits,_ZN9rocsparseL33bsr2csr_block_per_row_8_32_kernelILj1024ELj8EfliEEv20rocsparse_direction_T3_S2_21rocsparse_index_base_PKT1_PKT2_PKS2_S2_S3_PS4_PS7_PS2_,comdat
.Lfunc_end124:
	.size	_ZN9rocsparseL33bsr2csr_block_per_row_8_32_kernelILj1024ELj8EfliEEv20rocsparse_direction_T3_S2_21rocsparse_index_base_PKT1_PKT2_PKS2_S2_S3_PS4_PS7_PS2_, .Lfunc_end124-_ZN9rocsparseL33bsr2csr_block_per_row_8_32_kernelILj1024ELj8EfliEEv20rocsparse_direction_T3_S2_21rocsparse_index_base_PKT1_PKT2_PKS2_S2_S3_PS4_PS7_PS2_
                                        ; -- End function
	.section	.AMDGPU.csdata,"",@progbits
; Kernel info:
; codeLenInByte = 1504
; NumSgprs: 46
; NumVgprs: 41
; NumAgprs: 0
; TotalNumVgprs: 41
; ScratchSize: 0
; MemoryBound: 0
; FloatMode: 240
; IeeeMode: 1
; LDSByteSize: 0 bytes/workgroup (compile time only)
; SGPRBlocks: 5
; VGPRBlocks: 5
; NumSGPRsForWavesPerEU: 46
; NumVGPRsForWavesPerEU: 41
; AccumOffset: 44
; Occupancy: 8
; WaveLimiterHint : 0
; COMPUTE_PGM_RSRC2:SCRATCH_EN: 0
; COMPUTE_PGM_RSRC2:USER_SGPR: 6
; COMPUTE_PGM_RSRC2:TRAP_HANDLER: 0
; COMPUTE_PGM_RSRC2:TGID_X_EN: 1
; COMPUTE_PGM_RSRC2:TGID_Y_EN: 0
; COMPUTE_PGM_RSRC2:TGID_Z_EN: 0
; COMPUTE_PGM_RSRC2:TIDIG_COMP_CNT: 0
; COMPUTE_PGM_RSRC3_GFX90A:ACCUM_OFFSET: 10
; COMPUTE_PGM_RSRC3_GFX90A:TG_SPLIT: 0
	.section	.text._ZN9rocsparseL33bsr2csr_block_per_row_8_32_kernelILj1024ELj16EfliEEv20rocsparse_direction_T3_S2_21rocsparse_index_base_PKT1_PKT2_PKS2_S2_S3_PS4_PS7_PS2_,"axG",@progbits,_ZN9rocsparseL33bsr2csr_block_per_row_8_32_kernelILj1024ELj16EfliEEv20rocsparse_direction_T3_S2_21rocsparse_index_base_PKT1_PKT2_PKS2_S2_S3_PS4_PS7_PS2_,comdat
	.globl	_ZN9rocsparseL33bsr2csr_block_per_row_8_32_kernelILj1024ELj16EfliEEv20rocsparse_direction_T3_S2_21rocsparse_index_base_PKT1_PKT2_PKS2_S2_S3_PS4_PS7_PS2_ ; -- Begin function _ZN9rocsparseL33bsr2csr_block_per_row_8_32_kernelILj1024ELj16EfliEEv20rocsparse_direction_T3_S2_21rocsparse_index_base_PKT1_PKT2_PKS2_S2_S3_PS4_PS7_PS2_
	.p2align	8
	.type	_ZN9rocsparseL33bsr2csr_block_per_row_8_32_kernelILj1024ELj16EfliEEv20rocsparse_direction_T3_S2_21rocsparse_index_base_PKT1_PKT2_PKS2_S2_S3_PS4_PS7_PS2_,@function
_ZN9rocsparseL33bsr2csr_block_per_row_8_32_kernelILj1024ELj16EfliEEv20rocsparse_direction_T3_S2_21rocsparse_index_base_PKT1_PKT2_PKS2_S2_S3_PS4_PS7_PS2_: ; @_ZN9rocsparseL33bsr2csr_block_per_row_8_32_kernelILj1024ELj16EfliEEv20rocsparse_direction_T3_S2_21rocsparse_index_base_PKT1_PKT2_PKS2_S2_S3_PS4_PS7_PS2_
; %bb.0:
	s_load_dwordx2 s[2:3], s[4:5], 0x18
	s_load_dwordx2 s[12:13], s[4:5], 0x28
	;; [unrolled: 1-line block ×3, first 2 shown]
	s_ashr_i32 s7, s6, 31
	s_lshl_b64 s[8:9], s[6:7], 3
	s_waitcnt lgkmcnt(0)
	s_add_u32 s2, s2, s8
	v_or_b32_e32 v1, s6, v0
	s_addc_u32 s3, s3, s9
	v_cmp_eq_u32_e32 vcc, 0, v1
	s_and_saveexec_b64 s[8:9], vcc
	s_cbranch_execz .LBB125_2
; %bb.1:
	v_mov_b32_e32 v2, s13
	v_mov_b32_e32 v3, 0
	global_store_dwordx2 v3, v[2:3], s[0:1]
.LBB125_2:
	s_or_b64 exec, exec, s[8:9]
	v_and_b32_e32 v22, 15, v0
	v_bfe_u32 v23, v0, 4, 4
	v_max_i32_e32 v1, v23, v22
	v_cmp_gt_i32_e32 vcc, s12, v1
	s_and_saveexec_b64 s[8:9], vcc
	s_cbranch_execz .LBB125_11
; %bb.3:
	s_load_dwordx4 s[8:11], s[2:3], 0x0
	s_load_dword s28, s[4:5], 0xc
	s_mul_i32 s18, s12, s12
	v_lshrrev_b32_e32 v2, 8, v0
	s_mov_b32 s29, 0
	v_mov_b32_e32 v9, 0
	s_waitcnt lgkmcnt(0)
	s_sub_u32 s33, s8, s28
	s_subb_u32 s34, s9, 0
	s_sub_u32 s10, s10, s28
	s_mul_i32 s2, s34, s18
	s_mul_hi_u32 s3, s33, s18
	s_subb_u32 s11, s11, 0
	s_add_i32 s17, s3, s2
	s_sub_u32 s31, s10, s33
	s_mul_i32 s16, s33, s18
	s_subb_u32 s30, s11, s34
	s_mul_i32 s2, s30, s12
	s_mul_hi_u32 s3, s31, s12
	s_mul_i32 s14, s31, s12
	v_pk_mov_b32 v[0:1], s[16:17], s[16:17] op_sel:[0,1]
	s_add_i32 s7, s3, s2
	v_mad_u64_u32 v[4:5], s[2:3], s14, v23, v[0:1]
	v_mov_b32_e32 v0, v5
	v_mad_u64_u32 v[0:1], s[2:3], s7, v23, v[0:1]
	s_add_u32 s2, s14, s13
	v_mov_b32_e32 v3, v0
	v_add_co_u32_e32 v0, vcc, s2, v4
	s_mul_i32 s2, s6, s12
	s_addc_u32 s3, s7, 0
	v_add_u32_e32 v6, s2, v23
	v_mov_b32_e32 v1, s3
	v_ashrrev_i32_e32 v7, 31, v6
	v_addc_co_u32_e32 v1, vcc, v1, v3, vcc
	v_lshlrev_b64 v[6:7], 3, v[6:7]
	v_mov_b32_e32 v5, s1
	v_add_co_u32_e32 v6, vcc, s0, v6
	v_addc_co_u32_e32 v7, vcc, v5, v7, vcc
	global_store_dwordx2 v[6:7], v[0:1], off offset:8
	v_mov_b32_e32 v1, s34
	v_add_co_u32_e32 v0, vcc, s33, v2
	v_addc_co_u32_e32 v1, vcc, 0, v1, vcc
	v_cmp_gt_i64_e32 vcc, s[10:11], v[0:1]
	s_and_b64 exec, exec, vcc
	s_cbranch_execz .LBB125_11
; %bb.4:
	s_load_dwordx2 s[20:21], s[4:5], 0x20
	s_load_dwordx2 s[6:7], s[4:5], 0x30
	;; [unrolled: 1-line block ×4, first 2 shown]
	s_load_dword s2, s[4:5], 0x0
	v_mul_lo_u32 v8, v22, s12
	v_lshlrev_b64 v[10:11], 2, v[8:9]
	s_mov_b32 s19, s29
	s_waitcnt lgkmcnt(0)
	v_mov_b32_e32 v5, s1
	v_add_co_u32_e32 v7, vcc, s0, v10
	v_addc_co_u32_e32 v8, vcc, v5, v11, vcc
	v_lshlrev_b32_e32 v10, 2, v23
	v_add_co_u32_e32 v7, vcc, v7, v10
	v_addc_co_u32_e32 v12, vcc, 0, v8, vcc
	v_mul_lo_u32 v8, v23, s12
	v_lshlrev_b64 v[8:9], 2, v[8:9]
	v_add_co_u32_e32 v8, vcc, s0, v8
	v_addc_co_u32_e32 v5, vcc, v5, v9, vcc
	v_lshlrev_b32_e32 v9, 2, v22
	v_add_co_u32_e32 v13, vcc, v8, v9
	v_mov_b32_e32 v8, s9
	v_add_co_u32_e64 v9, s[0:1], s8, v2
	v_addc_co_u32_e64 v8, s[0:1], 0, v8, s[0:1]
	v_mov_b32_e32 v10, s29
	v_subrev_co_u32_e64 v9, s[0:1], s28, v9
	v_subb_co_u32_e64 v10, s[0:1], v8, v10, s[0:1]
	v_add_co_u32_e64 v8, s[0:1], 4, v9
	v_addc_co_u32_e64 v9, s[0:1], 0, v10, s[0:1]
	v_mov_b32_e32 v10, s11
	v_cmp_lt_i64_e64 s[0:1], s[10:11], v[8:9]
	s_cmp_eq_u32 s2, 0
	v_addc_co_u32_e32 v5, vcc, 0, v5, vcc
	v_cndmask_b32_e64 v9, v10, v9, s[0:1]
	v_mov_b32_e32 v10, s10
	s_cselect_b64 vcc, -1, 0
	v_cndmask_b32_e64 v8, v10, v8, s[0:1]
	s_not_b64 s[0:1], s[8:9]
	s_add_u32 s0, s0, s28
	s_addc_u32 s1, s1, 0
	v_mov_b32_e32 v10, s1
	v_add_co_u32_e64 v8, s[0:1], s0, v8
	v_addc_co_u32_e64 v9, s[0:1], v10, v9, s[0:1]
	v_sub_co_u32_e64 v10, s[0:1], v8, v2
	v_subbrev_co_u32_e64 v11, s[0:1], 0, v9, s[0:1]
	s_mov_b32 s22, s12
	s_mov_b32 s23, s29
	v_add_u32_e32 v6, s13, v22
	v_cmp_lt_u64_e64 s[0:1], 3, v[10:11]
	s_mov_b64 s[2:3], -1
	v_cndmask_b32_e32 v9, v12, v5, vcc
	v_cndmask_b32_e32 v8, v7, v13, vcc
	s_and_saveexec_b64 s[24:25], s[0:1]
	s_cbranch_execz .LBB125_8
; %bb.5:
	v_add_co_u32_e32 v14, vcc, v4, v22
	v_addc_co_u32_e32 v15, vcc, 0, v3, vcc
	v_lshrrev_b64 v[2:3], 2, v[10:11]
	v_add_co_u32_e32 v10, vcc, 1, v2
	v_addc_co_u32_e32 v11, vcc, 0, v3, vcc
	v_add_co_u32_e32 v2, vcc, 4, v0
	v_addc_co_u32_e32 v3, vcc, 0, v1, vcc
	v_lshlrev_b64 v[4:5], 2, v[0:1]
	v_mov_b32_e32 v18, s21
	v_add_co_u32_e32 v4, vcc, s20, v4
	v_addc_co_u32_e32 v5, vcc, v5, v18, vcc
	v_add_co_u32_e32 v18, vcc, 16, v4
	v_and_b32_e32 v12, -2, v10
	v_mov_b32_e32 v13, v11
	v_addc_co_u32_e32 v19, vcc, 0, v5, vcc
	v_pk_mov_b32 v[4:5], v[2:3], v[2:3] op_sel:[0,1]
	s_mov_b32 s13, s28
	s_mov_b32 s35, s28
	;; [unrolled: 1-line block ×5, first 2 shown]
	v_mov_b32_e32 v16, v14
	v_mov_b32_e32 v17, v15
	s_mov_b32 s39, s12
	v_mov_b32_e32 v7, v6
	s_mov_b32 s40, s18
	s_mov_b64 s[26:27], 0
	v_mov_b32_e32 v24, s34
	v_pk_mov_b32 v[20:21], v[12:13], v[12:13] op_sel:[0,1]
	v_pk_mov_b32 v[2:3], v[0:1], v[0:1] op_sel:[0,1]
.LBB125_6:                              ; =>This Inner Loop Header: Depth=1
	v_mad_u64_u32 v[28:29], s[0:1], v2, s18, 0
	v_mov_b32_e32 v32, v29
	v_mad_u64_u32 v[26:27], s[0:1], v4, s40, 0
	v_mad_u64_u32 v[32:33], s[0:1], v3, s18, v[32:33]
	v_mov_b32_e32 v30, v27
	v_mov_b32_e32 v29, v32
	v_mad_u64_u32 v[30:31], s[0:1], v5, s40, v[30:31]
	v_lshlrev_b64 v[28:29], 2, v[28:29]
	v_mov_b32_e32 v27, v30
	v_add_co_u32_e32 v28, vcc, v8, v28
	v_lshlrev_b64 v[26:27], 2, v[26:27]
	v_addc_co_u32_e32 v29, vcc, v9, v29, vcc
	global_load_dword v25, v[18:19], off offset:-16
	global_load_dword v36, v[18:19], off
	v_add_co_u32_e32 v26, vcc, v8, v26
	v_addc_co_u32_e32 v27, vcc, v9, v27, vcc
	global_load_dword v38, v[28:29], off
	global_load_dword v39, v[26:27], off
	v_add_co_u32_e64 v18, s[4:5], 32, v18
	v_addc_co_u32_e64 v19, s[4:5], 0, v19, s[4:5]
	v_subrev_co_u32_e32 v27, vcc, s33, v2
	v_add_co_u32_e64 v20, s[4:5], -2, v20
	v_subb_co_u32_e32 v35, vcc, v3, v24, vcc
	v_addc_co_u32_e64 v21, s[4:5], -1, v21, s[4:5]
	v_mad_u64_u32 v[30:31], s[4:5], v27, s22, v[14:15]
	v_mov_b32_e32 v28, s37
	v_subrev_co_u32_e32 v29, vcc, s36, v4
	v_add_co_u32_e64 v4, s[0:1], 8, v4
	v_mov_b32_e32 v34, v31
	v_subb_co_u32_e32 v33, vcc, v5, v28, vcc
	v_mad_u64_u32 v[28:29], s[4:5], v29, s38, v[16:17]
	v_addc_co_u32_e64 v5, s[0:1], 0, v5, s[0:1]
	v_mad_u64_u32 v[34:35], s[0:1], v35, s22, v[34:35]
	v_mov_b32_e32 v32, v29
	v_mov_b32_e32 v31, v34
	v_cmp_eq_u64_e32 vcc, 0, v[20:21]
	v_mad_u64_u32 v[32:33], s[0:1], v33, s38, v[32:33]
	v_lshlrev_b64 v[30:31], 2, v[30:31]
	v_mov_b32_e32 v37, s15
	s_or_b64 s[26:27], vcc, s[26:27]
	v_mov_b32_e32 v29, v32
	v_add_co_u32_e32 v32, vcc, s14, v30
	v_lshlrev_b64 v[28:29], 2, v[28:29]
	v_addc_co_u32_e32 v33, vcc, v37, v31, vcc
	v_add_co_u32_e32 v34, vcc, s14, v28
	v_addc_co_u32_e32 v35, vcc, v37, v29, vcc
	v_mov_b32_e32 v40, s7
	v_add_co_u32_e32 v30, vcc, s6, v30
	v_add_co_u32_e64 v2, s[2:3], 8, v2
	v_addc_co_u32_e32 v31, vcc, v40, v31, vcc
	v_mov_b32_e32 v26, v7
	v_addc_co_u32_e64 v3, s[0:1], 0, v3, s[2:3]
	v_add_co_u32_e32 v28, vcc, s6, v28
	v_addc_co_u32_e32 v29, vcc, v40, v29, vcc
	s_waitcnt vmcnt(3)
	v_subrev_u32_e32 v25, s13, v25
	s_waitcnt vmcnt(2)
	v_subrev_u32_e32 v27, s35, v36
	v_mad_u64_u32 v[36:37], s[0:1], v25, s12, v[6:7]
	v_mad_u64_u32 v[26:27], s[0:1], v27, s39, v[26:27]
	global_store_dword v[32:33], v36, off
	global_store_dword v[34:35], v26, off
	s_waitcnt vmcnt(3)
	global_store_dword v[30:31], v38, off
	s_waitcnt vmcnt(3)
	global_store_dword v[28:29], v39, off
	s_andn2_b64 exec, exec, s[26:27]
	s_cbranch_execnz .LBB125_6
; %bb.7:
	s_or_b64 exec, exec, s[26:27]
	v_lshlrev_b64 v[2:3], 2, v[12:13]
	v_add_co_u32_e32 v0, vcc, v0, v2
	v_addc_co_u32_e32 v1, vcc, v1, v3, vcc
	v_cmp_ne_u64_e32 vcc, v[10:11], v[12:13]
	s_orn2_b64 s[2:3], vcc, exec
.LBB125_8:
	s_or_b64 exec, exec, s[24:25]
	s_and_b64 exec, exec, s[2:3]
	s_cbranch_execz .LBB125_11
; %bb.9:
	v_mad_u64_u32 v[2:3], s[0:1], v0, s18, 0
	v_mov_b32_e32 v4, v3
	v_mad_u64_u32 v[4:5], s[0:1], v1, s18, v[4:5]
	v_mov_b32_e32 v3, v4
	v_lshlrev_b64 v[2:3], 2, v[2:3]
	v_mad_u64_u32 v[4:5], s[2:3], s31, v23, v[0:1]
	v_add_co_u32_e32 v2, vcc, v8, v2
	v_mov_b32_e32 v8, v5
	v_addc_co_u32_e32 v3, vcc, v9, v3, vcc
	v_mad_u64_u32 v[8:9], s[2:3], s30, v23, v[8:9]
	v_mov_b32_e32 v5, v8
	v_mov_b32_e32 v7, s29
	v_add_co_u32_e32 v4, vcc, s28, v4
	v_addc_co_u32_e32 v5, vcc, v5, v7, vcc
	v_mov_b32_e32 v7, s9
	v_subrev_co_u32_e32 v8, vcc, s8, v4
	v_subb_co_u32_e32 v7, vcc, v5, v7, vcc
	v_pk_mov_b32 v[4:5], s[16:17], s[16:17] op_sel:[0,1]
	v_mad_u64_u32 v[4:5], s[2:3], v8, s22, v[4:5]
	v_mov_b32_e32 v8, v5
	v_mad_u64_u32 v[8:9], s[2:3], v7, s22, v[8:9]
	v_mov_b32_e32 v5, v8
	v_add_co_u32_e32 v4, vcc, v4, v22
	v_addc_co_u32_e32 v5, vcc, 0, v5, vcc
	v_lshlrev_b64 v[8:9], 2, v[0:1]
	s_lshl_b64 s[0:1], s[18:19], 4
	s_lshl_b64 s[2:3], s[22:23], 4
	v_mov_b32_e32 v7, s21
	v_add_co_u32_e32 v8, vcc, s20, v8
	v_lshlrev_b64 v[4:5], 2, v[4:5]
	v_addc_co_u32_e32 v9, vcc, v7, v9, vcc
	s_mov_b64 s[4:5], 0
	v_mov_b32_e32 v7, s15
	v_mov_b32_e32 v10, s7
	;; [unrolled: 1-line block ×4, first 2 shown]
.LBB125_10:                             ; =>This Inner Loop Header: Depth=1
	global_load_dword v13, v[8:9], off
	global_load_dword v18, v[2:3], off
	v_add_co_u32_e32 v14, vcc, s14, v4
	v_addc_co_u32_e32 v15, vcc, v7, v5, vcc
	v_add_co_u32_e32 v16, vcc, s6, v4
	v_addc_co_u32_e32 v17, vcc, v10, v5, vcc
	;; [unrolled: 2-line block ×6, first 2 shown]
	v_cmp_le_i64_e32 vcc, s[10:11], v[0:1]
	s_or_b64 s[4:5], vcc, s[4:5]
	s_waitcnt vmcnt(1)
	v_subrev_u32_e32 v13, s28, v13
	s_waitcnt vmcnt(0)
	global_store_dword v[16:17], v18, off
	v_mad_u64_u32 v[16:17], s[8:9], v13, s12, v[6:7]
	global_store_dword v[14:15], v16, off
	s_andn2_b64 exec, exec, s[4:5]
	s_cbranch_execnz .LBB125_10
.LBB125_11:
	s_endpgm
	.section	.rodata,"a",@progbits
	.p2align	6, 0x0
	.amdhsa_kernel _ZN9rocsparseL33bsr2csr_block_per_row_8_32_kernelILj1024ELj16EfliEEv20rocsparse_direction_T3_S2_21rocsparse_index_base_PKT1_PKT2_PKS2_S2_S3_PS4_PS7_PS2_
		.amdhsa_group_segment_fixed_size 0
		.amdhsa_private_segment_fixed_size 0
		.amdhsa_kernarg_size 72
		.amdhsa_user_sgpr_count 6
		.amdhsa_user_sgpr_private_segment_buffer 1
		.amdhsa_user_sgpr_dispatch_ptr 0
		.amdhsa_user_sgpr_queue_ptr 0
		.amdhsa_user_sgpr_kernarg_segment_ptr 1
		.amdhsa_user_sgpr_dispatch_id 0
		.amdhsa_user_sgpr_flat_scratch_init 0
		.amdhsa_user_sgpr_kernarg_preload_length 0
		.amdhsa_user_sgpr_kernarg_preload_offset 0
		.amdhsa_user_sgpr_private_segment_size 0
		.amdhsa_uses_dynamic_stack 0
		.amdhsa_system_sgpr_private_segment_wavefront_offset 0
		.amdhsa_system_sgpr_workgroup_id_x 1
		.amdhsa_system_sgpr_workgroup_id_y 0
		.amdhsa_system_sgpr_workgroup_id_z 0
		.amdhsa_system_sgpr_workgroup_info 0
		.amdhsa_system_vgpr_workitem_id 0
		.amdhsa_next_free_vgpr 41
		.amdhsa_next_free_sgpr 41
		.amdhsa_accum_offset 44
		.amdhsa_reserve_vcc 1
		.amdhsa_reserve_flat_scratch 0
		.amdhsa_float_round_mode_32 0
		.amdhsa_float_round_mode_16_64 0
		.amdhsa_float_denorm_mode_32 3
		.amdhsa_float_denorm_mode_16_64 3
		.amdhsa_dx10_clamp 1
		.amdhsa_ieee_mode 1
		.amdhsa_fp16_overflow 0
		.amdhsa_tg_split 0
		.amdhsa_exception_fp_ieee_invalid_op 0
		.amdhsa_exception_fp_denorm_src 0
		.amdhsa_exception_fp_ieee_div_zero 0
		.amdhsa_exception_fp_ieee_overflow 0
		.amdhsa_exception_fp_ieee_underflow 0
		.amdhsa_exception_fp_ieee_inexact 0
		.amdhsa_exception_int_div_zero 0
	.end_amdhsa_kernel
	.section	.text._ZN9rocsparseL33bsr2csr_block_per_row_8_32_kernelILj1024ELj16EfliEEv20rocsparse_direction_T3_S2_21rocsparse_index_base_PKT1_PKT2_PKS2_S2_S3_PS4_PS7_PS2_,"axG",@progbits,_ZN9rocsparseL33bsr2csr_block_per_row_8_32_kernelILj1024ELj16EfliEEv20rocsparse_direction_T3_S2_21rocsparse_index_base_PKT1_PKT2_PKS2_S2_S3_PS4_PS7_PS2_,comdat
.Lfunc_end125:
	.size	_ZN9rocsparseL33bsr2csr_block_per_row_8_32_kernelILj1024ELj16EfliEEv20rocsparse_direction_T3_S2_21rocsparse_index_base_PKT1_PKT2_PKS2_S2_S3_PS4_PS7_PS2_, .Lfunc_end125-_ZN9rocsparseL33bsr2csr_block_per_row_8_32_kernelILj1024ELj16EfliEEv20rocsparse_direction_T3_S2_21rocsparse_index_base_PKT1_PKT2_PKS2_S2_S3_PS4_PS7_PS2_
                                        ; -- End function
	.section	.AMDGPU.csdata,"",@progbits
; Kernel info:
; codeLenInByte = 1500
; NumSgprs: 45
; NumVgprs: 41
; NumAgprs: 0
; TotalNumVgprs: 41
; ScratchSize: 0
; MemoryBound: 0
; FloatMode: 240
; IeeeMode: 1
; LDSByteSize: 0 bytes/workgroup (compile time only)
; SGPRBlocks: 5
; VGPRBlocks: 5
; NumSGPRsForWavesPerEU: 45
; NumVGPRsForWavesPerEU: 41
; AccumOffset: 44
; Occupancy: 8
; WaveLimiterHint : 0
; COMPUTE_PGM_RSRC2:SCRATCH_EN: 0
; COMPUTE_PGM_RSRC2:USER_SGPR: 6
; COMPUTE_PGM_RSRC2:TRAP_HANDLER: 0
; COMPUTE_PGM_RSRC2:TGID_X_EN: 1
; COMPUTE_PGM_RSRC2:TGID_Y_EN: 0
; COMPUTE_PGM_RSRC2:TGID_Z_EN: 0
; COMPUTE_PGM_RSRC2:TIDIG_COMP_CNT: 0
; COMPUTE_PGM_RSRC3_GFX90A:ACCUM_OFFSET: 10
; COMPUTE_PGM_RSRC3_GFX90A:TG_SPLIT: 0
	.section	.text._ZN9rocsparseL33bsr2csr_block_per_row_8_32_kernelILj1024ELj32EfliEEv20rocsparse_direction_T3_S2_21rocsparse_index_base_PKT1_PKT2_PKS2_S2_S3_PS4_PS7_PS2_,"axG",@progbits,_ZN9rocsparseL33bsr2csr_block_per_row_8_32_kernelILj1024ELj32EfliEEv20rocsparse_direction_T3_S2_21rocsparse_index_base_PKT1_PKT2_PKS2_S2_S3_PS4_PS7_PS2_,comdat
	.globl	_ZN9rocsparseL33bsr2csr_block_per_row_8_32_kernelILj1024ELj32EfliEEv20rocsparse_direction_T3_S2_21rocsparse_index_base_PKT1_PKT2_PKS2_S2_S3_PS4_PS7_PS2_ ; -- Begin function _ZN9rocsparseL33bsr2csr_block_per_row_8_32_kernelILj1024ELj32EfliEEv20rocsparse_direction_T3_S2_21rocsparse_index_base_PKT1_PKT2_PKS2_S2_S3_PS4_PS7_PS2_
	.p2align	8
	.type	_ZN9rocsparseL33bsr2csr_block_per_row_8_32_kernelILj1024ELj32EfliEEv20rocsparse_direction_T3_S2_21rocsparse_index_base_PKT1_PKT2_PKS2_S2_S3_PS4_PS7_PS2_,@function
_ZN9rocsparseL33bsr2csr_block_per_row_8_32_kernelILj1024ELj32EfliEEv20rocsparse_direction_T3_S2_21rocsparse_index_base_PKT1_PKT2_PKS2_S2_S3_PS4_PS7_PS2_: ; @_ZN9rocsparseL33bsr2csr_block_per_row_8_32_kernelILj1024ELj32EfliEEv20rocsparse_direction_T3_S2_21rocsparse_index_base_PKT1_PKT2_PKS2_S2_S3_PS4_PS7_PS2_
; %bb.0:
	s_load_dwordx2 s[8:9], s[4:5], 0x18
	s_load_dwordx2 s[2:3], s[4:5], 0x28
	;; [unrolled: 1-line block ×3, first 2 shown]
	s_ashr_i32 s7, s6, 31
	s_lshl_b64 s[10:11], s[6:7], 3
	s_waitcnt lgkmcnt(0)
	s_add_u32 s8, s8, s10
	v_or_b32_e32 v1, s6, v0
	s_addc_u32 s9, s9, s11
	v_cmp_eq_u32_e32 vcc, 0, v1
	s_and_saveexec_b64 s[10:11], vcc
	s_cbranch_execz .LBB126_2
; %bb.1:
	v_mov_b32_e32 v2, s3
	v_mov_b32_e32 v3, 0
	global_store_dwordx2 v3, v[2:3], s[0:1]
.LBB126_2:
	s_or_b64 exec, exec, s[10:11]
	v_and_b32_e32 v8, 31, v0
	v_lshrrev_b32_e32 v9, 5, v0
	v_max_i32_e32 v0, v9, v8
	v_cmp_gt_i32_e32 vcc, s2, v0
	s_and_saveexec_b64 s[10:11], vcc
	s_cbranch_execz .LBB126_13
; %bb.3:
	s_load_dwordx4 s[12:15], s[8:9], 0x0
	s_load_dword s33, s[4:5], 0xc
	s_mul_i32 s20, s2, s2
	s_mul_i32 s6, s6, s2
	v_add_u32_e32 v2, s6, v9
	v_ashrrev_i32_e32 v3, 31, v2
	s_waitcnt lgkmcnt(0)
	s_sub_u32 s8, s12, s33
	s_subb_u32 s9, s13, 0
	s_sub_u32 s16, s14, s33
	s_mul_i32 s7, s9, s20
	s_mul_hi_u32 s10, s8, s20
	s_subb_u32 s17, s15, 0
	s_add_i32 s23, s10, s7
	s_sub_u32 s37, s16, s8
	s_mul_i32 s22, s8, s20
	s_subb_u32 s36, s17, s9
	s_mul_i32 s7, s36, s2
	s_mul_hi_u32 s10, s37, s2
	s_mul_i32 s18, s37, s2
	v_pk_mov_b32 v[0:1], s[22:23], s[22:23] op_sel:[0,1]
	s_add_i32 s7, s10, s7
	v_mad_u64_u32 v[4:5], s[10:11], s18, v9, v[0:1]
	v_mov_b32_e32 v0, v5
	v_mad_u64_u32 v[0:1], s[10:11], s7, v9, v[0:1]
	s_add_u32 s10, s18, s3
	s_addc_u32 s7, s7, 0
	v_mov_b32_e32 v5, v0
	v_mov_b32_e32 v1, s7
	v_add_co_u32_e32 v0, vcc, s10, v4
	v_addc_co_u32_e32 v1, vcc, v1, v5, vcc
	v_lshlrev_b64 v[2:3], 3, v[2:3]
	v_mov_b32_e32 v6, s1
	v_add_co_u32_e32 v2, vcc, s0, v2
	v_addc_co_u32_e32 v3, vcc, v6, v3, vcc
	global_store_dwordx2 v[2:3], v[0:1], off offset:8
	v_pk_mov_b32 v[0:1], s[14:15], s[14:15] op_sel:[0,1]
	v_cmp_ge_i64_e32 vcc, s[12:13], v[0:1]
	s_mov_b32 s21, 0
	s_cbranch_vccnz .LBB126_13
; %bb.4:
	s_load_dwordx2 s[24:25], s[4:5], 0x20
	s_load_dwordx2 s[14:15], s[4:5], 0x30
	s_load_dword s6, s[4:5], 0x0
	s_load_dwordx2 s[0:1], s[4:5], 0x10
	s_load_dwordx2 s[18:19], s[4:5], 0x40
	v_mov_b32_e32 v3, 0
	v_mul_lo_u32 v2, v8, s2
	v_lshlrev_b64 v[6:7], 2, v[2:3]
	s_waitcnt lgkmcnt(0)
	v_mov_b32_e32 v1, s1
	v_add_co_u32_e32 v2, vcc, s0, v6
	v_addc_co_u32_e32 v6, vcc, v1, v7, vcc
	v_lshlrev_b32_e32 v7, 2, v9
	v_add_co_u32_e32 v7, vcc, v2, v7
	v_mul_lo_u32 v2, v9, s2
	v_addc_co_u32_e32 v6, vcc, 0, v6, vcc
	v_lshlrev_b64 v[2:3], 2, v[2:3]
	v_add_co_u32_e32 v2, vcc, s0, v2
	v_addc_co_u32_e32 v1, vcc, v1, v3, vcc
	v_lshlrev_b32_e32 v3, 2, v8
	v_add_co_u32_e32 v10, vcc, v2, v3
	s_cmp_eq_u32 s6, 0
	v_addc_co_u32_e32 v1, vcc, 0, v1, vcc
	s_cselect_b64 vcc, -1, 0
	s_sub_u32 s0, s12, s33
	s_subb_u32 s1, s13, 0
	s_add_u32 s4, s0, 1
	s_addc_u32 s5, s1, 0
	v_pk_mov_b32 v[2:3], s[16:17], s[16:17] op_sel:[0,1]
	v_cmp_gt_i64_e64 s[0:1], s[4:5], v[2:3]
	s_and_b64 s[0:1], s[0:1], exec
	s_cselect_b32 s1, s4, s16
	s_cselect_b32 s0, s5, s17
	s_add_u32 s1, s1, s33
	s_addc_u32 s0, s0, 0
	s_sub_u32 s26, s1, s12
	s_subb_u32 s27, s0, s13
	s_cmp_lg_u32 s2, 1
	v_cmp_lt_u64_e64 s[0:1], s[26:27], 2
	s_cselect_b64 s[6:7], -1, 0
	s_or_b64 s[0:1], s[0:1], s[6:7]
	s_and_b64 s[0:1], exec, s[0:1]
	v_add_u32_e32 v0, s3, v8
	s_mov_b64 s[4:5], -1
	v_cndmask_b32_e32 v1, v6, v1, vcc
	v_cndmask_b32_e32 v2, v7, v10, vcc
	s_mov_b64 vcc, s[0:1]
	s_cbranch_vccnz .LBB126_9
; %bb.5:
	v_add_co_u32_e32 v4, vcc, v4, v8
	v_addc_co_u32_e32 v5, vcc, 0, v5, vcc
	s_and_b32 s28, s26, -2
	v_lshlrev_b64 v[6:7], 2, v[4:5]
	s_add_u32 s10, s8, 1
	v_mov_b32_e32 v5, s15
	v_add_co_u32_e32 v4, vcc, s14, v6
	s_addc_u32 s11, s9, 0
	s_lshl_b64 s[0:1], s[8:9], 2
	v_addc_co_u32_e32 v5, vcc, v5, v7, vcc
	s_mov_b32 s29, s27
	s_add_u32 s30, s24, s0
	v_mov_b32_e32 v10, s19
	v_add_co_u32_e32 v6, vcc, s18, v6
	s_mov_b64 s[4:5], s[8:9]
	s_mov_b32 s3, s33
	v_mov_b32_e32 v3, v0
	s_mov_b32 s38, s20
	s_addc_u32 s31, s25, s1
	v_addc_co_u32_e32 v7, vcc, v10, v7, vcc
	s_mov_b64 s[34:35], s[28:29]
	s_mov_b64 s[6:7], s[10:11]
.LBB126_6:                              ; =>This Inner Loop Header: Depth=1
	s_mul_i32 s1, s7, s38
	s_mul_hi_u32 s11, s6, s38
	s_mul_i32 s39, s5, s20
	s_mul_hi_u32 s40, s4, s20
	s_mul_i32 s0, s6, s38
	s_mul_i32 s10, s4, s20
	s_add_i32 s1, s11, s1
	s_add_i32 s11, s40, s39
	s_lshl_b64 s[10:11], s[10:11], 2
	s_lshl_b64 s[0:1], s[0:1], 2
	v_mov_b32_e32 v11, s11
	v_mov_b32_e32 v14, s1
	v_add_co_u32_e32 v10, vcc, s0, v2
	v_add_co_u32_e64 v12, s[0:1], s10, v2
	v_addc_co_u32_e64 v13, s[0:1], v1, v11, s[0:1]
	v_addc_co_u32_e32 v11, vcc, v1, v14, vcc
	global_load_dword v14, v[12:13], off
	global_load_dword v15, v[10:11], off
	s_load_dwordx2 s[0:1], s[30:31], 0x0
	s_waitcnt lgkmcnt(0)
	s_sub_i32 s0, s0, s33
	s_sub_i32 s1, s1, s3
	s_add_u32 s6, s6, 2
	s_addc_u32 s7, s7, 0
	s_add_u32 s4, s4, 2
	s_addc_u32 s5, s5, 0
	v_add_u32_e32 v11, s1, v3
	v_add_u32_e32 v10, s0, v0
	s_add_u32 s30, s30, 8
	global_store_dwordx2 v[6:7], v[10:11], off
	v_add_co_u32_e32 v6, vcc, 8, v6
	s_addc_u32 s31, s31, 0
	v_addc_co_u32_e32 v7, vcc, 0, v7, vcc
	s_add_u32 s34, s34, -2
	s_addc_u32 s35, s35, -1
	s_cmp_lg_u64 s[34:35], 0
	s_waitcnt vmcnt(1)
	global_store_dwordx2 v[4:5], v[14:15], off
	v_add_co_u32_e32 v4, vcc, 8, v4
	v_addc_co_u32_e32 v5, vcc, 0, v5, vcc
	s_cbranch_scc1 .LBB126_6
; %bb.7:
	s_cmp_eq_u64 s[26:27], s[28:29]
	s_cbranch_scc1 .LBB126_10
; %bb.8:
	s_add_u32 s8, s8, s28
	s_addc_u32 s9, s9, s29
	s_mul_i32 s0, s9, s20
	s_mul_hi_u32 s1, s8, s20
	s_add_i32 s1, s1, s0
	s_mul_i32 s0, s8, s20
	s_cbranch_execnz .LBB126_11
	s_branch .LBB126_13
.LBB126_9:
	s_mov_b64 s[0:1], s[22:23]
	s_and_b64 vcc, exec, s[4:5]
	s_cbranch_vccnz .LBB126_11
	s_branch .LBB126_13
.LBB126_10:
                                        ; implicit-def: $sgpr8_sgpr9
                                        ; implicit-def: $sgpr0_sgpr1
	s_branch .LBB126_13
.LBB126_11:
	s_lshl_b64 s[0:1], s[0:1], 2
	v_mov_b32_e32 v3, s1
	v_add_co_u32_e32 v2, vcc, s0, v2
	s_lshl_b64 s[0:1], s[20:21], 2
	s_add_u32 s4, s33, s8
	s_addc_u32 s5, 0, s9
	v_pk_mov_b32 v[4:5], s[4:5], s[4:5] op_sel:[0,1]
	v_mad_u64_u32 v[4:5], s[4:5], v9, s37, v[4:5]
	v_mov_b32_e32 v6, v5
	v_addc_co_u32_e32 v3, vcc, v1, v3, vcc
	v_mad_u64_u32 v[6:7], s[4:5], v9, s36, v[6:7]
	v_mov_b32_e32 v1, v6
	v_mov_b32_e32 v5, s13
	v_subrev_co_u32_e32 v6, vcc, s12, v4
	v_subb_co_u32_e32 v1, vcc, v1, v5, vcc
	v_pk_mov_b32 v[4:5], s[22:23], s[22:23] op_sel:[0,1]
	v_mad_u64_u32 v[4:5], s[4:5], v6, s2, v[4:5]
	v_mov_b32_e32 v6, v5
	s_mov_b32 s3, s21
	v_mad_u64_u32 v[6:7], s[4:5], v1, s2, v[6:7]
	v_mov_b32_e32 v1, v6
	v_add_co_u32_e32 v4, vcc, v4, v8
	s_lshl_b64 s[4:5], s[2:3], 2
	s_lshl_b64 s[6:7], s[8:9], 2
	v_addc_co_u32_e32 v5, vcc, 0, v1, vcc
	s_add_u32 s6, s24, s6
	v_lshlrev_b64 v[4:5], 2, v[4:5]
	s_addc_u32 s7, s25, s7
	v_mov_b32_e32 v1, s19
	v_mov_b32_e32 v8, s15
	;; [unrolled: 1-line block ×4, first 2 shown]
	v_pk_mov_b32 v[6:7], s[16:17], s[16:17] op_sel:[0,1]
.LBB126_12:                             ; =>This Inner Loop Header: Depth=1
	global_load_dword v11, v[2:3], off
	s_load_dword s1, s[6:7], 0x0
	v_add_co_u32_e32 v12, vcc, s18, v4
	v_addc_co_u32_e32 v13, vcc, v1, v5, vcc
	v_add_co_u32_e32 v14, vcc, s14, v4
	v_addc_co_u32_e32 v15, vcc, v8, v5, vcc
	;; [unrolled: 2-line block ×3, first 2 shown]
	s_waitcnt lgkmcnt(0)
	s_sub_i32 s1, s1, s33
	v_add_co_u32_e32 v4, vcc, s4, v4
	s_add_u32 s8, s8, 1
	v_addc_co_u32_e32 v5, vcc, v5, v10, vcc
	s_addc_u32 s9, s9, 0
	s_mul_i32 s1, s1, s2
	s_add_u32 s6, s6, 4
	v_cmp_lt_i64_e32 vcc, s[8:9], v[6:7]
	v_add_u32_e32 v16, s1, v0
	s_addc_u32 s7, s7, 0
	global_store_dword v[12:13], v16, off
	s_waitcnt vmcnt(1)
	global_store_dword v[14:15], v11, off
	s_cbranch_vccnz .LBB126_12
.LBB126_13:
	s_endpgm
	.section	.rodata,"a",@progbits
	.p2align	6, 0x0
	.amdhsa_kernel _ZN9rocsparseL33bsr2csr_block_per_row_8_32_kernelILj1024ELj32EfliEEv20rocsparse_direction_T3_S2_21rocsparse_index_base_PKT1_PKT2_PKS2_S2_S3_PS4_PS7_PS2_
		.amdhsa_group_segment_fixed_size 0
		.amdhsa_private_segment_fixed_size 0
		.amdhsa_kernarg_size 72
		.amdhsa_user_sgpr_count 6
		.amdhsa_user_sgpr_private_segment_buffer 1
		.amdhsa_user_sgpr_dispatch_ptr 0
		.amdhsa_user_sgpr_queue_ptr 0
		.amdhsa_user_sgpr_kernarg_segment_ptr 1
		.amdhsa_user_sgpr_dispatch_id 0
		.amdhsa_user_sgpr_flat_scratch_init 0
		.amdhsa_user_sgpr_kernarg_preload_length 0
		.amdhsa_user_sgpr_kernarg_preload_offset 0
		.amdhsa_user_sgpr_private_segment_size 0
		.amdhsa_uses_dynamic_stack 0
		.amdhsa_system_sgpr_private_segment_wavefront_offset 0
		.amdhsa_system_sgpr_workgroup_id_x 1
		.amdhsa_system_sgpr_workgroup_id_y 0
		.amdhsa_system_sgpr_workgroup_id_z 0
		.amdhsa_system_sgpr_workgroup_info 0
		.amdhsa_system_vgpr_workitem_id 0
		.amdhsa_next_free_vgpr 17
		.amdhsa_next_free_sgpr 41
		.amdhsa_accum_offset 20
		.amdhsa_reserve_vcc 1
		.amdhsa_reserve_flat_scratch 0
		.amdhsa_float_round_mode_32 0
		.amdhsa_float_round_mode_16_64 0
		.amdhsa_float_denorm_mode_32 3
		.amdhsa_float_denorm_mode_16_64 3
		.amdhsa_dx10_clamp 1
		.amdhsa_ieee_mode 1
		.amdhsa_fp16_overflow 0
		.amdhsa_tg_split 0
		.amdhsa_exception_fp_ieee_invalid_op 0
		.amdhsa_exception_fp_denorm_src 0
		.amdhsa_exception_fp_ieee_div_zero 0
		.amdhsa_exception_fp_ieee_overflow 0
		.amdhsa_exception_fp_ieee_underflow 0
		.amdhsa_exception_fp_ieee_inexact 0
		.amdhsa_exception_int_div_zero 0
	.end_amdhsa_kernel
	.section	.text._ZN9rocsparseL33bsr2csr_block_per_row_8_32_kernelILj1024ELj32EfliEEv20rocsparse_direction_T3_S2_21rocsparse_index_base_PKT1_PKT2_PKS2_S2_S3_PS4_PS7_PS2_,"axG",@progbits,_ZN9rocsparseL33bsr2csr_block_per_row_8_32_kernelILj1024ELj32EfliEEv20rocsparse_direction_T3_S2_21rocsparse_index_base_PKT1_PKT2_PKS2_S2_S3_PS4_PS7_PS2_,comdat
.Lfunc_end126:
	.size	_ZN9rocsparseL33bsr2csr_block_per_row_8_32_kernelILj1024ELj32EfliEEv20rocsparse_direction_T3_S2_21rocsparse_index_base_PKT1_PKT2_PKS2_S2_S3_PS4_PS7_PS2_, .Lfunc_end126-_ZN9rocsparseL33bsr2csr_block_per_row_8_32_kernelILj1024ELj32EfliEEv20rocsparse_direction_T3_S2_21rocsparse_index_base_PKT1_PKT2_PKS2_S2_S3_PS4_PS7_PS2_
                                        ; -- End function
	.section	.AMDGPU.csdata,"",@progbits
; Kernel info:
; codeLenInByte = 1156
; NumSgprs: 45
; NumVgprs: 17
; NumAgprs: 0
; TotalNumVgprs: 17
; ScratchSize: 0
; MemoryBound: 0
; FloatMode: 240
; IeeeMode: 1
; LDSByteSize: 0 bytes/workgroup (compile time only)
; SGPRBlocks: 5
; VGPRBlocks: 2
; NumSGPRsForWavesPerEU: 45
; NumVGPRsForWavesPerEU: 17
; AccumOffset: 20
; Occupancy: 8
; WaveLimiterHint : 0
; COMPUTE_PGM_RSRC2:SCRATCH_EN: 0
; COMPUTE_PGM_RSRC2:USER_SGPR: 6
; COMPUTE_PGM_RSRC2:TRAP_HANDLER: 0
; COMPUTE_PGM_RSRC2:TGID_X_EN: 1
; COMPUTE_PGM_RSRC2:TGID_Y_EN: 0
; COMPUTE_PGM_RSRC2:TGID_Z_EN: 0
; COMPUTE_PGM_RSRC2:TIDIG_COMP_CNT: 0
; COMPUTE_PGM_RSRC3_GFX90A:ACCUM_OFFSET: 4
; COMPUTE_PGM_RSRC3_GFX90A:TG_SPLIT: 0
	.section	.text._ZN9rocsparseL35bsr2csr_block_per_row_33_256_kernelILj1024ELj64ELj32EfliEEv20rocsparse_direction_T4_S2_21rocsparse_index_base_PKT2_PKT3_PKS2_S2_S3_PS4_PS7_PS2_,"axG",@progbits,_ZN9rocsparseL35bsr2csr_block_per_row_33_256_kernelILj1024ELj64ELj32EfliEEv20rocsparse_direction_T4_S2_21rocsparse_index_base_PKT2_PKT3_PKS2_S2_S3_PS4_PS7_PS2_,comdat
	.globl	_ZN9rocsparseL35bsr2csr_block_per_row_33_256_kernelILj1024ELj64ELj32EfliEEv20rocsparse_direction_T4_S2_21rocsparse_index_base_PKT2_PKT3_PKS2_S2_S3_PS4_PS7_PS2_ ; -- Begin function _ZN9rocsparseL35bsr2csr_block_per_row_33_256_kernelILj1024ELj64ELj32EfliEEv20rocsparse_direction_T4_S2_21rocsparse_index_base_PKT2_PKT3_PKS2_S2_S3_PS4_PS7_PS2_
	.p2align	8
	.type	_ZN9rocsparseL35bsr2csr_block_per_row_33_256_kernelILj1024ELj64ELj32EfliEEv20rocsparse_direction_T4_S2_21rocsparse_index_base_PKT2_PKT3_PKS2_S2_S3_PS4_PS7_PS2_,@function
_ZN9rocsparseL35bsr2csr_block_per_row_33_256_kernelILj1024ELj64ELj32EfliEEv20rocsparse_direction_T4_S2_21rocsparse_index_base_PKT2_PKT3_PKS2_S2_S3_PS4_PS7_PS2_: ; @_ZN9rocsparseL35bsr2csr_block_per_row_33_256_kernelILj1024ELj64ELj32EfliEEv20rocsparse_direction_T4_S2_21rocsparse_index_base_PKT2_PKT3_PKS2_S2_S3_PS4_PS7_PS2_
; %bb.0:
	s_load_dwordx2 s[2:3], s[4:5], 0x18
	s_load_dwordx2 s[12:13], s[4:5], 0x28
	;; [unrolled: 1-line block ×3, first 2 shown]
	s_ashr_i32 s7, s6, 31
	s_lshl_b64 s[8:9], s[6:7], 3
	s_waitcnt lgkmcnt(0)
	s_add_u32 s2, s2, s8
	s_addc_u32 s3, s3, s9
	s_load_dwordx4 s[8:11], s[2:3], 0x0
	v_or_b32_e32 v1, s6, v0
	s_mov_b32 s15, 0
	v_cmp_eq_u32_e32 vcc, 0, v1
	s_mov_b32 s16, s13
	s_and_saveexec_b64 s[2:3], vcc
	s_cbranch_execz .LBB127_2
; %bb.1:
	s_mov_b32 s17, s15
	v_mov_b32_e32 v1, 0
	v_pk_mov_b32 v[2:3], s[16:17], s[16:17] op_sel:[0,1]
	global_store_dwordx2 v1, v[2:3], s[0:1]
.LBB127_2:
	s_or_b64 exec, exec, s[2:3]
	s_load_dword s14, s[4:5], 0xc
	s_mul_i32 s24, s12, s12
	v_lshrrev_b32_e32 v1, 5, v0
	s_mul_i32 s25, s6, s12
	s_waitcnt lgkmcnt(0)
	s_sub_u32 s18, s8, s14
	s_subb_u32 s19, s9, 0
	s_mul_hi_u32 s2, s18, s24
	s_sub_u32 s20, s10, s14
	s_mul_i32 s3, s19, s24
	s_subb_u32 s21, s11, 0
	s_add_i32 s27, s2, s3
	s_sub_u32 s33, s20, s18
	s_subb_u32 s31, s21, s19
	s_mul_i32 s2, s31, s12
	s_mul_hi_u32 s3, s33, s12
	s_mul_i32 s26, s18, s24
	s_add_i32 s13, s3, s2
	s_add_u32 s2, s26, s16
	s_mul_i32 s17, s33, s12
	s_addc_u32 s3, s27, 0
	s_add_u32 s22, s2, s17
	s_addc_u32 s23, s3, s13
	v_cmp_gt_i32_e64 s[2:3], s12, v1
	s_and_saveexec_b64 s[6:7], s[2:3]
	s_cbranch_execz .LBB127_4
; %bb.3:
	v_pk_mov_b32 v[2:3], s[22:23], s[22:23] op_sel:[0,1]
	v_mad_u64_u32 v[2:3], s[28:29], s17, v1, v[2:3]
	v_mov_b32_e32 v4, v3
	v_mad_u64_u32 v[4:5], s[28:29], s13, v1, v[4:5]
	v_mov_b32_e32 v3, v4
	v_add_u32_e32 v4, s25, v1
	v_ashrrev_i32_e32 v5, 31, v4
	v_lshlrev_b64 v[4:5], 3, v[4:5]
	v_mov_b32_e32 v6, s1
	v_add_co_u32_e32 v4, vcc, s0, v4
	v_addc_co_u32_e32 v5, vcc, v6, v5, vcc
	global_store_dwordx2 v[4:5], v[2:3], off offset:8
.LBB127_4:
	s_or_b64 exec, exec, s[6:7]
	v_or_b32_e32 v14, 32, v1
	v_cmp_gt_i32_e64 s[6:7], s12, v14
	s_and_saveexec_b64 s[28:29], s[6:7]
	s_cbranch_execz .LBB127_6
; %bb.5:
	s_add_u32 s30, s0, 8
	v_pk_mov_b32 v[2:3], s[22:23], s[22:23] op_sel:[0,1]
	s_addc_u32 s34, s1, 0
	v_mad_u64_u32 v[2:3], s[0:1], s17, v14, v[2:3]
	v_mov_b32_e32 v4, v3
	v_mad_u64_u32 v[4:5], s[0:1], s13, v14, v[4:5]
	s_ashr_i32 s0, s25, 31
	v_mov_b32_e32 v3, v4
	v_mov_b32_e32 v5, s0
	v_add_co_u32_e32 v4, vcc, s25, v1
	v_addc_co_u32_e32 v5, vcc, 0, v5, vcc
	v_lshlrev_b64 v[4:5], 3, v[4:5]
	v_mov_b32_e32 v6, s34
	v_add_co_u32_e32 v4, vcc, s30, v4
	v_addc_co_u32_e32 v5, vcc, v6, v5, vcc
	global_store_dwordx2 v[4:5], v[2:3], off offset:256
.LBB127_6:
	s_or_b64 exec, exec, s[28:29]
	v_pk_mov_b32 v[2:3], s[10:11], s[10:11] op_sel:[0,1]
	v_cmp_lt_i64_e32 vcc, s[8:9], v[2:3]
	s_cbranch_vccz .LBB127_17
; %bb.7:
	s_load_dwordx2 s[34:35], s[4:5], 0x20
	s_load_dwordx2 s[28:29], s[4:5], 0x30
	;; [unrolled: 1-line block ×3, first 2 shown]
	s_load_dword s0, s[4:5], 0x0
	s_load_dwordx2 s[38:39], s[4:5], 0x40
	v_and_b32_e32 v2, 31, v0
	v_mul_lo_u32 v4, v1, s12
	v_mov_b32_e32 v5, 0
	s_waitcnt lgkmcnt(0)
	s_cmp_eq_u32 s0, 0
	s_cselect_b64 s[0:1], -1, 0
	s_lshl_b32 s17, s12, 5
	v_cmp_gt_i32_e32 vcc, s12, v2
	v_mov_b32_e32 v9, v5
	v_or_b32_e32 v3, 32, v2
	v_mov_b32_e32 v11, v5
	v_add_u32_e32 v6, s17, v4
	v_mov_b32_e32 v7, v5
	v_lshlrev_b64 v[4:5], 2, v[4:5]
	v_lshlrev_b32_e32 v15, 2, v2
	s_and_b64 s[10:11], s[2:3], vcc
	v_cmp_gt_i32_e64 s[4:5], s12, v3
	s_and_b64 s[22:23], s[6:7], vcc
	v_add_co_u32_e32 v4, vcc, v4, v15
	v_mul_lo_u32 v8, v2, s12
	s_and_b64 s[2:3], s[2:3], s[4:5]
	s_and_b64 s[4:5], s[6:7], s[4:5]
	v_addc_co_u32_e32 v5, vcc, 0, v5, vcc
	s_lshl_b64 s[26:27], s[26:27], 2
	v_lshlrev_b64 v[6:7], 2, v[6:7]
	s_mov_b32 s25, s15
	v_add_u32_e32 v10, s17, v8
	s_add_u32 s17, s36, s26
	v_add_co_u32_e32 v6, vcc, v6, v15
	s_addc_u32 s30, s37, s27
	s_lshl_b64 s[6:7], s[24:25], 2
	v_addc_co_u32_e32 v7, vcc, 0, v7, vcc
	v_lshlrev_b32_e32 v0, 2, v1
	v_lshlrev_b64 v[8:9], 2, v[8:9]
	s_lshl_b64 s[8:9], s[8:9], 2
	s_lshl_b64 s[24:25], s[14:15], 2
	v_add_co_u32_e32 v8, vcc, v0, v8
	s_sub_u32 s8, s8, s24
	v_addc_co_u32_e32 v9, vcc, 0, v9, vcc
	v_lshlrev_b64 v[10:11], 2, v[10:11]
	s_subb_u32 s9, s9, s25
	v_mad_u64_u32 v[12:13], s[24:25], v1, s33, 0
	v_add_co_u32_e32 v10, vcc, v0, v10
	v_mov_b32_e32 v0, v13
	v_mad_u64_u32 v[12:13], s[24:25], v12, s12, 0
	v_mad_u64_u32 v[0:1], s[24:25], v1, s31, v[0:1]
	v_mov_b32_e32 v16, v13
	v_mad_u64_u32 v[0:1], s[24:25], v0, s12, v[16:17]
	v_mov_b32_e32 v13, v0
	s_mov_b32 s13, s15
	v_addc_co_u32_e32 v11, vcc, 0, v11, vcc
	v_lshlrev_b64 v[0:1], 2, v[12:13]
	s_movk_i32 s15, 0x80
	v_add_co_u32_e32 v19, vcc, s15, v0
	v_addc_co_u32_e32 v20, vcc, 0, v1, vcc
	v_mov_b32_e32 v21, s39
	v_add_co_u32_e32 v12, vcc, s38, v19
	v_addc_co_u32_e32 v13, vcc, v21, v20, vcc
	v_mov_b32_e32 v1, s27
	v_add_co_u32_e32 v0, vcc, s26, v15
	v_mad_u64_u32 v[16:17], s[26:27], s33, v14, 0
	v_mov_b32_e32 v18, v17
	v_mad_u64_u32 v[16:17], s[26:27], v16, s12, 0
	v_mad_u64_u32 v[14:15], s[26:27], s31, v14, v[18:19]
	v_mov_b32_e32 v18, v17
	v_mad_u64_u32 v[14:15], s[26:27], v14, s12, v[18:19]
	v_mov_b32_e32 v17, v14
	v_addc_co_u32_e32 v1, vcc, 0, v1, vcc
	v_lshlrev_b64 v[16:17], 2, v[16:17]
	v_mov_b32_e32 v22, s29
	v_add_co_u32_e32 v14, vcc, s28, v16
	v_addc_co_u32_e32 v15, vcc, v22, v17, vcc
	v_add_co_u32_e32 v16, vcc, s38, v16
	v_addc_co_u32_e32 v17, vcc, v21, v17, vcc
	s_add_u32 s8, s34, s8
	v_add_co_u32_e32 v18, vcc, s28, v19
	s_addc_u32 s9, s35, s9
	s_lshl_b64 s[24:25], s[12:13], 2
	v_addc_co_u32_e32 v19, vcc, v22, v20, vcc
	s_branch .LBB127_9
.LBB127_8:                              ;   in Loop: Header=BB127_9 Depth=1
	s_or_b64 exec, exec, s[26:27]
	s_add_u32 s18, s18, 1
	s_addc_u32 s19, s19, 0
	s_add_u32 s17, s17, s6
	v_mov_b32_e32 v20, s25
	v_add_co_u32_e32 v0, vcc, s24, v0
	s_addc_u32 s30, s30, s7
	v_addc_co_u32_e32 v1, vcc, v1, v20, vcc
	v_pk_mov_b32 v[20:21], s[20:21], s[20:21] op_sel:[0,1]
	s_add_u32 s8, s8, 4
	v_cmp_ge_i64_e32 vcc, s[18:19], v[20:21]
	s_addc_u32 s9, s9, 0
	s_cbranch_vccnz .LBB127_17
.LBB127_9:                              ; =>This Inner Loop Header: Depth=1
	s_load_dword s13, s[8:9], 0x0
	s_waitcnt lgkmcnt(0)
	s_sub_i32 s13, s13, s14
	s_mul_i32 s13, s13, s12
	s_add_i32 s13, s13, s16
	v_add_u32_e32 v20, s13, v2
	s_and_saveexec_b64 s[26:27], s[10:11]
	s_cbranch_execnz .LBB127_13
; %bb.10:                               ;   in Loop: Header=BB127_9 Depth=1
	s_or_b64 exec, exec, s[26:27]
	v_add_u32_e32 v21, s13, v3
	s_and_saveexec_b64 s[26:27], s[2:3]
	s_cbranch_execnz .LBB127_14
.LBB127_11:                             ;   in Loop: Header=BB127_9 Depth=1
	s_or_b64 exec, exec, s[26:27]
	s_and_saveexec_b64 s[26:27], s[22:23]
	s_cbranch_execnz .LBB127_15
.LBB127_12:                             ;   in Loop: Header=BB127_9 Depth=1
	s_or_b64 exec, exec, s[26:27]
	s_and_saveexec_b64 s[26:27], s[4:5]
	s_cbranch_execz .LBB127_8
	s_branch .LBB127_16
.LBB127_13:                             ;   in Loop: Header=BB127_9 Depth=1
	v_cndmask_b32_e64 v22, v8, v4, s[0:1]
	v_cndmask_b32_e64 v21, v9, v5, s[0:1]
	v_mov_b32_e32 v23, s30
	v_add_co_u32_e32 v22, vcc, s17, v22
	v_addc_co_u32_e32 v23, vcc, v23, v21, vcc
	global_load_dword v21, v[22:23], off
	v_add_co_u32_e32 v22, vcc, v12, v0
	v_addc_co_u32_e32 v23, vcc, v13, v1, vcc
	global_store_dword v[22:23], v20, off offset:-128
	v_add_co_u32_e32 v22, vcc, v18, v0
	v_addc_co_u32_e32 v23, vcc, v19, v1, vcc
	s_waitcnt vmcnt(1)
	global_store_dword v[22:23], v21, off offset:-128
	s_or_b64 exec, exec, s[26:27]
	v_add_u32_e32 v21, s13, v3
	s_and_saveexec_b64 s[26:27], s[2:3]
	s_cbranch_execz .LBB127_11
.LBB127_14:                             ;   in Loop: Header=BB127_9 Depth=1
	v_mov_b32_e32 v22, s30
	v_add_co_u32_e32 v23, vcc, s17, v4
	v_addc_co_u32_e32 v24, vcc, v22, v5, vcc
	v_add_co_u32_e32 v25, vcc, 0x80, v23
	v_addc_co_u32_e32 v23, vcc, 0, v24, vcc
	;; [unrolled: 2-line block ×3, first 2 shown]
	v_cndmask_b32_e64 v23, v22, v23, s[0:1]
	v_cndmask_b32_e64 v22, v24, v25, s[0:1]
	global_load_dword v24, v[22:23], off
	v_add_co_u32_e32 v22, vcc, v12, v0
	v_addc_co_u32_e32 v23, vcc, v13, v1, vcc
	global_store_dword v[22:23], v21, off
	v_add_co_u32_e32 v22, vcc, v18, v0
	v_addc_co_u32_e32 v23, vcc, v19, v1, vcc
	s_waitcnt vmcnt(1)
	global_store_dword v[22:23], v24, off
	s_or_b64 exec, exec, s[26:27]
	s_and_saveexec_b64 s[26:27], s[22:23]
	s_cbranch_execz .LBB127_12
.LBB127_15:                             ;   in Loop: Header=BB127_9 Depth=1
	v_mov_b32_e32 v22, s30
	v_add_co_u32_e32 v24, vcc, s17, v6
	v_addc_co_u32_e32 v23, vcc, v22, v7, vcc
	v_add_co_u32_e32 v25, vcc, s17, v8
	v_addc_co_u32_e32 v22, vcc, v22, v9, vcc
	;; [unrolled: 2-line block ×3, first 2 shown]
	v_cndmask_b32_e64 v23, v22, v23, s[0:1]
	v_cndmask_b32_e64 v22, v25, v24, s[0:1]
	global_load_dword v24, v[22:23], off
	v_add_co_u32_e32 v22, vcc, v16, v0
	v_addc_co_u32_e32 v23, vcc, v17, v1, vcc
	global_store_dword v[22:23], v20, off
	v_add_co_u32_e32 v22, vcc, v14, v0
	v_addc_co_u32_e32 v23, vcc, v15, v1, vcc
	s_waitcnt vmcnt(1)
	global_store_dword v[22:23], v24, off
	s_or_b64 exec, exec, s[26:27]
	s_and_saveexec_b64 s[26:27], s[4:5]
	s_cbranch_execz .LBB127_8
.LBB127_16:                             ;   in Loop: Header=BB127_9 Depth=1
	v_cndmask_b32_e64 v22, v10, v6, s[0:1]
	v_cndmask_b32_e64 v20, v11, v7, s[0:1]
	v_mov_b32_e32 v23, s30
	v_add_co_u32_e32 v22, vcc, s17, v22
	v_addc_co_u32_e32 v23, vcc, v23, v20, vcc
	global_load_dword v24, v[22:23], off offset:128
	v_add_co_u32_e32 v22, vcc, v16, v0
	v_addc_co_u32_e32 v23, vcc, v17, v1, vcc
	v_add_co_u32_e32 v20, vcc, v14, v0
	global_store_dword v[22:23], v21, off offset:128
	v_addc_co_u32_e32 v21, vcc, v15, v1, vcc
	s_waitcnt vmcnt(1)
	global_store_dword v[20:21], v24, off offset:128
	s_branch .LBB127_8
.LBB127_17:
	s_endpgm
	.section	.rodata,"a",@progbits
	.p2align	6, 0x0
	.amdhsa_kernel _ZN9rocsparseL35bsr2csr_block_per_row_33_256_kernelILj1024ELj64ELj32EfliEEv20rocsparse_direction_T4_S2_21rocsparse_index_base_PKT2_PKT3_PKS2_S2_S3_PS4_PS7_PS2_
		.amdhsa_group_segment_fixed_size 0
		.amdhsa_private_segment_fixed_size 0
		.amdhsa_kernarg_size 72
		.amdhsa_user_sgpr_count 6
		.amdhsa_user_sgpr_private_segment_buffer 1
		.amdhsa_user_sgpr_dispatch_ptr 0
		.amdhsa_user_sgpr_queue_ptr 0
		.amdhsa_user_sgpr_kernarg_segment_ptr 1
		.amdhsa_user_sgpr_dispatch_id 0
		.amdhsa_user_sgpr_flat_scratch_init 0
		.amdhsa_user_sgpr_kernarg_preload_length 0
		.amdhsa_user_sgpr_kernarg_preload_offset 0
		.amdhsa_user_sgpr_private_segment_size 0
		.amdhsa_uses_dynamic_stack 0
		.amdhsa_system_sgpr_private_segment_wavefront_offset 0
		.amdhsa_system_sgpr_workgroup_id_x 1
		.amdhsa_system_sgpr_workgroup_id_y 0
		.amdhsa_system_sgpr_workgroup_id_z 0
		.amdhsa_system_sgpr_workgroup_info 0
		.amdhsa_system_vgpr_workitem_id 0
		.amdhsa_next_free_vgpr 26
		.amdhsa_next_free_sgpr 40
		.amdhsa_accum_offset 28
		.amdhsa_reserve_vcc 1
		.amdhsa_reserve_flat_scratch 0
		.amdhsa_float_round_mode_32 0
		.amdhsa_float_round_mode_16_64 0
		.amdhsa_float_denorm_mode_32 3
		.amdhsa_float_denorm_mode_16_64 3
		.amdhsa_dx10_clamp 1
		.amdhsa_ieee_mode 1
		.amdhsa_fp16_overflow 0
		.amdhsa_tg_split 0
		.amdhsa_exception_fp_ieee_invalid_op 0
		.amdhsa_exception_fp_denorm_src 0
		.amdhsa_exception_fp_ieee_div_zero 0
		.amdhsa_exception_fp_ieee_overflow 0
		.amdhsa_exception_fp_ieee_underflow 0
		.amdhsa_exception_fp_ieee_inexact 0
		.amdhsa_exception_int_div_zero 0
	.end_amdhsa_kernel
	.section	.text._ZN9rocsparseL35bsr2csr_block_per_row_33_256_kernelILj1024ELj64ELj32EfliEEv20rocsparse_direction_T4_S2_21rocsparse_index_base_PKT2_PKT3_PKS2_S2_S3_PS4_PS7_PS2_,"axG",@progbits,_ZN9rocsparseL35bsr2csr_block_per_row_33_256_kernelILj1024ELj64ELj32EfliEEv20rocsparse_direction_T4_S2_21rocsparse_index_base_PKT2_PKT3_PKS2_S2_S3_PS4_PS7_PS2_,comdat
.Lfunc_end127:
	.size	_ZN9rocsparseL35bsr2csr_block_per_row_33_256_kernelILj1024ELj64ELj32EfliEEv20rocsparse_direction_T4_S2_21rocsparse_index_base_PKT2_PKT3_PKS2_S2_S3_PS4_PS7_PS2_, .Lfunc_end127-_ZN9rocsparseL35bsr2csr_block_per_row_33_256_kernelILj1024ELj64ELj32EfliEEv20rocsparse_direction_T4_S2_21rocsparse_index_base_PKT2_PKT3_PKS2_S2_S3_PS4_PS7_PS2_
                                        ; -- End function
	.section	.AMDGPU.csdata,"",@progbits
; Kernel info:
; codeLenInByte = 1352
; NumSgprs: 44
; NumVgprs: 26
; NumAgprs: 0
; TotalNumVgprs: 26
; ScratchSize: 0
; MemoryBound: 0
; FloatMode: 240
; IeeeMode: 1
; LDSByteSize: 0 bytes/workgroup (compile time only)
; SGPRBlocks: 5
; VGPRBlocks: 3
; NumSGPRsForWavesPerEU: 44
; NumVGPRsForWavesPerEU: 26
; AccumOffset: 28
; Occupancy: 8
; WaveLimiterHint : 1
; COMPUTE_PGM_RSRC2:SCRATCH_EN: 0
; COMPUTE_PGM_RSRC2:USER_SGPR: 6
; COMPUTE_PGM_RSRC2:TRAP_HANDLER: 0
; COMPUTE_PGM_RSRC2:TGID_X_EN: 1
; COMPUTE_PGM_RSRC2:TGID_Y_EN: 0
; COMPUTE_PGM_RSRC2:TGID_Z_EN: 0
; COMPUTE_PGM_RSRC2:TIDIG_COMP_CNT: 0
; COMPUTE_PGM_RSRC3_GFX90A:ACCUM_OFFSET: 6
; COMPUTE_PGM_RSRC3_GFX90A:TG_SPLIT: 0
	.section	.text._ZN9rocsparseL35bsr2csr_block_per_row_33_256_kernelILj1024ELj128ELj32EfliEEv20rocsparse_direction_T4_S2_21rocsparse_index_base_PKT2_PKT3_PKS2_S2_S3_PS4_PS7_PS2_,"axG",@progbits,_ZN9rocsparseL35bsr2csr_block_per_row_33_256_kernelILj1024ELj128ELj32EfliEEv20rocsparse_direction_T4_S2_21rocsparse_index_base_PKT2_PKT3_PKS2_S2_S3_PS4_PS7_PS2_,comdat
	.globl	_ZN9rocsparseL35bsr2csr_block_per_row_33_256_kernelILj1024ELj128ELj32EfliEEv20rocsparse_direction_T4_S2_21rocsparse_index_base_PKT2_PKT3_PKS2_S2_S3_PS4_PS7_PS2_ ; -- Begin function _ZN9rocsparseL35bsr2csr_block_per_row_33_256_kernelILj1024ELj128ELj32EfliEEv20rocsparse_direction_T4_S2_21rocsparse_index_base_PKT2_PKT3_PKS2_S2_S3_PS4_PS7_PS2_
	.p2align	8
	.type	_ZN9rocsparseL35bsr2csr_block_per_row_33_256_kernelILj1024ELj128ELj32EfliEEv20rocsparse_direction_T4_S2_21rocsparse_index_base_PKT2_PKT3_PKS2_S2_S3_PS4_PS7_PS2_,@function
_ZN9rocsparseL35bsr2csr_block_per_row_33_256_kernelILj1024ELj128ELj32EfliEEv20rocsparse_direction_T4_S2_21rocsparse_index_base_PKT2_PKT3_PKS2_S2_S3_PS4_PS7_PS2_: ; @_ZN9rocsparseL35bsr2csr_block_per_row_33_256_kernelILj1024ELj128ELj32EfliEEv20rocsparse_direction_T4_S2_21rocsparse_index_base_PKT2_PKT3_PKS2_S2_S3_PS4_PS7_PS2_
; %bb.0:
	s_load_dwordx2 s[0:1], s[4:5], 0x18
	s_load_dwordx2 s[20:21], s[4:5], 0x28
	;; [unrolled: 1-line block ×3, first 2 shown]
	s_ashr_i32 s7, s6, 31
	s_lshl_b64 s[2:3], s[6:7], 3
	s_waitcnt lgkmcnt(0)
	s_add_u32 s0, s0, s2
	s_addc_u32 s1, s1, s3
	s_load_dwordx4 s[16:19], s[0:1], 0x0
	v_or_b32_e32 v1, s6, v0
	s_mov_b32 s23, 0
	v_cmp_eq_u32_e32 vcc, 0, v1
	s_mov_b32 s24, s21
	s_and_saveexec_b64 s[0:1], vcc
	s_cbranch_execz .LBB128_2
; %bb.1:
	s_mov_b32 s25, s23
	v_mov_b32_e32 v1, 0
	v_pk_mov_b32 v[2:3], s[24:25], s[24:25] op_sel:[0,1]
	global_store_dwordx2 v1, v[2:3], s[8:9]
.LBB128_2:
	s_or_b64 exec, exec, s[0:1]
	s_load_dword s22, s[4:5], 0xc
	s_mul_i32 s52, s20, s20
	v_lshrrev_b32_e32 v20, 5, v0
	s_mul_i32 s21, s6, s20
	v_cmp_gt_i32_e64 s[2:3], s20, v20
	s_waitcnt lgkmcnt(0)
	s_sub_u32 s26, s16, s22
	s_subb_u32 s27, s17, 0
	s_mul_hi_u32 s0, s26, s52
	s_sub_u32 s28, s18, s22
	s_mul_i32 s1, s27, s52
	s_subb_u32 s29, s19, 0
	s_add_i32 s51, s0, s1
	s_sub_u32 s61, s28, s26
	s_subb_u32 s60, s29, s27
	s_mul_i32 s0, s60, s20
	s_mul_hi_u32 s1, s61, s20
	s_mul_i32 s50, s26, s52
	s_add_i32 s14, s1, s0
	s_add_u32 s0, s50, s24
	s_mul_i32 s15, s61, s20
	s_addc_u32 s1, s51, 0
	s_add_u32 s0, s0, s15
	s_addc_u32 s1, s1, s14
	s_and_saveexec_b64 s[6:7], s[2:3]
	s_cbranch_execz .LBB128_4
; %bb.3:
	v_pk_mov_b32 v[2:3], s[0:1], s[0:1] op_sel:[0,1]
	v_mad_u64_u32 v[2:3], s[10:11], s15, v20, v[2:3]
	v_mov_b32_e32 v4, v3
	v_mad_u64_u32 v[4:5], s[10:11], s14, v20, v[4:5]
	v_mov_b32_e32 v3, v4
	v_add_u32_e32 v4, s21, v20
	v_ashrrev_i32_e32 v5, 31, v4
	v_lshlrev_b64 v[4:5], 3, v[4:5]
	v_mov_b32_e32 v1, s9
	v_add_co_u32_e32 v4, vcc, s8, v4
	v_addc_co_u32_e32 v5, vcc, v1, v5, vcc
	global_store_dwordx2 v[4:5], v[2:3], off offset:8
.LBB128_4:
	s_or_b64 exec, exec, s[6:7]
	s_add_u32 s25, s8, 8
	v_or_b32_e32 v28, 32, v20
	s_addc_u32 s30, s9, 0
	v_cmp_gt_i32_e64 s[6:7], s20, v28
	s_and_saveexec_b64 s[8:9], s[6:7]
	s_cbranch_execz .LBB128_6
; %bb.5:
	v_pk_mov_b32 v[2:3], s[0:1], s[0:1] op_sel:[0,1]
	v_mad_u64_u32 v[2:3], s[10:11], s15, v28, v[2:3]
	v_mov_b32_e32 v4, v3
	v_mad_u64_u32 v[4:5], s[10:11], s14, v28, v[4:5]
	s_ashr_i32 s10, s21, 31
	v_mov_b32_e32 v3, v4
	v_mov_b32_e32 v1, s10
	v_add_co_u32_e32 v4, vcc, s21, v20
	v_addc_co_u32_e32 v5, vcc, 0, v1, vcc
	v_lshlrev_b64 v[4:5], 3, v[4:5]
	v_mov_b32_e32 v1, s30
	v_add_co_u32_e32 v4, vcc, s25, v4
	v_addc_co_u32_e32 v5, vcc, v1, v5, vcc
	global_store_dwordx2 v[4:5], v[2:3], off offset:256
.LBB128_6:
	s_or_b64 exec, exec, s[8:9]
	v_or_b32_e32 v32, 64, v20
	v_cmp_gt_i32_e64 s[8:9], s20, v32
	s_and_saveexec_b64 s[10:11], s[8:9]
	s_cbranch_execz .LBB128_8
; %bb.7:
	v_pk_mov_b32 v[2:3], s[0:1], s[0:1] op_sel:[0,1]
	v_mad_u64_u32 v[2:3], s[12:13], s15, v32, v[2:3]
	v_mov_b32_e32 v4, v3
	v_mad_u64_u32 v[4:5], s[12:13], s14, v32, v[4:5]
	s_ashr_i32 s12, s21, 31
	v_mov_b32_e32 v3, v4
	v_mov_b32_e32 v1, s12
	v_add_co_u32_e32 v4, vcc, s21, v20
	v_addc_co_u32_e32 v5, vcc, 0, v1, vcc
	v_lshlrev_b64 v[4:5], 3, v[4:5]
	v_mov_b32_e32 v1, s30
	v_add_co_u32_e32 v4, vcc, s25, v4
	v_addc_co_u32_e32 v5, vcc, v1, v5, vcc
	global_store_dwordx2 v[4:5], v[2:3], off offset:512
.LBB128_8:
	s_or_b64 exec, exec, s[10:11]
	v_or_b32_e32 v24, 0x60, v20
	v_cmp_gt_i32_e64 s[10:11], s20, v24
	s_and_saveexec_b64 s[12:13], s[10:11]
	s_cbranch_execz .LBB128_10
; %bb.9:
	v_pk_mov_b32 v[2:3], s[0:1], s[0:1] op_sel:[0,1]
	v_mad_u64_u32 v[2:3], s[0:1], s15, v24, v[2:3]
	v_mov_b32_e32 v4, v3
	v_mad_u64_u32 v[4:5], s[0:1], s14, v24, v[4:5]
	s_ashr_i32 s0, s21, 31
	v_mov_b32_e32 v3, v4
	v_mov_b32_e32 v1, s0
	v_add_co_u32_e32 v4, vcc, s21, v20
	v_addc_co_u32_e32 v5, vcc, 0, v1, vcc
	v_lshlrev_b64 v[4:5], 3, v[4:5]
	v_mov_b32_e32 v1, s30
	v_add_co_u32_e32 v4, vcc, s25, v4
	v_addc_co_u32_e32 v5, vcc, v1, v5, vcc
	global_store_dwordx2 v[4:5], v[2:3], off offset:768
.LBB128_10:
	s_or_b64 exec, exec, s[12:13]
	v_pk_mov_b32 v[2:3], s[18:19], s[18:19] op_sel:[0,1]
	v_cmp_lt_i64_e32 vcc, s[16:17], v[2:3]
	s_cbranch_vccz .LBB128_45
; %bb.11:
	s_load_dwordx2 s[58:59], s[4:5], 0x20
	s_load_dwordx2 s[54:55], s[4:5], 0x30
	;; [unrolled: 1-line block ×3, first 2 shown]
	s_load_dword s0, s[4:5], 0x0
	s_load_dwordx2 s[56:57], s[4:5], 0x40
	v_and_b32_e32 v0, 31, v0
	v_mul_lo_u32 v4, v20, s20
	v_mov_b32_e32 v5, 0
	s_waitcnt lgkmcnt(0)
	s_cmp_eq_u32 s0, 0
	s_cselect_b64 s[0:1], -1, 0
	s_lshl_b32 s25, s20, 5
	v_cmp_gt_i32_e32 vcc, s20, v0
	v_mov_b32_e32 v13, v5
	v_mov_b32_e32 v15, v5
	;; [unrolled: 1-line block ×4, first 2 shown]
	v_add_u32_e32 v6, s25, v4
	v_mov_b32_e32 v7, v5
	v_mov_b32_e32 v9, v5
	;; [unrolled: 1-line block ×3, first 2 shown]
	v_lshlrev_b64 v[4:5], 2, v[4:5]
	v_lshlrev_b32_e32 v21, 2, v0
	s_and_b64 s[18:19], s[2:3], vcc
	s_and_b64 s[36:37], s[6:7], vcc
	s_and_b64 s[42:43], s[8:9], vcc
	s_and_b64 s[48:49], s[10:11], vcc
	v_add_co_u32_e32 v4, vcc, v4, v21
	v_add_u32_e32 v8, s25, v6
	v_addc_co_u32_e32 v5, vcc, 0, v5, vcc
	v_lshlrev_b64 v[6:7], 2, v[6:7]
	v_add_co_u32_e32 v6, vcc, v6, v21
	v_add_u32_e32 v10, s25, v8
	v_addc_co_u32_e32 v7, vcc, 0, v7, vcc
	v_lshlrev_b64 v[8:9], 2, v[8:9]
	v_add_co_u32_e32 v8, vcc, v8, v21
	v_addc_co_u32_e32 v9, vcc, 0, v9, vcc
	v_lshlrev_b64 v[10:11], 2, v[10:11]
	v_mul_lo_u32 v12, v0, s20
	v_or_b32_e32 v1, 32, v0
	v_or_b32_e32 v2, 64, v0
	;; [unrolled: 1-line block ×3, first 2 shown]
	v_add_co_u32_e32 v10, vcc, v10, v21
	v_cmp_gt_i32_e64 s[4:5], s20, v1
	v_add_u32_e32 v14, s25, v12
	v_cmp_gt_i32_e64 s[12:13], s20, v2
	v_cmp_gt_i32_e64 s[14:15], s20, v3
	v_addc_co_u32_e32 v11, vcc, 0, v11, vcc
	v_lshlrev_b32_e32 v21, 2, v20
	v_lshlrev_b64 v[12:13], 2, v[12:13]
	s_and_b64 s[30:31], s[2:3], s[4:5]
	s_and_b64 s[34:35], s[2:3], s[12:13]
	v_add_u32_e32 v16, s25, v14
	s_and_b64 s[2:3], s[2:3], s[14:15]
	s_and_b64 s[38:39], s[6:7], s[4:5]
	;; [unrolled: 1-line block ×10, first 2 shown]
	s_lshl_b64 s[14:15], s[50:51], 2
	v_add_co_u32_e32 v12, vcc, v21, v12
	s_mov_b32 s53, s23
	v_add_u32_e32 v18, s25, v16
	s_add_u32 s25, s62, s14
	v_addc_co_u32_e32 v13, vcc, 0, v13, vcc
	v_lshlrev_b64 v[14:15], 2, v[14:15]
	s_addc_u32 s33, s63, s15
	s_lshl_b64 s[14:15], s[52:53], 2
	v_add_co_u32_e32 v14, vcc, v21, v14
	s_lshl_b64 s[16:17], s[16:17], 2
	s_lshl_b64 s[52:53], s[22:23], 2
	v_addc_co_u32_e32 v15, vcc, 0, v15, vcc
	v_lshlrev_b64 v[16:17], 2, v[16:17]
	s_sub_u32 s16, s16, s52
	v_add_co_u32_e32 v16, vcc, v21, v16
	s_subb_u32 s17, s17, s53
	v_mad_u64_u32 v[22:23], s[52:53], v20, s61, 0
	v_pk_mov_b32 v[34:35], s[50:51], s[50:51] op_sel:[0,1]
	v_addc_co_u32_e32 v17, vcc, 0, v17, vcc
	v_lshlrev_b64 v[18:19], 2, v[18:19]
	v_mov_b32_e32 v26, v23
	v_mad_u64_u32 v[22:23], s[50:51], v22, s20, v[34:35]
	v_add_co_u32_e32 v18, vcc, v21, v18
	v_mad_u64_u32 v[20:21], s[52:53], v20, s60, v[26:27]
	v_mov_b32_e32 v26, v23
	v_addc_co_u32_e32 v19, vcc, 0, v19, vcc
	v_mad_u64_u32 v[20:21], s[50:51], v20, s20, v[26:27]
	v_mov_b32_e32 v21, v20
	v_add_co_u32_e32 v20, vcc, v22, v0
	v_addc_co_u32_e32 v21, vcc, 0, v21, vcc
	v_lshlrev_b64 v[22:23], 2, v[20:21]
	v_mov_b32_e32 v39, s57
	v_add_co_u32_e32 v20, vcc, s56, v22
	v_mad_u64_u32 v[26:27], s[52:53], s61, v24, 0
	v_addc_co_u32_e32 v21, vcc, v39, v23, vcc
	v_mov_b32_e32 v30, v27
	v_mad_u64_u32 v[26:27], s[52:53], v26, s20, v[34:35]
	v_mov_b32_e32 v40, s55
	v_add_co_u32_e32 v22, vcc, s54, v22
	v_mad_u64_u32 v[24:25], s[52:53], s60, v24, v[30:31]
	v_mov_b32_e32 v30, v27
	v_addc_co_u32_e32 v23, vcc, v40, v23, vcc
	v_mad_u64_u32 v[24:25], s[52:53], v24, s20, v[30:31]
	v_mov_b32_e32 v25, v24
	v_add_co_u32_e32 v24, vcc, v26, v0
	v_addc_co_u32_e32 v25, vcc, 0, v25, vcc
	v_lshlrev_b64 v[26:27], 2, v[24:25]
	v_add_co_u32_e32 v24, vcc, s54, v26
	v_mad_u64_u32 v[30:31], s[52:53], s61, v28, 0
	v_addc_co_u32_e32 v25, vcc, v40, v27, vcc
	v_mov_b32_e32 v36, v31
	v_mad_u64_u32 v[30:31], s[52:53], v30, s20, v[34:35]
	v_add_co_u32_e32 v26, vcc, s56, v26
	v_mad_u64_u32 v[28:29], s[52:53], s60, v28, v[36:37]
	v_mov_b32_e32 v36, v31
	v_addc_co_u32_e32 v27, vcc, v39, v27, vcc
	v_mad_u64_u32 v[28:29], s[52:53], v28, s20, v[36:37]
	v_mov_b32_e32 v29, v28
	v_add_co_u32_e32 v28, vcc, v30, v0
	v_addc_co_u32_e32 v29, vcc, 0, v29, vcc
	v_lshlrev_b64 v[30:31], 2, v[28:29]
	v_add_co_u32_e32 v28, vcc, s56, v30
	v_mad_u64_u32 v[36:37], s[52:53], s61, v32, 0
	v_addc_co_u32_e32 v29, vcc, v39, v31, vcc
	v_mov_b32_e32 v38, v37
	v_mad_u64_u32 v[34:35], s[52:53], v36, s20, v[34:35]
	v_add_co_u32_e32 v30, vcc, s54, v30
	v_mad_u64_u32 v[32:33], s[52:53], s60, v32, v[38:39]
	v_mov_b32_e32 v36, v35
	v_addc_co_u32_e32 v31, vcc, v40, v31, vcc
	v_mad_u64_u32 v[32:33], s[52:53], v32, s20, v[36:37]
	v_mov_b32_e32 v33, v32
	v_add_co_u32_e32 v32, vcc, v34, v0
	v_addc_co_u32_e32 v33, vcc, 0, v33, vcc
	v_lshlrev_b64 v[34:35], 2, v[32:33]
	v_add_co_u32_e32 v32, vcc, s54, v34
	v_addc_co_u32_e32 v33, vcc, v40, v35, vcc
	s_mov_b32 s21, s23
	s_add_u32 s16, s58, s16
	v_add_co_u32_e32 v34, vcc, s56, v34
	s_addc_u32 s17, s59, s17
	s_lshl_b64 s[50:51], s[20:21], 2
	v_addc_co_u32_e32 v35, vcc, v39, v35, vcc
	s_mov_b64 s[52:53], 0
	s_branch .LBB128_13
.LBB128_12:                             ;   in Loop: Header=BB128_13 Depth=1
	s_or_b64 exec, exec, s[54:55]
	s_add_u32 s26, s26, 1
	s_addc_u32 s27, s27, 0
	s_add_u32 s25, s25, s14
	s_addc_u32 s33, s33, s15
	;; [unrolled: 2-line block ×3, first 2 shown]
	v_pk_mov_b32 v[36:37], s[28:29], s[28:29] op_sel:[0,1]
	s_add_u32 s52, s52, s50
	v_cmp_ge_i64_e32 vcc, s[26:27], v[36:37]
	s_addc_u32 s53, s53, s51
	s_cbranch_vccnz .LBB128_45
.LBB128_13:                             ; =>This Inner Loop Header: Depth=1
	s_load_dword s21, s[16:17], 0x0
	s_waitcnt lgkmcnt(0)
	s_sub_i32 s21, s21, s22
	s_mul_i32 s21, s21, s20
	s_add_i32 s21, s21, s24
	v_add_u32_e32 v39, s21, v0
	s_and_saveexec_b64 s[54:55], s[18:19]
	s_cbranch_execnz .LBB128_29
; %bb.14:                               ;   in Loop: Header=BB128_13 Depth=1
	s_or_b64 exec, exec, s[54:55]
	v_add_u32_e32 v37, s21, v1
	s_and_saveexec_b64 s[54:55], s[30:31]
	s_cbranch_execnz .LBB128_30
.LBB128_15:                             ;   in Loop: Header=BB128_13 Depth=1
	s_or_b64 exec, exec, s[54:55]
	v_add_u32_e32 v36, s21, v2
	s_and_saveexec_b64 s[54:55], s[34:35]
	s_cbranch_execnz .LBB128_31
.LBB128_16:                             ;   in Loop: Header=BB128_13 Depth=1
	s_or_b64 exec, exec, s[54:55]
	v_add_u32_e32 v38, s21, v3
	s_and_saveexec_b64 s[54:55], s[2:3]
	s_cbranch_execnz .LBB128_32
.LBB128_17:                             ;   in Loop: Header=BB128_13 Depth=1
	s_or_b64 exec, exec, s[54:55]
	s_and_saveexec_b64 s[54:55], s[36:37]
	s_cbranch_execnz .LBB128_33
.LBB128_18:                             ;   in Loop: Header=BB128_13 Depth=1
	s_or_b64 exec, exec, s[54:55]
	s_and_saveexec_b64 s[54:55], s[38:39]
	s_cbranch_execnz .LBB128_34
.LBB128_19:                             ;   in Loop: Header=BB128_13 Depth=1
	s_or_b64 exec, exec, s[54:55]
	s_and_saveexec_b64 s[54:55], s[40:41]
	s_cbranch_execnz .LBB128_35
.LBB128_20:                             ;   in Loop: Header=BB128_13 Depth=1
	s_or_b64 exec, exec, s[54:55]
	s_and_saveexec_b64 s[54:55], s[6:7]
	s_cbranch_execnz .LBB128_36
.LBB128_21:                             ;   in Loop: Header=BB128_13 Depth=1
	s_or_b64 exec, exec, s[54:55]
	s_and_saveexec_b64 s[54:55], s[42:43]
	s_cbranch_execnz .LBB128_37
.LBB128_22:                             ;   in Loop: Header=BB128_13 Depth=1
	s_or_b64 exec, exec, s[54:55]
	s_and_saveexec_b64 s[54:55], s[44:45]
	s_cbranch_execnz .LBB128_38
.LBB128_23:                             ;   in Loop: Header=BB128_13 Depth=1
	s_or_b64 exec, exec, s[54:55]
	s_and_saveexec_b64 s[54:55], s[46:47]
	s_cbranch_execnz .LBB128_39
.LBB128_24:                             ;   in Loop: Header=BB128_13 Depth=1
	s_or_b64 exec, exec, s[54:55]
	s_and_saveexec_b64 s[54:55], s[8:9]
	s_cbranch_execnz .LBB128_40
.LBB128_25:                             ;   in Loop: Header=BB128_13 Depth=1
	s_or_b64 exec, exec, s[54:55]
	s_and_saveexec_b64 s[54:55], s[48:49]
	s_cbranch_execnz .LBB128_41
.LBB128_26:                             ;   in Loop: Header=BB128_13 Depth=1
	s_or_b64 exec, exec, s[54:55]
	s_and_saveexec_b64 s[54:55], s[4:5]
	s_cbranch_execnz .LBB128_42
.LBB128_27:                             ;   in Loop: Header=BB128_13 Depth=1
	s_or_b64 exec, exec, s[54:55]
	s_and_saveexec_b64 s[54:55], s[12:13]
	s_cbranch_execnz .LBB128_43
.LBB128_28:                             ;   in Loop: Header=BB128_13 Depth=1
	s_or_b64 exec, exec, s[54:55]
	s_and_saveexec_b64 s[54:55], s[10:11]
	s_cbranch_execz .LBB128_12
	s_branch .LBB128_44
.LBB128_29:                             ;   in Loop: Header=BB128_13 Depth=1
	v_cndmask_b32_e64 v36, v12, v4, s[0:1]
	v_cndmask_b32_e64 v37, v13, v5, s[0:1]
	v_mov_b32_e32 v38, s33
	v_add_co_u32_e32 v36, vcc, s25, v36
	v_addc_co_u32_e32 v37, vcc, v38, v37, vcc
	global_load_dword v38, v[36:37], off
	v_mov_b32_e32 v40, s53
	v_add_co_u32_e32 v36, vcc, s52, v20
	v_addc_co_u32_e32 v37, vcc, v21, v40, vcc
	global_store_dword v[36:37], v39, off
	v_add_co_u32_e32 v36, vcc, s52, v22
	v_addc_co_u32_e32 v37, vcc, v23, v40, vcc
	s_waitcnt vmcnt(1)
	global_store_dword v[36:37], v38, off
	s_or_b64 exec, exec, s[54:55]
	v_add_u32_e32 v37, s21, v1
	s_and_saveexec_b64 s[54:55], s[30:31]
	s_cbranch_execz .LBB128_15
.LBB128_30:                             ;   in Loop: Header=BB128_13 Depth=1
	v_mov_b32_e32 v36, s33
	v_add_co_u32_e32 v38, vcc, s25, v4
	v_addc_co_u32_e32 v40, vcc, v36, v5, vcc
	v_add_co_u32_e32 v38, vcc, 0x80, v38
	v_addc_co_u32_e32 v40, vcc, 0, v40, vcc
	;; [unrolled: 2-line block ×3, first 2 shown]
	v_cndmask_b32_e64 v41, v36, v40, s[0:1]
	v_cndmask_b32_e64 v40, v42, v38, s[0:1]
	global_load_dword v36, v[40:41], off
	v_mov_b32_e32 v38, s53
	v_add_co_u32_e32 v40, vcc, s52, v20
	v_addc_co_u32_e32 v41, vcc, v21, v38, vcc
	global_store_dword v[40:41], v37, off offset:128
	v_add_co_u32_e32 v40, vcc, s52, v22
	v_addc_co_u32_e32 v41, vcc, v23, v38, vcc
	s_waitcnt vmcnt(1)
	global_store_dword v[40:41], v36, off offset:128
	s_or_b64 exec, exec, s[54:55]
	v_add_u32_e32 v36, s21, v2
	s_and_saveexec_b64 s[54:55], s[34:35]
	s_cbranch_execz .LBB128_16
.LBB128_31:                             ;   in Loop: Header=BB128_13 Depth=1
	v_mov_b32_e32 v38, s33
	v_add_co_u32_e32 v40, vcc, s25, v4
	v_addc_co_u32_e32 v41, vcc, v38, v5, vcc
	v_add_co_u32_e32 v40, vcc, 0x100, v40
	v_addc_co_u32_e32 v41, vcc, 0, v41, vcc
	;; [unrolled: 2-line block ×3, first 2 shown]
	v_cndmask_b32_e64 v41, v38, v41, s[0:1]
	v_cndmask_b32_e64 v40, v42, v40, s[0:1]
	global_load_dword v38, v[40:41], off
	v_mov_b32_e32 v42, s53
	v_add_co_u32_e32 v40, vcc, s52, v20
	v_addc_co_u32_e32 v41, vcc, v21, v42, vcc
	global_store_dword v[40:41], v36, off offset:256
	v_add_co_u32_e32 v40, vcc, s52, v22
	v_addc_co_u32_e32 v41, vcc, v23, v42, vcc
	s_waitcnt vmcnt(1)
	global_store_dword v[40:41], v38, off offset:256
	s_or_b64 exec, exec, s[54:55]
	v_add_u32_e32 v38, s21, v3
	s_and_saveexec_b64 s[54:55], s[2:3]
	s_cbranch_execz .LBB128_17
.LBB128_32:                             ;   in Loop: Header=BB128_13 Depth=1
	v_mov_b32_e32 v40, s33
	v_add_co_u32_e32 v41, vcc, s25, v4
	v_addc_co_u32_e32 v42, vcc, v40, v5, vcc
	v_add_co_u32_e32 v43, vcc, 0x180, v41
	v_addc_co_u32_e32 v41, vcc, 0, v42, vcc
	;; [unrolled: 2-line block ×3, first 2 shown]
	v_cndmask_b32_e64 v41, v40, v41, s[0:1]
	v_cndmask_b32_e64 v40, v42, v43, s[0:1]
	global_load_dword v42, v[40:41], off
	v_mov_b32_e32 v43, s53
	v_add_co_u32_e32 v40, vcc, s52, v20
	v_addc_co_u32_e32 v41, vcc, v21, v43, vcc
	global_store_dword v[40:41], v38, off offset:384
	v_add_co_u32_e32 v40, vcc, s52, v22
	v_addc_co_u32_e32 v41, vcc, v23, v43, vcc
	s_waitcnt vmcnt(1)
	global_store_dword v[40:41], v42, off offset:384
	s_or_b64 exec, exec, s[54:55]
	s_and_saveexec_b64 s[54:55], s[36:37]
	s_cbranch_execz .LBB128_18
.LBB128_33:                             ;   in Loop: Header=BB128_13 Depth=1
	v_mov_b32_e32 v40, s33
	v_add_co_u32_e32 v42, vcc, s25, v6
	v_addc_co_u32_e32 v41, vcc, v40, v7, vcc
	v_add_co_u32_e32 v43, vcc, s25, v12
	v_addc_co_u32_e32 v40, vcc, v40, v13, vcc
	;; [unrolled: 2-line block ×3, first 2 shown]
	v_cndmask_b32_e64 v41, v40, v41, s[0:1]
	v_cndmask_b32_e64 v40, v43, v42, s[0:1]
	global_load_dword v42, v[40:41], off
	v_mov_b32_e32 v43, s53
	v_add_co_u32_e32 v40, vcc, s52, v28
	v_addc_co_u32_e32 v41, vcc, v29, v43, vcc
	global_store_dword v[40:41], v39, off
	v_add_co_u32_e32 v40, vcc, s52, v30
	v_addc_co_u32_e32 v41, vcc, v31, v43, vcc
	s_waitcnt vmcnt(1)
	global_store_dword v[40:41], v42, off
	s_or_b64 exec, exec, s[54:55]
	s_and_saveexec_b64 s[54:55], s[38:39]
	s_cbranch_execz .LBB128_19
.LBB128_34:                             ;   in Loop: Header=BB128_13 Depth=1
	v_cndmask_b32_e64 v40, v14, v6, s[0:1]
	v_cndmask_b32_e64 v41, v15, v7, s[0:1]
	v_mov_b32_e32 v42, s33
	v_add_co_u32_e32 v40, vcc, s25, v40
	v_addc_co_u32_e32 v41, vcc, v42, v41, vcc
	global_load_dword v42, v[40:41], off offset:128
	v_mov_b32_e32 v43, s53
	v_add_co_u32_e32 v40, vcc, s52, v28
	v_addc_co_u32_e32 v41, vcc, v29, v43, vcc
	global_store_dword v[40:41], v37, off offset:128
	v_add_co_u32_e32 v40, vcc, s52, v30
	v_addc_co_u32_e32 v41, vcc, v31, v43, vcc
	s_waitcnt vmcnt(1)
	global_store_dword v[40:41], v42, off offset:128
	s_or_b64 exec, exec, s[54:55]
	s_and_saveexec_b64 s[54:55], s[40:41]
	s_cbranch_execz .LBB128_20
.LBB128_35:                             ;   in Loop: Header=BB128_13 Depth=1
	v_mov_b32_e32 v40, s33
	v_add_co_u32_e32 v41, vcc, s25, v6
	v_addc_co_u32_e32 v42, vcc, v40, v7, vcc
	v_add_co_u32_e32 v43, vcc, 0x100, v41
	v_addc_co_u32_e32 v41, vcc, 0, v42, vcc
	;; [unrolled: 2-line block ×4, first 2 shown]
	v_cndmask_b32_e64 v41, v40, v41, s[0:1]
	v_cndmask_b32_e64 v40, v42, v43, s[0:1]
	global_load_dword v42, v[40:41], off
	v_mov_b32_e32 v43, s53
	v_add_co_u32_e32 v40, vcc, s52, v28
	v_addc_co_u32_e32 v41, vcc, v29, v43, vcc
	global_store_dword v[40:41], v36, off offset:256
	v_add_co_u32_e32 v40, vcc, s52, v30
	v_addc_co_u32_e32 v41, vcc, v31, v43, vcc
	s_waitcnt vmcnt(1)
	global_store_dword v[40:41], v42, off offset:256
	s_or_b64 exec, exec, s[54:55]
	s_and_saveexec_b64 s[54:55], s[6:7]
	s_cbranch_execz .LBB128_21
.LBB128_36:                             ;   in Loop: Header=BB128_13 Depth=1
	v_mov_b32_e32 v40, s33
	v_add_co_u32_e32 v41, vcc, s25, v6
	v_addc_co_u32_e32 v42, vcc, v40, v7, vcc
	v_add_co_u32_e32 v43, vcc, 0x180, v41
	v_addc_co_u32_e32 v41, vcc, 0, v42, vcc
	;; [unrolled: 2-line block ×4, first 2 shown]
	v_cndmask_b32_e64 v41, v40, v41, s[0:1]
	v_cndmask_b32_e64 v40, v42, v43, s[0:1]
	global_load_dword v42, v[40:41], off
	v_mov_b32_e32 v43, s53
	v_add_co_u32_e32 v40, vcc, s52, v28
	v_addc_co_u32_e32 v41, vcc, v29, v43, vcc
	global_store_dword v[40:41], v38, off offset:384
	v_add_co_u32_e32 v40, vcc, s52, v30
	v_addc_co_u32_e32 v41, vcc, v31, v43, vcc
	s_waitcnt vmcnt(1)
	global_store_dword v[40:41], v42, off offset:384
	s_or_b64 exec, exec, s[54:55]
	s_and_saveexec_b64 s[54:55], s[42:43]
	s_cbranch_execz .LBB128_22
.LBB128_37:                             ;   in Loop: Header=BB128_13 Depth=1
	v_mov_b32_e32 v40, s33
	v_add_co_u32_e32 v42, vcc, s25, v8
	v_addc_co_u32_e32 v41, vcc, v40, v9, vcc
	v_add_co_u32_e32 v43, vcc, s25, v12
	v_addc_co_u32_e32 v40, vcc, v40, v13, vcc
	;; [unrolled: 2-line block ×3, first 2 shown]
	v_cndmask_b32_e64 v41, v40, v41, s[0:1]
	v_cndmask_b32_e64 v40, v43, v42, s[0:1]
	global_load_dword v42, v[40:41], off
	v_mov_b32_e32 v43, s53
	v_add_co_u32_e32 v40, vcc, s52, v34
	v_addc_co_u32_e32 v41, vcc, v35, v43, vcc
	global_store_dword v[40:41], v39, off
	v_add_co_u32_e32 v40, vcc, s52, v32
	v_addc_co_u32_e32 v41, vcc, v33, v43, vcc
	s_waitcnt vmcnt(1)
	global_store_dword v[40:41], v42, off
	s_or_b64 exec, exec, s[54:55]
	s_and_saveexec_b64 s[54:55], s[44:45]
	s_cbranch_execz .LBB128_23
.LBB128_38:                             ;   in Loop: Header=BB128_13 Depth=1
	v_mov_b32_e32 v40, s33
	v_add_co_u32_e32 v41, vcc, s25, v8
	v_addc_co_u32_e32 v42, vcc, v40, v9, vcc
	v_add_co_u32_e32 v43, vcc, 0x80, v41
	v_addc_co_u32_e32 v41, vcc, 0, v42, vcc
	;; [unrolled: 2-line block ×4, first 2 shown]
	v_cndmask_b32_e64 v41, v40, v41, s[0:1]
	v_cndmask_b32_e64 v40, v42, v43, s[0:1]
	global_load_dword v42, v[40:41], off
	v_mov_b32_e32 v43, s53
	v_add_co_u32_e32 v40, vcc, s52, v34
	v_addc_co_u32_e32 v41, vcc, v35, v43, vcc
	global_store_dword v[40:41], v37, off offset:128
	v_add_co_u32_e32 v40, vcc, s52, v32
	v_addc_co_u32_e32 v41, vcc, v33, v43, vcc
	s_waitcnt vmcnt(1)
	global_store_dword v[40:41], v42, off offset:128
	s_or_b64 exec, exec, s[54:55]
	s_and_saveexec_b64 s[54:55], s[46:47]
	s_cbranch_execz .LBB128_24
.LBB128_39:                             ;   in Loop: Header=BB128_13 Depth=1
	v_cndmask_b32_e64 v40, v16, v8, s[0:1]
	v_cndmask_b32_e64 v41, v17, v9, s[0:1]
	v_mov_b32_e32 v42, s33
	v_add_co_u32_e32 v40, vcc, s25, v40
	v_addc_co_u32_e32 v41, vcc, v42, v41, vcc
	global_load_dword v42, v[40:41], off offset:256
	v_mov_b32_e32 v43, s53
	v_add_co_u32_e32 v40, vcc, s52, v34
	v_addc_co_u32_e32 v41, vcc, v35, v43, vcc
	global_store_dword v[40:41], v36, off offset:256
	v_add_co_u32_e32 v40, vcc, s52, v32
	v_addc_co_u32_e32 v41, vcc, v33, v43, vcc
	s_waitcnt vmcnt(1)
	global_store_dword v[40:41], v42, off offset:256
	s_or_b64 exec, exec, s[54:55]
	s_and_saveexec_b64 s[54:55], s[8:9]
	s_cbranch_execz .LBB128_25
.LBB128_40:                             ;   in Loop: Header=BB128_13 Depth=1
	v_mov_b32_e32 v40, s33
	v_add_co_u32_e32 v41, vcc, s25, v8
	v_addc_co_u32_e32 v42, vcc, v40, v9, vcc
	v_add_co_u32_e32 v43, vcc, 0x180, v41
	v_addc_co_u32_e32 v41, vcc, 0, v42, vcc
	v_add_co_u32_e32 v42, vcc, s25, v18
	v_addc_co_u32_e32 v40, vcc, v40, v19, vcc
	v_add_co_u32_e32 v42, vcc, 0x100, v42
	v_addc_co_u32_e32 v40, vcc, 0, v40, vcc
	v_cndmask_b32_e64 v41, v40, v41, s[0:1]
	v_cndmask_b32_e64 v40, v42, v43, s[0:1]
	global_load_dword v42, v[40:41], off
	v_mov_b32_e32 v43, s53
	v_add_co_u32_e32 v40, vcc, s52, v34
	v_addc_co_u32_e32 v41, vcc, v35, v43, vcc
	global_store_dword v[40:41], v38, off offset:384
	v_add_co_u32_e32 v40, vcc, s52, v32
	v_addc_co_u32_e32 v41, vcc, v33, v43, vcc
	s_waitcnt vmcnt(1)
	global_store_dword v[40:41], v42, off offset:384
	s_or_b64 exec, exec, s[54:55]
	s_and_saveexec_b64 s[54:55], s[48:49]
	s_cbranch_execz .LBB128_26
.LBB128_41:                             ;   in Loop: Header=BB128_13 Depth=1
	v_mov_b32_e32 v40, s33
	v_add_co_u32_e32 v42, vcc, s25, v10
	v_addc_co_u32_e32 v41, vcc, v40, v11, vcc
	v_add_co_u32_e32 v43, vcc, s25, v12
	v_addc_co_u32_e32 v40, vcc, v40, v13, vcc
	;; [unrolled: 2-line block ×3, first 2 shown]
	v_cndmask_b32_e64 v41, v40, v41, s[0:1]
	v_cndmask_b32_e64 v40, v43, v42, s[0:1]
	global_load_dword v42, v[40:41], off
	v_mov_b32_e32 v43, s53
	v_add_co_u32_e32 v40, vcc, s52, v26
	v_addc_co_u32_e32 v41, vcc, v27, v43, vcc
	global_store_dword v[40:41], v39, off
	v_add_co_u32_e32 v40, vcc, s52, v24
	v_addc_co_u32_e32 v41, vcc, v25, v43, vcc
	s_waitcnt vmcnt(1)
	global_store_dword v[40:41], v42, off
	s_or_b64 exec, exec, s[54:55]
	s_and_saveexec_b64 s[54:55], s[4:5]
	s_cbranch_execz .LBB128_27
.LBB128_42:                             ;   in Loop: Header=BB128_13 Depth=1
	v_mov_b32_e32 v39, s33
	v_add_co_u32_e32 v40, vcc, s25, v10
	v_addc_co_u32_e32 v41, vcc, v39, v11, vcc
	v_add_co_u32_e32 v40, vcc, 0x80, v40
	v_addc_co_u32_e32 v41, vcc, 0, v41, vcc
	;; [unrolled: 2-line block ×4, first 2 shown]
	v_cndmask_b32_e64 v41, v39, v41, s[0:1]
	v_cndmask_b32_e64 v40, v42, v40, s[0:1]
	global_load_dword v39, v[40:41], off
	v_mov_b32_e32 v42, s53
	v_add_co_u32_e32 v40, vcc, s52, v26
	v_addc_co_u32_e32 v41, vcc, v27, v42, vcc
	global_store_dword v[40:41], v37, off offset:128
	v_add_co_u32_e32 v40, vcc, s52, v24
	v_addc_co_u32_e32 v41, vcc, v25, v42, vcc
	s_waitcnt vmcnt(1)
	global_store_dword v[40:41], v39, off offset:128
	s_or_b64 exec, exec, s[54:55]
	s_and_saveexec_b64 s[54:55], s[12:13]
	s_cbranch_execz .LBB128_28
.LBB128_43:                             ;   in Loop: Header=BB128_13 Depth=1
	v_mov_b32_e32 v37, s33
	v_add_co_u32_e32 v39, vcc, s25, v10
	v_addc_co_u32_e32 v40, vcc, v37, v11, vcc
	v_add_co_u32_e32 v39, vcc, 0x100, v39
	v_addc_co_u32_e32 v40, vcc, 0, v40, vcc
	;; [unrolled: 2-line block ×4, first 2 shown]
	v_cndmask_b32_e64 v41, v37, v40, s[0:1]
	v_cndmask_b32_e64 v40, v42, v39, s[0:1]
	global_load_dword v39, v[40:41], off
	v_mov_b32_e32 v37, s53
	v_add_co_u32_e32 v40, vcc, s52, v26
	v_addc_co_u32_e32 v41, vcc, v27, v37, vcc
	global_store_dword v[40:41], v36, off offset:256
	v_add_co_u32_e32 v36, vcc, s52, v24
	v_addc_co_u32_e32 v37, vcc, v25, v37, vcc
	s_waitcnt vmcnt(1)
	global_store_dword v[36:37], v39, off offset:256
	s_or_b64 exec, exec, s[54:55]
	s_and_saveexec_b64 s[54:55], s[10:11]
	s_cbranch_execz .LBB128_12
.LBB128_44:                             ;   in Loop: Header=BB128_13 Depth=1
	v_cndmask_b32_e64 v36, v18, v10, s[0:1]
	v_cndmask_b32_e64 v37, v19, v11, s[0:1]
	v_mov_b32_e32 v39, s33
	v_add_co_u32_e32 v36, vcc, s25, v36
	v_addc_co_u32_e32 v37, vcc, v39, v37, vcc
	global_load_dword v39, v[36:37], off offset:384
	v_mov_b32_e32 v40, s53
	v_add_co_u32_e32 v36, vcc, s52, v26
	v_addc_co_u32_e32 v37, vcc, v27, v40, vcc
	global_store_dword v[36:37], v38, off offset:384
	v_add_co_u32_e32 v36, vcc, s52, v24
	v_addc_co_u32_e32 v37, vcc, v25, v40, vcc
	s_waitcnt vmcnt(1)
	global_store_dword v[36:37], v39, off offset:384
	s_branch .LBB128_12
.LBB128_45:
	s_endpgm
	.section	.rodata,"a",@progbits
	.p2align	6, 0x0
	.amdhsa_kernel _ZN9rocsparseL35bsr2csr_block_per_row_33_256_kernelILj1024ELj128ELj32EfliEEv20rocsparse_direction_T4_S2_21rocsparse_index_base_PKT2_PKT3_PKS2_S2_S3_PS4_PS7_PS2_
		.amdhsa_group_segment_fixed_size 0
		.amdhsa_private_segment_fixed_size 0
		.amdhsa_kernarg_size 72
		.amdhsa_user_sgpr_count 6
		.amdhsa_user_sgpr_private_segment_buffer 1
		.amdhsa_user_sgpr_dispatch_ptr 0
		.amdhsa_user_sgpr_queue_ptr 0
		.amdhsa_user_sgpr_kernarg_segment_ptr 1
		.amdhsa_user_sgpr_dispatch_id 0
		.amdhsa_user_sgpr_flat_scratch_init 0
		.amdhsa_user_sgpr_kernarg_preload_length 0
		.amdhsa_user_sgpr_kernarg_preload_offset 0
		.amdhsa_user_sgpr_private_segment_size 0
		.amdhsa_uses_dynamic_stack 0
		.amdhsa_system_sgpr_private_segment_wavefront_offset 0
		.amdhsa_system_sgpr_workgroup_id_x 1
		.amdhsa_system_sgpr_workgroup_id_y 0
		.amdhsa_system_sgpr_workgroup_id_z 0
		.amdhsa_system_sgpr_workgroup_info 0
		.amdhsa_system_vgpr_workitem_id 0
		.amdhsa_next_free_vgpr 44
		.amdhsa_next_free_sgpr 64
		.amdhsa_accum_offset 44
		.amdhsa_reserve_vcc 1
		.amdhsa_reserve_flat_scratch 0
		.amdhsa_float_round_mode_32 0
		.amdhsa_float_round_mode_16_64 0
		.amdhsa_float_denorm_mode_32 3
		.amdhsa_float_denorm_mode_16_64 3
		.amdhsa_dx10_clamp 1
		.amdhsa_ieee_mode 1
		.amdhsa_fp16_overflow 0
		.amdhsa_tg_split 0
		.amdhsa_exception_fp_ieee_invalid_op 0
		.amdhsa_exception_fp_denorm_src 0
		.amdhsa_exception_fp_ieee_div_zero 0
		.amdhsa_exception_fp_ieee_overflow 0
		.amdhsa_exception_fp_ieee_underflow 0
		.amdhsa_exception_fp_ieee_inexact 0
		.amdhsa_exception_int_div_zero 0
	.end_amdhsa_kernel
	.section	.text._ZN9rocsparseL35bsr2csr_block_per_row_33_256_kernelILj1024ELj128ELj32EfliEEv20rocsparse_direction_T4_S2_21rocsparse_index_base_PKT2_PKT3_PKS2_S2_S3_PS4_PS7_PS2_,"axG",@progbits,_ZN9rocsparseL35bsr2csr_block_per_row_33_256_kernelILj1024ELj128ELj32EfliEEv20rocsparse_direction_T4_S2_21rocsparse_index_base_PKT2_PKT3_PKS2_S2_S3_PS4_PS7_PS2_,comdat
.Lfunc_end128:
	.size	_ZN9rocsparseL35bsr2csr_block_per_row_33_256_kernelILj1024ELj128ELj32EfliEEv20rocsparse_direction_T4_S2_21rocsparse_index_base_PKT2_PKT3_PKS2_S2_S3_PS4_PS7_PS2_, .Lfunc_end128-_ZN9rocsparseL35bsr2csr_block_per_row_33_256_kernelILj1024ELj128ELj32EfliEEv20rocsparse_direction_T4_S2_21rocsparse_index_base_PKT2_PKT3_PKS2_S2_S3_PS4_PS7_PS2_
                                        ; -- End function
	.section	.AMDGPU.csdata,"",@progbits
; Kernel info:
; codeLenInByte = 3384
; NumSgprs: 68
; NumVgprs: 44
; NumAgprs: 0
; TotalNumVgprs: 44
; ScratchSize: 0
; MemoryBound: 0
; FloatMode: 240
; IeeeMode: 1
; LDSByteSize: 0 bytes/workgroup (compile time only)
; SGPRBlocks: 8
; VGPRBlocks: 5
; NumSGPRsForWavesPerEU: 68
; NumVGPRsForWavesPerEU: 44
; AccumOffset: 44
; Occupancy: 8
; WaveLimiterHint : 1
; COMPUTE_PGM_RSRC2:SCRATCH_EN: 0
; COMPUTE_PGM_RSRC2:USER_SGPR: 6
; COMPUTE_PGM_RSRC2:TRAP_HANDLER: 0
; COMPUTE_PGM_RSRC2:TGID_X_EN: 1
; COMPUTE_PGM_RSRC2:TGID_Y_EN: 0
; COMPUTE_PGM_RSRC2:TGID_Z_EN: 0
; COMPUTE_PGM_RSRC2:TIDIG_COMP_CNT: 0
; COMPUTE_PGM_RSRC3_GFX90A:ACCUM_OFFSET: 10
; COMPUTE_PGM_RSRC3_GFX90A:TG_SPLIT: 0
	.section	.text._ZN9rocsparseL35bsr2csr_block_per_row_33_256_kernelILj1024ELj256ELj32EfliEEv20rocsparse_direction_T4_S2_21rocsparse_index_base_PKT2_PKT3_PKS2_S2_S3_PS4_PS7_PS2_,"axG",@progbits,_ZN9rocsparseL35bsr2csr_block_per_row_33_256_kernelILj1024ELj256ELj32EfliEEv20rocsparse_direction_T4_S2_21rocsparse_index_base_PKT2_PKT3_PKS2_S2_S3_PS4_PS7_PS2_,comdat
	.globl	_ZN9rocsparseL35bsr2csr_block_per_row_33_256_kernelILj1024ELj256ELj32EfliEEv20rocsparse_direction_T4_S2_21rocsparse_index_base_PKT2_PKT3_PKS2_S2_S3_PS4_PS7_PS2_ ; -- Begin function _ZN9rocsparseL35bsr2csr_block_per_row_33_256_kernelILj1024ELj256ELj32EfliEEv20rocsparse_direction_T4_S2_21rocsparse_index_base_PKT2_PKT3_PKS2_S2_S3_PS4_PS7_PS2_
	.p2align	8
	.type	_ZN9rocsparseL35bsr2csr_block_per_row_33_256_kernelILj1024ELj256ELj32EfliEEv20rocsparse_direction_T4_S2_21rocsparse_index_base_PKT2_PKT3_PKS2_S2_S3_PS4_PS7_PS2_,@function
_ZN9rocsparseL35bsr2csr_block_per_row_33_256_kernelILj1024ELj256ELj32EfliEEv20rocsparse_direction_T4_S2_21rocsparse_index_base_PKT2_PKT3_PKS2_S2_S3_PS4_PS7_PS2_: ; @_ZN9rocsparseL35bsr2csr_block_per_row_33_256_kernelILj1024ELj256ELj32EfliEEv20rocsparse_direction_T4_S2_21rocsparse_index_base_PKT2_PKT3_PKS2_S2_S3_PS4_PS7_PS2_
; %bb.0:
	s_load_dwordx2 s[0:1], s[4:5], 0x18
	s_load_dwordx2 s[36:37], s[4:5], 0x28
	;; [unrolled: 1-line block ×3, first 2 shown]
	s_ashr_i32 s7, s6, 31
	s_lshl_b64 s[2:3], s[6:7], 3
	s_waitcnt lgkmcnt(0)
	s_add_u32 s0, s0, s2
	s_addc_u32 s1, s1, s3
	s_load_dwordx4 s[20:23], s[0:1], 0x0
	v_or_b32_e32 v1, s6, v0
	s_mov_b32 s39, 0
	v_cmp_eq_u32_e32 vcc, 0, v1
	s_mov_b32 s38, s37
	s_and_saveexec_b64 s[0:1], vcc
	s_cbranch_execz .LBB129_2
; %bb.1:
	v_mov_b32_e32 v1, 0
	v_pk_mov_b32 v[2:3], s[38:39], s[38:39] op_sel:[0,1]
	global_store_dwordx2 v1, v[2:3], s[8:9]
.LBB129_2:
	s_or_b64 exec, exec, s[0:1]
	s_load_dword s1, s[4:5], 0xc
	s_mul_i32 s37, s36, s36
                                        ; implicit-def: $vgpr78 : SGPR spill to VGPR lane
	v_lshrrev_b32_e32 v18, 5, v0
	s_mul_i32 s28, s6, s36
	v_cmp_gt_i32_e64 s[2:3], s36, v18
	s_waitcnt lgkmcnt(0)
	s_sub_u32 s48, s20, s1
	s_subb_u32 s49, s21, 0
	s_mul_hi_u32 s0, s48, s37
	v_writelane_b32 v78, s1, 0
	s_sub_u32 s42, s22, s1
	s_mul_i32 s1, s49, s37
	s_subb_u32 s43, s23, 0
	s_add_i32 s45, s0, s1
	s_sub_u32 s39, s42, s48
	s_subb_u32 s33, s43, s49
	s_mul_i32 s0, s33, s36
	s_mul_hi_u32 s1, s39, s36
	s_mul_i32 s44, s48, s37
	s_add_i32 s26, s1, s0
	s_add_u32 s0, s44, s38
	s_mul_i32 s27, s39, s36
	s_addc_u32 s1, s45, 0
	s_add_u32 s0, s0, s27
	s_addc_u32 s1, s1, s26
	s_and_saveexec_b64 s[6:7], s[2:3]
	s_cbranch_execz .LBB129_4
; %bb.3:
	v_pk_mov_b32 v[2:3], s[0:1], s[0:1] op_sel:[0,1]
	v_mad_u64_u32 v[2:3], s[10:11], s27, v18, v[2:3]
	v_mov_b32_e32 v4, v3
	v_mad_u64_u32 v[4:5], s[10:11], s26, v18, v[4:5]
	v_mov_b32_e32 v3, v4
	v_add_u32_e32 v4, s28, v18
	v_ashrrev_i32_e32 v5, 31, v4
	v_lshlrev_b64 v[4:5], 3, v[4:5]
	v_mov_b32_e32 v1, s9
	v_add_co_u32_e32 v4, vcc, s8, v4
	v_addc_co_u32_e32 v5, vcc, v1, v5, vcc
	global_store_dwordx2 v[4:5], v[2:3], off offset:8
.LBB129_4:
	s_or_b64 exec, exec, s[6:7]
	s_add_u32 s29, s8, 8
	v_or_b32_e32 v1, 32, v18
	s_addc_u32 s30, s9, 0
	v_cmp_gt_i32_e64 s[6:7], s36, v1
	s_and_saveexec_b64 s[8:9], s[6:7]
	s_cbranch_execz .LBB129_6
; %bb.5:
	v_pk_mov_b32 v[2:3], s[0:1], s[0:1] op_sel:[0,1]
	v_mad_u64_u32 v[2:3], s[10:11], s27, v1, v[2:3]
	v_mov_b32_e32 v4, v3
	v_mad_u64_u32 v[4:5], s[10:11], s26, v1, v[4:5]
	s_ashr_i32 s10, s28, 31
	v_mov_b32_e32 v3, v4
	v_mov_b32_e32 v5, s10
	v_add_co_u32_e32 v4, vcc, s28, v18
	v_addc_co_u32_e32 v5, vcc, 0, v5, vcc
	v_lshlrev_b64 v[4:5], 3, v[4:5]
	v_mov_b32_e32 v6, s30
	v_add_co_u32_e32 v4, vcc, s29, v4
	v_addc_co_u32_e32 v5, vcc, v6, v5, vcc
	global_store_dwordx2 v[4:5], v[2:3], off offset:256
.LBB129_6:
	s_or_b64 exec, exec, s[8:9]
	v_or_b32_e32 v19, 64, v18
	v_cmp_gt_i32_e64 s[8:9], s36, v19
	s_and_saveexec_b64 s[10:11], s[8:9]
	s_cbranch_execz .LBB129_8
; %bb.7:
	v_pk_mov_b32 v[2:3], s[0:1], s[0:1] op_sel:[0,1]
	v_mad_u64_u32 v[2:3], s[12:13], s27, v19, v[2:3]
	v_mov_b32_e32 v4, v3
	v_mad_u64_u32 v[4:5], s[12:13], s26, v19, v[4:5]
	s_ashr_i32 s12, s28, 31
	v_mov_b32_e32 v3, v4
	v_mov_b32_e32 v5, s12
	v_add_co_u32_e32 v4, vcc, s28, v18
	v_addc_co_u32_e32 v5, vcc, 0, v5, vcc
	v_lshlrev_b64 v[4:5], 3, v[4:5]
	v_mov_b32_e32 v6, s30
	v_add_co_u32_e32 v4, vcc, s29, v4
	v_addc_co_u32_e32 v5, vcc, v6, v5, vcc
	global_store_dwordx2 v[4:5], v[2:3], off offset:512
.LBB129_8:
	s_or_b64 exec, exec, s[10:11]
	v_or_b32_e32 v20, 0x60, v18
	;; [unrolled: 21-line block ×6, first 2 shown]
	v_cmp_gt_i32_e64 s[18:19], s36, v24
	s_and_saveexec_b64 s[24:25], s[18:19]
	s_cbranch_execz .LBB129_18
; %bb.17:
	v_pk_mov_b32 v[2:3], s[0:1], s[0:1] op_sel:[0,1]
	v_mad_u64_u32 v[2:3], s[0:1], s27, v24, v[2:3]
	v_mov_b32_e32 v4, v3
	v_mad_u64_u32 v[4:5], s[0:1], s26, v24, v[4:5]
	s_ashr_i32 s0, s28, 31
	v_mov_b32_e32 v3, v4
	v_mov_b32_e32 v5, s0
	v_add_co_u32_e32 v4, vcc, s28, v18
	v_addc_co_u32_e32 v5, vcc, 0, v5, vcc
	v_lshlrev_b64 v[4:5], 3, v[4:5]
	v_mov_b32_e32 v6, s30
	v_add_co_u32_e32 v4, vcc, s29, v4
	v_addc_co_u32_e32 v5, vcc, v6, v5, vcc
	global_store_dwordx2 v[4:5], v[2:3], off offset:1792
.LBB129_18:
	s_or_b64 exec, exec, s[24:25]
	v_pk_mov_b32 v[2:3], s[22:23], s[22:23] op_sel:[0,1]
	v_cmp_lt_i64_e32 vcc, s[20:21], v[2:3]
	s_cbranch_vccz .LBB129_149
; %bb.19:
	s_load_dword s0, s[4:5], 0x0
	s_load_dwordx2 s[46:47], s[4:5], 0x30
	s_load_dwordx2 s[22:23], s[4:5], 0x10
	v_and_b32_e32 v0, 31, v0
	v_cmp_gt_i32_e32 vcc, s36, v0
	v_or_b32_e32 v52, 32, v0
	s_waitcnt lgkmcnt(0)
	s_cmp_eq_u32 s0, 0
	v_writelane_b32 v78, s22, 1
	v_writelane_b32 v78, s23, 2
	s_cselect_b64 s[0:1], -1, 0
	s_and_b64 s[40:41], s[2:3], vcc
	v_cmp_gt_i32_e64 s[20:21], s36, v52
	v_writelane_b32 v78, s40, 3
	v_or_b32_e32 v53, 64, v0
	v_writelane_b32 v78, s41, 4
	s_and_b64 s[40:41], s[2:3], s[20:21]
	v_cmp_gt_i32_e64 s[22:23], s36, v53
	v_writelane_b32 v78, s40, 5
	v_or_b32_e32 v54, 0x60, v0
	v_writelane_b32 v78, s41, 6
	s_and_b64 s[40:41], s[2:3], s[22:23]
	;; [unrolled: 5-line block ×6, first 2 shown]
	v_cmp_gt_i32_e64 s[34:35], s36, v58
	v_writelane_b32 v78, s40, 15
	v_writelane_b32 v78, s41, 16
	s_and_b64 s[2:3], s[2:3], s[34:35]
	v_writelane_b32 v78, s2, 17
	v_writelane_b32 v78, s3, 18
	s_and_b64 s[2:3], s[6:7], vcc
	v_writelane_b32 v78, s2, 19
	v_writelane_b32 v78, s3, 20
	s_and_b64 s[2:3], s[6:7], s[20:21]
	v_writelane_b32 v78, s2, 21
	v_writelane_b32 v78, s3, 22
	s_and_b64 s[2:3], s[6:7], s[22:23]
	v_writelane_b32 v78, s2, 23
	v_writelane_b32 v78, s3, 24
	s_and_b64 s[2:3], s[6:7], s[24:25]
	v_writelane_b32 v78, s2, 25
	v_writelane_b32 v78, s3, 26
	s_and_b64 s[2:3], s[6:7], s[26:27]
	v_writelane_b32 v78, s2, 27
	v_writelane_b32 v78, s3, 28
	s_and_b64 s[2:3], s[6:7], s[28:29]
	v_writelane_b32 v78, s2, 29
	v_writelane_b32 v78, s3, 30
	s_and_b64 s[2:3], s[6:7], s[30:31]
	v_writelane_b32 v78, s2, 31
	v_writelane_b32 v78, s3, 32
	s_and_b64 s[2:3], s[6:7], s[34:35]
	v_writelane_b32 v78, s2, 33
	v_writelane_b32 v78, s3, 34
	s_and_b64 s[2:3], s[8:9], vcc
	v_writelane_b32 v78, s2, 35
	v_writelane_b32 v78, s3, 36
	s_and_b64 s[2:3], s[8:9], s[20:21]
	v_writelane_b32 v78, s2, 37
	v_writelane_b32 v78, s3, 38
	s_and_b64 s[2:3], s[8:9], s[22:23]
	v_writelane_b32 v78, s2, 39
	v_writelane_b32 v78, s3, 40
	s_and_b64 s[2:3], s[8:9], s[24:25]
	v_writelane_b32 v78, s2, 41
	v_writelane_b32 v78, s3, 42
	s_and_b64 s[2:3], s[8:9], s[26:27]
	v_writelane_b32 v78, s2, 43
	v_writelane_b32 v78, s3, 44
	s_and_b64 s[2:3], s[8:9], s[28:29]
	v_writelane_b32 v78, s2, 45
	v_writelane_b32 v78, s3, 46
	s_and_b64 s[2:3], s[8:9], s[30:31]
	;; [unrolled: 24-line block ×3, first 2 shown]
                                        ; implicit-def: $vgpr77 : SGPR spill to VGPR lane
	v_writelane_b32 v78, s2, 63
	v_writelane_b32 v77, s3, 0
	s_and_b64 s[2:3], s[10:11], s[34:35]
	v_writelane_b32 v77, s2, 1
	v_writelane_b32 v77, s3, 2
	s_and_b64 s[2:3], s[12:13], vcc
	v_writelane_b32 v77, s2, 3
	v_writelane_b32 v77, s3, 4
	s_and_b64 s[2:3], s[12:13], s[20:21]
	v_writelane_b32 v77, s2, 5
	v_writelane_b32 v77, s3, 6
	s_and_b64 s[2:3], s[12:13], s[22:23]
	;; [unrolled: 3-line block ×7, first 2 shown]
	v_writelane_b32 v77, s2, 17
	v_writelane_b32 v77, s3, 18
	s_and_b64 s[2:3], s[14:15], vcc
	v_writelane_b32 v77, s2, 19
	v_writelane_b32 v77, s3, 20
	s_and_b64 s[2:3], s[14:15], s[20:21]
	v_writelane_b32 v77, s2, 21
	v_writelane_b32 v77, s3, 22
	s_and_b64 s[2:3], s[14:15], s[22:23]
	;; [unrolled: 3-line block ×7, first 2 shown]
	s_and_b64 s[82:83], s[16:17], vcc
	s_and_b64 s[84:85], s[16:17], s[20:21]
	s_and_b64 s[86:87], s[16:17], s[22:23]
	s_and_b64 s[88:89], s[16:17], s[24:25]
	s_and_b64 s[90:91], s[16:17], s[26:27]
	s_and_b64 s[8:9], s[16:17], s[28:29]
	s_and_b64 s[92:93], s[16:17], s[30:31]
	s_and_b64 s[16:17], s[16:17], s[34:35]
	s_and_b64 s[94:95], s[18:19], vcc
	s_and_b64 s[20:21], s[18:19], s[20:21]
	s_and_b64 s[22:23], s[18:19], s[22:23]
	;; [unrolled: 1-line block ×7, first 2 shown]
	v_mad_u64_u32 v[8:9], s[2:3], s39, v20, 0
	v_mad_u64_u32 v[12:13], s[2:3], s39, v22, 0
	s_load_dwordx2 s[34:35], s[4:5], 0x20
	s_nop 0
	s_load_dwordx2 s[4:5], s[4:5], 0x40
	v_mad_u64_u32 v[2:3], s[2:3], s39, v18, 0
	v_mad_u64_u32 v[4:5], s[2:3], s39, v1, 0
	;; [unrolled: 1-line block ×6, first 2 shown]
	v_mov_b32_e32 v32, v9
	v_mov_b32_e32 v34, v13
	v_mov_b32_e32 v26, v3
	v_mov_b32_e32 v28, v5
	v_mov_b32_e32 v30, v7
	v_mad_u64_u32 v[32:33], s[2:3], s33, v20, v[32:33]
	v_mov_b32_e32 v20, v11
	v_mad_u64_u32 v[34:35], s[2:3], s33, v22, v[34:35]
	v_mov_b32_e32 v22, v15
	v_mov_b32_e32 v36, v17
	v_mad_u64_u32 v[26:27], s[2:3], s33, v18, v[26:27]
	v_mad_u64_u32 v[28:29], s[2:3], s33, v1, v[28:29]
	;; [unrolled: 1-line block ×6, first 2 shown]
	s_lshl_b32 s2, s36, 5
	s_waitcnt lgkmcnt(0)
	s_add_u32 s33, s4, 0x80
	s_addc_u32 s52, s5, 0
	s_add_u32 s53, s46, 0x80
	s_addc_u32 s54, s47, 0
	;; [unrolled: 2-line block ×4, first 2 shown]
	v_mul_lo_u32 v36, v0, s36
	v_mul_lo_u32 v60, v18, s36
	s_add_u32 s11, s4, 0x180
	v_add_u32_e32 v38, s2, v36
	v_add_u32_e32 v62, s2, v60
	s_addc_u32 s58, s5, 0
	v_add_u32_e32 v40, s2, v38
	v_add_u32_e32 v64, s2, v62
	s_add_u32 s59, s46, 0x180
	v_add_u32_e32 v42, s2, v40
	v_add_u32_e32 v66, s2, v64
	s_addc_u32 s60, s47, 0
	v_add_u32_e32 v44, s2, v42
	v_add_u32_e32 v68, s2, v66
	;; [unrolled: 6-line block ×3, first 2 shown]
	s_add_u32 s63, s46, 0x200
	v_add_u32_e32 v50, s2, v48
	v_add_u32_e32 v74, s2, v72
	s_addc_u32 s2, s47, 0
	s_add_u32 s3, s4, 0x280
	s_addc_u32 s64, s5, 0
	s_add_u32 s65, s46, 0x280
	;; [unrolled: 2-line block ×5, first 2 shown]
	v_mov_b32_e32 v37, 0
	s_addc_u32 s70, s5, 0
	v_mov_b32_e32 v39, v37
	v_mov_b32_e32 v41, v37
	;; [unrolled: 1-line block ×15, first 2 shown]
	s_add_u32 s71, s46, 0x380
	v_mov_b32_e32 v1, v26
	v_mov_b32_e32 v3, v28
	;; [unrolled: 1-line block ×8, first 2 shown]
	v_lshlrev_b32_e32 v59, 2, v18
	v_lshlrev_b64 v[18:19], 2, v[60:61]
	v_lshlrev_b64 v[20:21], 2, v[62:63]
	;; [unrolled: 1-line block ×16, first 2 shown]
	s_movk_i32 s39, 0x80
	s_addc_u32 s72, s47, 0
	s_movk_i32 s73, 0x100
	s_movk_i32 s74, 0x180
	;; [unrolled: 1-line block ×6, first 2 shown]
	s_mov_b64 s[40:41], s[48:49]
	s_branch .LBB129_21
.LBB129_20:                             ;   in Loop: Header=BB129_21 Depth=1
	s_or_b64 exec, exec, s[50:51]
	s_add_u32 s40, s40, 1
	s_addc_u32 s41, s41, 0
	v_pk_mov_b32 v[50:51], s[42:43], s[42:43] op_sel:[0,1]
	v_cmp_ge_i64_e32 vcc, s[40:41], v[50:51]
	s_cbranch_vccnz .LBB129_149
.LBB129_21:                             ; =>This Inner Loop Header: Depth=1
	s_lshl_b64 s[50:51], s[40:41], 2
	s_add_u32 s50, s34, s50
	s_addc_u32 s51, s35, s51
	s_load_dword s7, s[50:51], 0x0
	v_readlane_b32 s78, v78, 0
	s_mul_i32 s50, s41, s37
	s_mul_hi_u32 s51, s40, s37
	v_readlane_b32 vcc_lo, v78, 1
	s_waitcnt lgkmcnt(0)
	s_sub_i32 s7, s7, s78
	s_sub_u32 s78, s40, s48
	s_mul_i32 s81, s7, s36
	s_subb_u32 s80, s41, s49
	s_add_i32 s51, s51, s50
	s_mul_i32 s50, s40, s37
	s_add_i32 s81, s81, s38
	s_lshl_b64 s[50:51], s[50:51], 2
	v_readlane_b32 vcc_hi, v78, 2
	s_add_u32 s7, vcc_lo, s50
	s_addc_u32 s79, vcc_hi, s51
	v_add_co_u32_e32 v60, vcc, s78, v2
	v_pk_mov_b32 v[50:51], s[44:45], s[44:45] op_sel:[0,1]
	v_mov_b32_e32 v17, s80
	v_mad_u64_u32 v[50:51], s[50:51], v60, s36, v[50:51]
	v_addc_co_u32_e32 v17, vcc, v1, v17, vcc
	v_mov_b32_e32 v60, v51
	v_mad_u64_u32 v[60:61], s[50:51], v17, s36, v[60:61]
	v_mov_b32_e32 v17, v60
	v_mov_b32_e32 v51, s79
	v_add_co_u32_e32 v60, vcc, s7, v59
	v_addc_co_u32_e32 v61, vcc, 0, v51, vcc
	v_mov_b32_e32 v62, s79
	v_add_co_u32_e32 v51, vcc, s7, v18
	v_add_u32_e32 v63, s81, v0
	v_addc_co_u32_e32 v71, vcc, v62, v19, vcc
	v_lshlrev_b32_e32 v62, 2, v0
	s_mov_b64 s[50:51], exec
	v_readlane_b32 vcc_lo, v78, 3
	v_readlane_b32 vcc_hi, v78, 4
	s_and_b64 vcc, s[50:51], vcc
	s_mov_b64 exec, vcc
	s_cbranch_execz .LBB129_23
; %bb.22:                               ;   in Loop: Header=BB129_21 Depth=1
	v_add_co_u32_e32 v64, vcc, v51, v62
	v_addc_co_u32_e32 v65, vcc, 0, v71, vcc
	v_add_co_u32_e32 v66, vcc, v60, v34
	v_addc_co_u32_e32 v67, vcc, v61, v35, vcc
	v_cndmask_b32_e64 v65, v67, v65, s[0:1]
	v_cndmask_b32_e64 v64, v66, v64, s[0:1]
	global_load_dword v68, v[64:65], off
	v_add_co_u32_e32 v64, vcc, v50, v0
	v_addc_co_u32_e32 v65, vcc, 0, v17, vcc
	v_lshlrev_b64 v[64:65], 2, v[64:65]
	v_mov_b32_e32 v67, s5
	v_add_co_u32_e32 v66, vcc, s4, v64
	v_addc_co_u32_e32 v67, vcc, v67, v65, vcc
	global_store_dword v[66:67], v63, off
	v_mov_b32_e32 v66, s47
	v_add_co_u32_e32 v64, vcc, s46, v64
	v_addc_co_u32_e32 v65, vcc, v66, v65, vcc
	s_waitcnt vmcnt(1)
	global_store_dword v[64:65], v68, off
.LBB129_23:                             ;   in Loop: Header=BB129_21 Depth=1
	s_or_b64 exec, exec, s[50:51]
	v_add_u32_e32 v69, s81, v52
	s_mov_b64 s[50:51], exec
	v_readlane_b32 vcc_lo, v78, 5
	v_readlane_b32 vcc_hi, v78, 6
	s_and_b64 vcc, s[50:51], vcc
	s_mov_b64 exec, vcc
	s_cbranch_execz .LBB129_25
; %bb.24:                               ;   in Loop: Header=BB129_21 Depth=1
	v_add_co_u32_e32 v64, vcc, v51, v62
	v_addc_co_u32_e32 v65, vcc, 0, v71, vcc
	v_add_co_u32_e32 v64, vcc, s39, v64
	v_addc_co_u32_e32 v65, vcc, 0, v65, vcc
	;; [unrolled: 2-line block ×3, first 2 shown]
	v_cndmask_b32_e64 v65, v67, v65, s[0:1]
	v_cndmask_b32_e64 v64, v66, v64, s[0:1]
	global_load_dword v68, v[64:65], off
	v_add_co_u32_e32 v64, vcc, v50, v0
	v_addc_co_u32_e32 v65, vcc, 0, v17, vcc
	v_lshlrev_b64 v[64:65], 2, v[64:65]
	v_mov_b32_e32 v67, s52
	v_add_co_u32_e32 v66, vcc, s33, v64
	v_addc_co_u32_e32 v67, vcc, v67, v65, vcc
	global_store_dword v[66:67], v69, off
	v_mov_b32_e32 v66, s54
	v_add_co_u32_e32 v64, vcc, s53, v64
	v_addc_co_u32_e32 v65, vcc, v66, v65, vcc
	s_waitcnt vmcnt(1)
	global_store_dword v[64:65], v68, off
.LBB129_25:                             ;   in Loop: Header=BB129_21 Depth=1
	s_or_b64 exec, exec, s[50:51]
	v_add_u32_e32 v68, s81, v53
	s_mov_b64 s[50:51], exec
	v_readlane_b32 vcc_lo, v78, 7
	v_readlane_b32 vcc_hi, v78, 8
	s_and_b64 vcc, s[50:51], vcc
	s_mov_b64 exec, vcc
	s_cbranch_execz .LBB129_27
; %bb.26:                               ;   in Loop: Header=BB129_21 Depth=1
	v_add_co_u32_e32 v64, vcc, v51, v62
	v_addc_co_u32_e32 v65, vcc, 0, v71, vcc
	v_add_co_u32_e32 v64, vcc, s73, v64
	v_addc_co_u32_e32 v65, vcc, 0, v65, vcc
	v_add_co_u32_e32 v66, vcc, v60, v38
	v_addc_co_u32_e32 v67, vcc, v61, v39, vcc
	v_cndmask_b32_e64 v65, v67, v65, s[0:1]
	v_cndmask_b32_e64 v64, v66, v64, s[0:1]
	global_load_dword v70, v[64:65], off
	v_add_co_u32_e32 v64, vcc, v50, v0
	v_addc_co_u32_e32 v65, vcc, 0, v17, vcc
	v_lshlrev_b64 v[64:65], 2, v[64:65]
	v_mov_b32_e32 v67, s56
	v_add_co_u32_e32 v66, vcc, s55, v64
	v_addc_co_u32_e32 v67, vcc, v67, v65, vcc
	global_store_dword v[66:67], v68, off
	v_mov_b32_e32 v66, s10
	v_add_co_u32_e32 v64, vcc, s57, v64
	v_addc_co_u32_e32 v65, vcc, v66, v65, vcc
	s_waitcnt vmcnt(1)
	global_store_dword v[64:65], v70, off
.LBB129_27:                             ;   in Loop: Header=BB129_21 Depth=1
	s_or_b64 exec, exec, s[50:51]
	v_add_u32_e32 v67, s81, v54
	s_mov_b64 s[50:51], exec
	v_readlane_b32 vcc_lo, v78, 9
	v_readlane_b32 vcc_hi, v78, 10
	s_and_b64 vcc, s[50:51], vcc
	s_mov_b64 exec, vcc
	s_cbranch_execz .LBB129_29
; %bb.28:                               ;   in Loop: Header=BB129_21 Depth=1
	v_add_co_u32_e32 v64, vcc, v51, v62
	v_addc_co_u32_e32 v65, vcc, 0, v71, vcc
	v_add_co_u32_e32 v64, vcc, s74, v64
	v_addc_co_u32_e32 v65, vcc, 0, v65, vcc
	v_add_co_u32_e32 v66, vcc, v60, v40
	v_addc_co_u32_e32 v70, vcc, v61, v41, vcc
	v_cndmask_b32_e64 v65, v70, v65, s[0:1]
	v_cndmask_b32_e64 v64, v66, v64, s[0:1]
	global_load_dword v66, v[64:65], off
	v_add_co_u32_e32 v64, vcc, v50, v0
	v_addc_co_u32_e32 v65, vcc, 0, v17, vcc
	v_lshlrev_b64 v[64:65], 2, v[64:65]
	v_mov_b32_e32 v70, s58
	v_add_co_u32_e32 v72, vcc, s11, v64
	v_addc_co_u32_e32 v73, vcc, v70, v65, vcc
	v_mov_b32_e32 v70, s60
	v_add_co_u32_e32 v64, vcc, s59, v64
	v_addc_co_u32_e32 v65, vcc, v70, v65, vcc
	global_store_dword v[72:73], v67, off
	s_waitcnt vmcnt(1)
	global_store_dword v[64:65], v66, off
.LBB129_29:                             ;   in Loop: Header=BB129_21 Depth=1
	s_or_b64 exec, exec, s[50:51]
	v_add_u32_e32 v66, s81, v55
	s_mov_b64 s[50:51], exec
	v_readlane_b32 vcc_lo, v78, 11
	v_readlane_b32 vcc_hi, v78, 12
	s_and_b64 vcc, s[50:51], vcc
	s_mov_b64 exec, vcc
	s_cbranch_execz .LBB129_31
; %bb.30:                               ;   in Loop: Header=BB129_21 Depth=1
	v_add_co_u32_e32 v64, vcc, v51, v62
	v_addc_co_u32_e32 v65, vcc, 0, v71, vcc
	v_add_co_u32_e32 v64, vcc, s75, v64
	v_addc_co_u32_e32 v65, vcc, 0, v65, vcc
	v_add_co_u32_e32 v70, vcc, v60, v42
	v_addc_co_u32_e32 v72, vcc, v61, v43, vcc
	v_cndmask_b32_e64 v65, v72, v65, s[0:1]
	v_cndmask_b32_e64 v64, v70, v64, s[0:1]
	global_load_dword v70, v[64:65], off
	v_add_co_u32_e32 v64, vcc, v50, v0
	v_addc_co_u32_e32 v65, vcc, 0, v17, vcc
	v_lshlrev_b64 v[64:65], 2, v[64:65]
	v_mov_b32_e32 v73, s62
	v_add_co_u32_e32 v72, vcc, s61, v64
	v_addc_co_u32_e32 v73, vcc, v73, v65, vcc
	global_store_dword v[72:73], v66, off
	v_mov_b32_e32 v72, s2
	v_add_co_u32_e32 v64, vcc, s63, v64
	v_addc_co_u32_e32 v65, vcc, v72, v65, vcc
	s_waitcnt vmcnt(1)
	global_store_dword v[64:65], v70, off
.LBB129_31:                             ;   in Loop: Header=BB129_21 Depth=1
	s_or_b64 exec, exec, s[50:51]
	v_add_u32_e32 v65, s81, v56
	s_mov_b64 s[50:51], exec
	v_readlane_b32 vcc_lo, v78, 13
	v_readlane_b32 vcc_hi, v78, 14
	s_and_b64 vcc, s[50:51], vcc
	s_mov_b64 exec, vcc
	s_cbranch_execz .LBB129_33
; %bb.32:                               ;   in Loop: Header=BB129_21 Depth=1
	v_add_co_u32_e32 v64, vcc, v51, v62
	v_addc_co_u32_e32 v70, vcc, 0, v71, vcc
	v_add_co_u32_e32 v64, vcc, s76, v64
	v_addc_co_u32_e32 v70, vcc, 0, v70, vcc
	v_add_co_u32_e32 v72, vcc, v60, v44
	v_addc_co_u32_e32 v73, vcc, v61, v45, vcc
	v_cndmask_b32_e64 v73, v73, v70, s[0:1]
	v_cndmask_b32_e64 v72, v72, v64, s[0:1]
	global_load_dword v64, v[72:73], off
	v_add_co_u32_e32 v72, vcc, v50, v0
	v_addc_co_u32_e32 v73, vcc, 0, v17, vcc
	v_lshlrev_b64 v[72:73], 2, v[72:73]
	v_mov_b32_e32 v70, s64
	v_add_co_u32_e32 v74, vcc, s3, v72
	v_addc_co_u32_e32 v75, vcc, v70, v73, vcc
	v_mov_b32_e32 v70, s66
	v_add_co_u32_e32 v72, vcc, s65, v72
	v_addc_co_u32_e32 v73, vcc, v70, v73, vcc
	global_store_dword v[74:75], v65, off
	s_waitcnt vmcnt(1)
	global_store_dword v[72:73], v64, off
.LBB129_33:                             ;   in Loop: Header=BB129_21 Depth=1
	;; [unrolled: 62-line block ×3, first 2 shown]
	s_or_b64 exec, exec, s[50:51]
	v_add_co_u32_e32 v71, vcc, s78, v4
	v_pk_mov_b32 v[50:51], s[44:45], s[44:45] op_sel:[0,1]
	v_mov_b32_e32 v17, s80
	v_mad_u64_u32 v[50:51], s[50:51], v71, s36, v[50:51]
	v_addc_co_u32_e32 v17, vcc, v3, v17, vcc
	v_mov_b32_e32 v72, v51
	v_mad_u64_u32 v[72:73], s[50:51], v17, s36, v[72:73]
	v_mov_b32_e32 v71, s79
	v_add_co_u32_e32 v51, vcc, s7, v20
	v_mov_b32_e32 v17, v72
	v_addc_co_u32_e32 v71, vcc, v71, v21, vcc
	s_mov_b64 s[50:51], exec
	v_readlane_b32 vcc_lo, v78, 19
	v_readlane_b32 vcc_hi, v78, 20
	s_and_b64 vcc, s[50:51], vcc
	s_mov_b64 exec, vcc
	s_cbranch_execz .LBB129_39
; %bb.38:                               ;   in Loop: Header=BB129_21 Depth=1
	v_add_co_u32_e32 v72, vcc, v51, v62
	v_addc_co_u32_e32 v73, vcc, 0, v71, vcc
	v_add_co_u32_e32 v74, vcc, v60, v34
	v_addc_co_u32_e32 v75, vcc, v61, v35, vcc
	;; [unrolled: 2-line block ×3, first 2 shown]
	v_cndmask_b32_e64 v73, v75, v73, s[0:1]
	v_cndmask_b32_e64 v72, v74, v72, s[0:1]
	global_load_dword v76, v[72:73], off
	v_add_co_u32_e32 v72, vcc, v50, v0
	v_addc_co_u32_e32 v73, vcc, 0, v17, vcc
	v_lshlrev_b64 v[72:73], 2, v[72:73]
	v_mov_b32_e32 v75, s5
	v_add_co_u32_e32 v74, vcc, s4, v72
	v_addc_co_u32_e32 v75, vcc, v75, v73, vcc
	global_store_dword v[74:75], v63, off
	v_mov_b32_e32 v74, s47
	v_add_co_u32_e32 v72, vcc, s46, v72
	v_addc_co_u32_e32 v73, vcc, v74, v73, vcc
	s_waitcnt vmcnt(1)
	global_store_dword v[72:73], v76, off
.LBB129_39:                             ;   in Loop: Header=BB129_21 Depth=1
	s_or_b64 exec, exec, s[50:51]
	s_mov_b64 s[50:51], exec
	v_readlane_b32 vcc_lo, v78, 21
	v_readlane_b32 vcc_hi, v78, 22
	s_and_b64 vcc, s[50:51], vcc
	s_mov_b64 exec, vcc
	s_cbranch_execz .LBB129_41
; %bb.40:                               ;   in Loop: Header=BB129_21 Depth=1
	v_add_co_u32_e32 v72, vcc, v51, v62
	v_addc_co_u32_e32 v73, vcc, 0, v71, vcc
	v_add_co_u32_e32 v74, vcc, v60, v36
	v_addc_co_u32_e32 v75, vcc, v61, v37, vcc
	v_cndmask_b32_e64 v73, v75, v73, s[0:1]
	v_cndmask_b32_e64 v72, v74, v72, s[0:1]
	global_load_dword v76, v[72:73], off offset:128
	v_add_co_u32_e32 v72, vcc, v50, v0
	v_addc_co_u32_e32 v73, vcc, 0, v17, vcc
	v_lshlrev_b64 v[72:73], 2, v[72:73]
	v_mov_b32_e32 v75, s52
	v_add_co_u32_e32 v74, vcc, s33, v72
	v_addc_co_u32_e32 v75, vcc, v75, v73, vcc
	global_store_dword v[74:75], v69, off
	v_mov_b32_e32 v74, s54
	v_add_co_u32_e32 v72, vcc, s53, v72
	v_addc_co_u32_e32 v73, vcc, v74, v73, vcc
	s_waitcnt vmcnt(1)
	global_store_dword v[72:73], v76, off
.LBB129_41:                             ;   in Loop: Header=BB129_21 Depth=1
	s_or_b64 exec, exec, s[50:51]
	s_mov_b64 s[50:51], exec
	v_readlane_b32 vcc_lo, v78, 23
	v_readlane_b32 vcc_hi, v78, 24
	s_and_b64 vcc, s[50:51], vcc
	s_mov_b64 exec, vcc
	s_cbranch_execz .LBB129_43
; %bb.42:                               ;   in Loop: Header=BB129_21 Depth=1
	v_add_co_u32_e32 v72, vcc, v51, v62
	v_addc_co_u32_e32 v73, vcc, 0, v71, vcc
	v_add_co_u32_e32 v72, vcc, s73, v72
	v_addc_co_u32_e32 v73, vcc, 0, v73, vcc
	v_add_co_u32_e32 v74, vcc, v60, v38
	v_addc_co_u32_e32 v75, vcc, v61, v39, vcc
	v_add_co_u32_e32 v74, vcc, 0x80, v74
	v_addc_co_u32_e32 v75, vcc, 0, v75, vcc
	v_cndmask_b32_e64 v73, v75, v73, s[0:1]
	v_cndmask_b32_e64 v72, v74, v72, s[0:1]
	global_load_dword v76, v[72:73], off
	v_add_co_u32_e32 v72, vcc, v50, v0
	v_addc_co_u32_e32 v73, vcc, 0, v17, vcc
	v_lshlrev_b64 v[72:73], 2, v[72:73]
	v_mov_b32_e32 v75, s56
	v_add_co_u32_e32 v74, vcc, s55, v72
	v_addc_co_u32_e32 v75, vcc, v75, v73, vcc
	global_store_dword v[74:75], v68, off
	v_mov_b32_e32 v74, s10
	v_add_co_u32_e32 v72, vcc, s57, v72
	v_addc_co_u32_e32 v73, vcc, v74, v73, vcc
	s_waitcnt vmcnt(1)
	global_store_dword v[72:73], v76, off
.LBB129_43:                             ;   in Loop: Header=BB129_21 Depth=1
	s_or_b64 exec, exec, s[50:51]
	s_mov_b64 s[50:51], exec
	v_readlane_b32 vcc_lo, v78, 25
	v_readlane_b32 vcc_hi, v78, 26
	s_and_b64 vcc, s[50:51], vcc
	s_mov_b64 exec, vcc
	s_cbranch_execz .LBB129_45
; %bb.44:                               ;   in Loop: Header=BB129_21 Depth=1
	v_add_co_u32_e32 v72, vcc, v51, v62
	v_addc_co_u32_e32 v73, vcc, 0, v71, vcc
	v_add_co_u32_e32 v72, vcc, s74, v72
	v_addc_co_u32_e32 v73, vcc, 0, v73, vcc
	v_add_co_u32_e32 v74, vcc, v60, v40
	v_addc_co_u32_e32 v75, vcc, v61, v41, vcc
	v_add_co_u32_e32 v74, vcc, 0x80, v74
	v_addc_co_u32_e32 v75, vcc, 0, v75, vcc
	v_cndmask_b32_e64 v73, v75, v73, s[0:1]
	v_cndmask_b32_e64 v72, v74, v72, s[0:1]
	global_load_dword v76, v[72:73], off
	v_add_co_u32_e32 v72, vcc, v50, v0
	v_addc_co_u32_e32 v73, vcc, 0, v17, vcc
	v_lshlrev_b64 v[72:73], 2, v[72:73]
	v_mov_b32_e32 v75, s58
	v_add_co_u32_e32 v74, vcc, s11, v72
	v_addc_co_u32_e32 v75, vcc, v75, v73, vcc
	global_store_dword v[74:75], v67, off
	v_mov_b32_e32 v74, s60
	v_add_co_u32_e32 v72, vcc, s59, v72
	v_addc_co_u32_e32 v73, vcc, v74, v73, vcc
	s_waitcnt vmcnt(1)
	global_store_dword v[72:73], v76, off
.LBB129_45:                             ;   in Loop: Header=BB129_21 Depth=1
	;; [unrolled: 32-line block ×5, first 2 shown]
	s_or_b64 exec, exec, s[50:51]
	s_mov_b64 s[50:51], exec
	v_readlane_b32 vcc_lo, v78, 33
	v_readlane_b32 vcc_hi, v78, 34
	s_and_b64 vcc, s[50:51], vcc
	s_mov_b64 exec, vcc
	s_cbranch_execz .LBB129_53
; %bb.52:                               ;   in Loop: Header=BB129_21 Depth=1
	v_add_co_u32_e32 v51, vcc, v51, v62
	v_addc_co_u32_e32 v71, vcc, 0, v71, vcc
	v_add_co_u32_e32 v51, vcc, s6, v51
	v_addc_co_u32_e32 v71, vcc, 0, v71, vcc
	;; [unrolled: 2-line block ×4, first 2 shown]
	v_cndmask_b32_e64 v73, v73, v71, s[0:1]
	v_cndmask_b32_e64 v72, v72, v51, s[0:1]
	global_load_dword v71, v[72:73], off
	v_add_co_u32_e32 v50, vcc, v50, v0
	v_addc_co_u32_e32 v51, vcc, 0, v17, vcc
	v_lshlrev_b64 v[50:51], 2, v[50:51]
	v_mov_b32_e32 v17, s70
	v_add_co_u32_e32 v72, vcc, s13, v50
	v_addc_co_u32_e32 v73, vcc, v17, v51, vcc
	v_mov_b32_e32 v17, s72
	v_add_co_u32_e32 v50, vcc, s71, v50
	v_addc_co_u32_e32 v51, vcc, v17, v51, vcc
	global_store_dword v[72:73], v70, off
	s_waitcnt vmcnt(1)
	global_store_dword v[50:51], v71, off
.LBB129_53:                             ;   in Loop: Header=BB129_21 Depth=1
	s_or_b64 exec, exec, s[50:51]
	v_add_co_u32_e32 v71, vcc, s78, v6
	v_pk_mov_b32 v[50:51], s[44:45], s[44:45] op_sel:[0,1]
	v_mov_b32_e32 v17, s80
	v_mad_u64_u32 v[50:51], s[50:51], v71, s36, v[50:51]
	v_addc_co_u32_e32 v17, vcc, v5, v17, vcc
	v_mov_b32_e32 v72, v51
	v_mad_u64_u32 v[72:73], s[50:51], v17, s36, v[72:73]
	v_mov_b32_e32 v71, s79
	v_add_co_u32_e32 v51, vcc, s7, v22
	v_mov_b32_e32 v17, v72
	v_addc_co_u32_e32 v71, vcc, v71, v23, vcc
	s_mov_b64 s[50:51], exec
	v_readlane_b32 vcc_lo, v78, 35
	v_readlane_b32 vcc_hi, v78, 36
	s_and_b64 vcc, s[50:51], vcc
	s_mov_b64 exec, vcc
	s_cbranch_execz .LBB129_55
; %bb.54:                               ;   in Loop: Header=BB129_21 Depth=1
	v_add_co_u32_e32 v72, vcc, v51, v62
	v_addc_co_u32_e32 v73, vcc, 0, v71, vcc
	v_add_co_u32_e32 v74, vcc, v60, v34
	v_addc_co_u32_e32 v75, vcc, v61, v35, vcc
	;; [unrolled: 2-line block ×3, first 2 shown]
	v_cndmask_b32_e64 v73, v75, v73, s[0:1]
	v_cndmask_b32_e64 v72, v74, v72, s[0:1]
	global_load_dword v76, v[72:73], off
	v_add_co_u32_e32 v72, vcc, v50, v0
	v_addc_co_u32_e32 v73, vcc, 0, v17, vcc
	v_lshlrev_b64 v[72:73], 2, v[72:73]
	v_mov_b32_e32 v75, s5
	v_add_co_u32_e32 v74, vcc, s4, v72
	v_addc_co_u32_e32 v75, vcc, v75, v73, vcc
	global_store_dword v[74:75], v63, off
	v_mov_b32_e32 v74, s47
	v_add_co_u32_e32 v72, vcc, s46, v72
	v_addc_co_u32_e32 v73, vcc, v74, v73, vcc
	s_waitcnt vmcnt(1)
	global_store_dword v[72:73], v76, off
.LBB129_55:                             ;   in Loop: Header=BB129_21 Depth=1
	s_or_b64 exec, exec, s[50:51]
	s_mov_b64 s[50:51], exec
	v_readlane_b32 vcc_lo, v78, 37
	v_readlane_b32 vcc_hi, v78, 38
	s_and_b64 vcc, s[50:51], vcc
	s_mov_b64 exec, vcc
	s_cbranch_execz .LBB129_57
; %bb.56:                               ;   in Loop: Header=BB129_21 Depth=1
	v_add_co_u32_e32 v72, vcc, v51, v62
	v_addc_co_u32_e32 v73, vcc, 0, v71, vcc
	v_add_co_u32_e32 v72, vcc, s39, v72
	v_addc_co_u32_e32 v73, vcc, 0, v73, vcc
	;; [unrolled: 2-line block ×4, first 2 shown]
	v_cndmask_b32_e64 v73, v75, v73, s[0:1]
	v_cndmask_b32_e64 v72, v74, v72, s[0:1]
	global_load_dword v76, v[72:73], off
	v_add_co_u32_e32 v72, vcc, v50, v0
	v_addc_co_u32_e32 v73, vcc, 0, v17, vcc
	v_lshlrev_b64 v[72:73], 2, v[72:73]
	v_mov_b32_e32 v75, s52
	v_add_co_u32_e32 v74, vcc, s33, v72
	v_addc_co_u32_e32 v75, vcc, v75, v73, vcc
	global_store_dword v[74:75], v69, off
	v_mov_b32_e32 v74, s54
	v_add_co_u32_e32 v72, vcc, s53, v72
	v_addc_co_u32_e32 v73, vcc, v74, v73, vcc
	s_waitcnt vmcnt(1)
	global_store_dword v[72:73], v76, off
.LBB129_57:                             ;   in Loop: Header=BB129_21 Depth=1
	s_or_b64 exec, exec, s[50:51]
	s_mov_b64 s[50:51], exec
	v_readlane_b32 vcc_lo, v78, 39
	v_readlane_b32 vcc_hi, v78, 40
	s_and_b64 vcc, s[50:51], vcc
	s_mov_b64 exec, vcc
	s_cbranch_execz .LBB129_59
; %bb.58:                               ;   in Loop: Header=BB129_21 Depth=1
	v_add_co_u32_e32 v72, vcc, v51, v62
	v_addc_co_u32_e32 v73, vcc, 0, v71, vcc
	v_add_co_u32_e32 v74, vcc, v60, v38
	v_addc_co_u32_e32 v75, vcc, v61, v39, vcc
	v_cndmask_b32_e64 v73, v75, v73, s[0:1]
	v_cndmask_b32_e64 v72, v74, v72, s[0:1]
	global_load_dword v76, v[72:73], off offset:256
	v_add_co_u32_e32 v72, vcc, v50, v0
	v_addc_co_u32_e32 v73, vcc, 0, v17, vcc
	v_lshlrev_b64 v[72:73], 2, v[72:73]
	v_mov_b32_e32 v75, s56
	v_add_co_u32_e32 v74, vcc, s55, v72
	v_addc_co_u32_e32 v75, vcc, v75, v73, vcc
	global_store_dword v[74:75], v68, off
	v_mov_b32_e32 v74, s10
	v_add_co_u32_e32 v72, vcc, s57, v72
	v_addc_co_u32_e32 v73, vcc, v74, v73, vcc
	s_waitcnt vmcnt(1)
	global_store_dword v[72:73], v76, off
.LBB129_59:                             ;   in Loop: Header=BB129_21 Depth=1
	s_or_b64 exec, exec, s[50:51]
	s_mov_b64 s[50:51], exec
	v_readlane_b32 vcc_lo, v78, 41
	v_readlane_b32 vcc_hi, v78, 42
	s_and_b64 vcc, s[50:51], vcc
	s_mov_b64 exec, vcc
	s_cbranch_execz .LBB129_61
; %bb.60:                               ;   in Loop: Header=BB129_21 Depth=1
	v_add_co_u32_e32 v72, vcc, v51, v62
	v_addc_co_u32_e32 v73, vcc, 0, v71, vcc
	v_add_co_u32_e32 v72, vcc, s74, v72
	v_addc_co_u32_e32 v73, vcc, 0, v73, vcc
	v_add_co_u32_e32 v74, vcc, v60, v40
	v_addc_co_u32_e32 v75, vcc, v61, v41, vcc
	v_add_co_u32_e32 v74, vcc, 0x100, v74
	v_addc_co_u32_e32 v75, vcc, 0, v75, vcc
	v_cndmask_b32_e64 v73, v75, v73, s[0:1]
	v_cndmask_b32_e64 v72, v74, v72, s[0:1]
	global_load_dword v76, v[72:73], off
	v_add_co_u32_e32 v72, vcc, v50, v0
	v_addc_co_u32_e32 v73, vcc, 0, v17, vcc
	v_lshlrev_b64 v[72:73], 2, v[72:73]
	v_mov_b32_e32 v75, s58
	v_add_co_u32_e32 v74, vcc, s11, v72
	v_addc_co_u32_e32 v75, vcc, v75, v73, vcc
	global_store_dword v[74:75], v67, off
	v_mov_b32_e32 v74, s60
	v_add_co_u32_e32 v72, vcc, s59, v72
	v_addc_co_u32_e32 v73, vcc, v74, v73, vcc
	s_waitcnt vmcnt(1)
	global_store_dword v[72:73], v76, off
.LBB129_61:                             ;   in Loop: Header=BB129_21 Depth=1
	s_or_b64 exec, exec, s[50:51]
	s_mov_b64 s[50:51], exec
	v_readlane_b32 vcc_lo, v78, 43
	v_readlane_b32 vcc_hi, v78, 44
	s_and_b64 vcc, s[50:51], vcc
	s_mov_b64 exec, vcc
	s_cbranch_execz .LBB129_63
; %bb.62:                               ;   in Loop: Header=BB129_21 Depth=1
	v_add_co_u32_e32 v72, vcc, v51, v62
	v_addc_co_u32_e32 v73, vcc, 0, v71, vcc
	v_add_co_u32_e32 v72, vcc, s75, v72
	v_addc_co_u32_e32 v73, vcc, 0, v73, vcc
	v_add_co_u32_e32 v74, vcc, v60, v42
	v_addc_co_u32_e32 v75, vcc, v61, v43, vcc
	v_add_co_u32_e32 v74, vcc, 0x100, v74
	v_addc_co_u32_e32 v75, vcc, 0, v75, vcc
	v_cndmask_b32_e64 v73, v75, v73, s[0:1]
	v_cndmask_b32_e64 v72, v74, v72, s[0:1]
	global_load_dword v76, v[72:73], off
	v_add_co_u32_e32 v72, vcc, v50, v0
	v_addc_co_u32_e32 v73, vcc, 0, v17, vcc
	v_lshlrev_b64 v[72:73], 2, v[72:73]
	v_mov_b32_e32 v75, s62
	v_add_co_u32_e32 v74, vcc, s61, v72
	v_addc_co_u32_e32 v75, vcc, v75, v73, vcc
	global_store_dword v[74:75], v66, off
	v_mov_b32_e32 v74, s2
	v_add_co_u32_e32 v72, vcc, s63, v72
	v_addc_co_u32_e32 v73, vcc, v74, v73, vcc
	s_waitcnt vmcnt(1)
	global_store_dword v[72:73], v76, off
.LBB129_63:                             ;   in Loop: Header=BB129_21 Depth=1
	;; [unrolled: 32-line block ×4, first 2 shown]
	s_or_b64 exec, exec, s[50:51]
	s_mov_b64 s[50:51], exec
	v_readlane_b32 vcc_lo, v78, 49
	v_readlane_b32 vcc_hi, v78, 50
	s_and_b64 vcc, s[50:51], vcc
	s_mov_b64 exec, vcc
	s_cbranch_execz .LBB129_69
; %bb.68:                               ;   in Loop: Header=BB129_21 Depth=1
	v_add_co_u32_e32 v51, vcc, v51, v62
	v_addc_co_u32_e32 v71, vcc, 0, v71, vcc
	v_add_co_u32_e32 v51, vcc, s6, v51
	v_addc_co_u32_e32 v71, vcc, 0, v71, vcc
	;; [unrolled: 2-line block ×4, first 2 shown]
	v_cndmask_b32_e64 v73, v73, v71, s[0:1]
	v_cndmask_b32_e64 v72, v72, v51, s[0:1]
	global_load_dword v71, v[72:73], off
	v_add_co_u32_e32 v50, vcc, v50, v0
	v_addc_co_u32_e32 v51, vcc, 0, v17, vcc
	v_lshlrev_b64 v[50:51], 2, v[50:51]
	v_mov_b32_e32 v17, s70
	v_add_co_u32_e32 v72, vcc, s13, v50
	v_addc_co_u32_e32 v73, vcc, v17, v51, vcc
	v_mov_b32_e32 v17, s72
	v_add_co_u32_e32 v50, vcc, s71, v50
	v_addc_co_u32_e32 v51, vcc, v17, v51, vcc
	global_store_dword v[72:73], v70, off
	s_waitcnt vmcnt(1)
	global_store_dword v[50:51], v71, off
.LBB129_69:                             ;   in Loop: Header=BB129_21 Depth=1
	s_or_b64 exec, exec, s[50:51]
	v_add_co_u32_e32 v71, vcc, s78, v8
	v_pk_mov_b32 v[50:51], s[44:45], s[44:45] op_sel:[0,1]
	v_mov_b32_e32 v17, s80
	v_mad_u64_u32 v[50:51], s[50:51], v71, s36, v[50:51]
	v_addc_co_u32_e32 v17, vcc, v7, v17, vcc
	v_mov_b32_e32 v72, v51
	v_mad_u64_u32 v[72:73], s[50:51], v17, s36, v[72:73]
	v_mov_b32_e32 v71, s79
	v_add_co_u32_e32 v51, vcc, s7, v24
	v_mov_b32_e32 v17, v72
	v_addc_co_u32_e32 v71, vcc, v71, v25, vcc
	s_mov_b64 s[50:51], exec
	v_readlane_b32 vcc_lo, v78, 51
	v_readlane_b32 vcc_hi, v78, 52
	s_and_b64 vcc, s[50:51], vcc
	s_mov_b64 exec, vcc
	s_cbranch_execz .LBB129_71
; %bb.70:                               ;   in Loop: Header=BB129_21 Depth=1
	v_add_co_u32_e32 v72, vcc, v51, v62
	v_addc_co_u32_e32 v73, vcc, 0, v71, vcc
	v_add_co_u32_e32 v74, vcc, v60, v34
	v_addc_co_u32_e32 v75, vcc, v61, v35, vcc
	;; [unrolled: 2-line block ×3, first 2 shown]
	v_cndmask_b32_e64 v73, v75, v73, s[0:1]
	v_cndmask_b32_e64 v72, v74, v72, s[0:1]
	global_load_dword v76, v[72:73], off
	v_add_co_u32_e32 v72, vcc, v50, v0
	v_addc_co_u32_e32 v73, vcc, 0, v17, vcc
	v_lshlrev_b64 v[72:73], 2, v[72:73]
	v_mov_b32_e32 v75, s5
	v_add_co_u32_e32 v74, vcc, s4, v72
	v_addc_co_u32_e32 v75, vcc, v75, v73, vcc
	global_store_dword v[74:75], v63, off
	v_mov_b32_e32 v74, s47
	v_add_co_u32_e32 v72, vcc, s46, v72
	v_addc_co_u32_e32 v73, vcc, v74, v73, vcc
	s_waitcnt vmcnt(1)
	global_store_dword v[72:73], v76, off
.LBB129_71:                             ;   in Loop: Header=BB129_21 Depth=1
	s_or_b64 exec, exec, s[50:51]
	s_mov_b64 s[50:51], exec
	v_readlane_b32 vcc_lo, v78, 53
	v_readlane_b32 vcc_hi, v78, 54
	s_and_b64 vcc, s[50:51], vcc
	s_mov_b64 exec, vcc
	s_cbranch_execz .LBB129_73
; %bb.72:                               ;   in Loop: Header=BB129_21 Depth=1
	v_add_co_u32_e32 v72, vcc, v51, v62
	v_addc_co_u32_e32 v73, vcc, 0, v71, vcc
	v_add_co_u32_e32 v72, vcc, s39, v72
	v_addc_co_u32_e32 v73, vcc, 0, v73, vcc
	v_add_co_u32_e32 v74, vcc, v60, v36
	v_addc_co_u32_e32 v75, vcc, v61, v37, vcc
	v_add_co_u32_e32 v74, vcc, 0x180, v74
	v_addc_co_u32_e32 v75, vcc, 0, v75, vcc
	v_cndmask_b32_e64 v73, v75, v73, s[0:1]
	v_cndmask_b32_e64 v72, v74, v72, s[0:1]
	global_load_dword v76, v[72:73], off
	v_add_co_u32_e32 v72, vcc, v50, v0
	v_addc_co_u32_e32 v73, vcc, 0, v17, vcc
	v_lshlrev_b64 v[72:73], 2, v[72:73]
	v_mov_b32_e32 v75, s52
	v_add_co_u32_e32 v74, vcc, s33, v72
	v_addc_co_u32_e32 v75, vcc, v75, v73, vcc
	global_store_dword v[74:75], v69, off
	v_mov_b32_e32 v74, s54
	v_add_co_u32_e32 v72, vcc, s53, v72
	v_addc_co_u32_e32 v73, vcc, v74, v73, vcc
	s_waitcnt vmcnt(1)
	global_store_dword v[72:73], v76, off
.LBB129_73:                             ;   in Loop: Header=BB129_21 Depth=1
	s_or_b64 exec, exec, s[50:51]
	s_mov_b64 s[50:51], exec
	v_readlane_b32 vcc_lo, v78, 55
	v_readlane_b32 vcc_hi, v78, 56
	s_and_b64 vcc, s[50:51], vcc
	s_mov_b64 exec, vcc
	s_cbranch_execz .LBB129_75
; %bb.74:                               ;   in Loop: Header=BB129_21 Depth=1
	v_add_co_u32_e32 v72, vcc, v51, v62
	v_addc_co_u32_e32 v73, vcc, 0, v71, vcc
	v_add_co_u32_e32 v72, vcc, s73, v72
	v_addc_co_u32_e32 v73, vcc, 0, v73, vcc
	;; [unrolled: 2-line block ×4, first 2 shown]
	v_cndmask_b32_e64 v73, v75, v73, s[0:1]
	v_cndmask_b32_e64 v72, v74, v72, s[0:1]
	global_load_dword v76, v[72:73], off
	v_add_co_u32_e32 v72, vcc, v50, v0
	v_addc_co_u32_e32 v73, vcc, 0, v17, vcc
	v_lshlrev_b64 v[72:73], 2, v[72:73]
	v_mov_b32_e32 v75, s56
	v_add_co_u32_e32 v74, vcc, s55, v72
	v_addc_co_u32_e32 v75, vcc, v75, v73, vcc
	global_store_dword v[74:75], v68, off
	v_mov_b32_e32 v74, s10
	v_add_co_u32_e32 v72, vcc, s57, v72
	v_addc_co_u32_e32 v73, vcc, v74, v73, vcc
	s_waitcnt vmcnt(1)
	global_store_dword v[72:73], v76, off
.LBB129_75:                             ;   in Loop: Header=BB129_21 Depth=1
	s_or_b64 exec, exec, s[50:51]
	s_mov_b64 s[50:51], exec
	v_readlane_b32 vcc_lo, v78, 57
	v_readlane_b32 vcc_hi, v78, 58
	s_and_b64 vcc, s[50:51], vcc
	s_mov_b64 exec, vcc
	s_cbranch_execz .LBB129_77
; %bb.76:                               ;   in Loop: Header=BB129_21 Depth=1
	v_add_co_u32_e32 v72, vcc, v51, v62
	v_addc_co_u32_e32 v73, vcc, 0, v71, vcc
	v_add_co_u32_e32 v74, vcc, v60, v40
	v_addc_co_u32_e32 v75, vcc, v61, v41, vcc
	v_cndmask_b32_e64 v73, v75, v73, s[0:1]
	v_cndmask_b32_e64 v72, v74, v72, s[0:1]
	global_load_dword v76, v[72:73], off offset:384
	v_add_co_u32_e32 v72, vcc, v50, v0
	v_addc_co_u32_e32 v73, vcc, 0, v17, vcc
	v_lshlrev_b64 v[72:73], 2, v[72:73]
	v_mov_b32_e32 v75, s58
	v_add_co_u32_e32 v74, vcc, s11, v72
	v_addc_co_u32_e32 v75, vcc, v75, v73, vcc
	global_store_dword v[74:75], v67, off
	v_mov_b32_e32 v74, s60
	v_add_co_u32_e32 v72, vcc, s59, v72
	v_addc_co_u32_e32 v73, vcc, v74, v73, vcc
	s_waitcnt vmcnt(1)
	global_store_dword v[72:73], v76, off
.LBB129_77:                             ;   in Loop: Header=BB129_21 Depth=1
	s_or_b64 exec, exec, s[50:51]
	s_mov_b64 s[50:51], exec
	v_readlane_b32 vcc_lo, v78, 59
	v_readlane_b32 vcc_hi, v78, 60
	s_and_b64 vcc, s[50:51], vcc
	s_mov_b64 exec, vcc
	s_cbranch_execz .LBB129_79
; %bb.78:                               ;   in Loop: Header=BB129_21 Depth=1
	v_add_co_u32_e32 v72, vcc, v51, v62
	v_addc_co_u32_e32 v73, vcc, 0, v71, vcc
	v_add_co_u32_e32 v72, vcc, s75, v72
	v_addc_co_u32_e32 v73, vcc, 0, v73, vcc
	v_add_co_u32_e32 v74, vcc, v60, v42
	v_addc_co_u32_e32 v75, vcc, v61, v43, vcc
	v_add_co_u32_e32 v74, vcc, 0x180, v74
	v_addc_co_u32_e32 v75, vcc, 0, v75, vcc
	v_cndmask_b32_e64 v73, v75, v73, s[0:1]
	v_cndmask_b32_e64 v72, v74, v72, s[0:1]
	global_load_dword v76, v[72:73], off
	v_add_co_u32_e32 v72, vcc, v50, v0
	v_addc_co_u32_e32 v73, vcc, 0, v17, vcc
	v_lshlrev_b64 v[72:73], 2, v[72:73]
	v_mov_b32_e32 v75, s62
	v_add_co_u32_e32 v74, vcc, s61, v72
	v_addc_co_u32_e32 v75, vcc, v75, v73, vcc
	global_store_dword v[74:75], v66, off
	v_mov_b32_e32 v74, s2
	v_add_co_u32_e32 v72, vcc, s63, v72
	v_addc_co_u32_e32 v73, vcc, v74, v73, vcc
	s_waitcnt vmcnt(1)
	global_store_dword v[72:73], v76, off
.LBB129_79:                             ;   in Loop: Header=BB129_21 Depth=1
	s_or_b64 exec, exec, s[50:51]
	s_mov_b64 s[50:51], exec
	v_readlane_b32 vcc_lo, v78, 61
	v_readlane_b32 vcc_hi, v78, 62
	s_and_b64 vcc, s[50:51], vcc
	s_mov_b64 exec, vcc
	s_cbranch_execz .LBB129_81
; %bb.80:                               ;   in Loop: Header=BB129_21 Depth=1
	v_add_co_u32_e32 v72, vcc, v51, v62
	v_addc_co_u32_e32 v73, vcc, 0, v71, vcc
	v_add_co_u32_e32 v72, vcc, s76, v72
	v_addc_co_u32_e32 v73, vcc, 0, v73, vcc
	v_add_co_u32_e32 v74, vcc, v60, v44
	v_addc_co_u32_e32 v75, vcc, v61, v45, vcc
	v_add_co_u32_e32 v74, vcc, 0x180, v74
	v_addc_co_u32_e32 v75, vcc, 0, v75, vcc
	v_cndmask_b32_e64 v73, v75, v73, s[0:1]
	v_cndmask_b32_e64 v72, v74, v72, s[0:1]
	global_load_dword v76, v[72:73], off
	v_add_co_u32_e32 v72, vcc, v50, v0
	v_addc_co_u32_e32 v73, vcc, 0, v17, vcc
	v_lshlrev_b64 v[72:73], 2, v[72:73]
	v_mov_b32_e32 v75, s64
	v_add_co_u32_e32 v74, vcc, s3, v72
	v_addc_co_u32_e32 v75, vcc, v75, v73, vcc
	global_store_dword v[74:75], v65, off
	v_mov_b32_e32 v74, s66
	v_add_co_u32_e32 v72, vcc, s65, v72
	v_addc_co_u32_e32 v73, vcc, v74, v73, vcc
	s_waitcnt vmcnt(1)
	global_store_dword v[72:73], v76, off
.LBB129_81:                             ;   in Loop: Header=BB129_21 Depth=1
	;; [unrolled: 32-line block ×3, first 2 shown]
	s_or_b64 exec, exec, s[50:51]
	s_mov_b64 s[50:51], exec
	v_readlane_b32 vcc_lo, v77, 1
	v_readlane_b32 vcc_hi, v77, 2
	s_and_b64 vcc, s[50:51], vcc
	s_mov_b64 exec, vcc
	s_cbranch_execz .LBB129_85
; %bb.84:                               ;   in Loop: Header=BB129_21 Depth=1
	v_add_co_u32_e32 v51, vcc, v51, v62
	v_addc_co_u32_e32 v71, vcc, 0, v71, vcc
	v_add_co_u32_e32 v51, vcc, s6, v51
	v_addc_co_u32_e32 v71, vcc, 0, v71, vcc
	;; [unrolled: 2-line block ×4, first 2 shown]
	v_cndmask_b32_e64 v73, v73, v71, s[0:1]
	v_cndmask_b32_e64 v72, v72, v51, s[0:1]
	global_load_dword v71, v[72:73], off
	v_add_co_u32_e32 v50, vcc, v50, v0
	v_addc_co_u32_e32 v51, vcc, 0, v17, vcc
	v_lshlrev_b64 v[50:51], 2, v[50:51]
	v_mov_b32_e32 v17, s70
	v_add_co_u32_e32 v72, vcc, s13, v50
	v_addc_co_u32_e32 v73, vcc, v17, v51, vcc
	v_mov_b32_e32 v17, s72
	v_add_co_u32_e32 v50, vcc, s71, v50
	v_addc_co_u32_e32 v51, vcc, v17, v51, vcc
	global_store_dword v[72:73], v70, off
	s_waitcnt vmcnt(1)
	global_store_dword v[50:51], v71, off
.LBB129_85:                             ;   in Loop: Header=BB129_21 Depth=1
	s_or_b64 exec, exec, s[50:51]
	v_add_co_u32_e32 v71, vcc, s78, v10
	v_pk_mov_b32 v[50:51], s[44:45], s[44:45] op_sel:[0,1]
	v_mov_b32_e32 v17, s80
	v_mad_u64_u32 v[50:51], s[50:51], v71, s36, v[50:51]
	v_addc_co_u32_e32 v17, vcc, v9, v17, vcc
	v_mov_b32_e32 v72, v51
	v_mad_u64_u32 v[72:73], s[50:51], v17, s36, v[72:73]
	v_mov_b32_e32 v71, s79
	v_add_co_u32_e32 v51, vcc, s7, v26
	v_mov_b32_e32 v17, v72
	v_addc_co_u32_e32 v71, vcc, v71, v27, vcc
	s_mov_b64 s[50:51], exec
	v_readlane_b32 vcc_lo, v77, 3
	v_readlane_b32 vcc_hi, v77, 4
	s_and_b64 vcc, s[50:51], vcc
	s_mov_b64 exec, vcc
	s_cbranch_execz .LBB129_87
; %bb.86:                               ;   in Loop: Header=BB129_21 Depth=1
	v_add_co_u32_e32 v72, vcc, v51, v62
	v_addc_co_u32_e32 v73, vcc, 0, v71, vcc
	v_add_co_u32_e32 v74, vcc, v60, v34
	v_addc_co_u32_e32 v75, vcc, v61, v35, vcc
	;; [unrolled: 2-line block ×3, first 2 shown]
	v_cndmask_b32_e64 v73, v75, v73, s[0:1]
	v_cndmask_b32_e64 v72, v74, v72, s[0:1]
	global_load_dword v76, v[72:73], off
	v_add_co_u32_e32 v72, vcc, v50, v0
	v_addc_co_u32_e32 v73, vcc, 0, v17, vcc
	v_lshlrev_b64 v[72:73], 2, v[72:73]
	v_mov_b32_e32 v75, s5
	v_add_co_u32_e32 v74, vcc, s4, v72
	v_addc_co_u32_e32 v75, vcc, v75, v73, vcc
	global_store_dword v[74:75], v63, off
	v_mov_b32_e32 v74, s47
	v_add_co_u32_e32 v72, vcc, s46, v72
	v_addc_co_u32_e32 v73, vcc, v74, v73, vcc
	s_waitcnt vmcnt(1)
	global_store_dword v[72:73], v76, off
.LBB129_87:                             ;   in Loop: Header=BB129_21 Depth=1
	s_or_b64 exec, exec, s[50:51]
	s_mov_b64 s[50:51], exec
	v_readlane_b32 vcc_lo, v77, 5
	v_readlane_b32 vcc_hi, v77, 6
	s_and_b64 vcc, s[50:51], vcc
	s_mov_b64 exec, vcc
	s_cbranch_execz .LBB129_89
; %bb.88:                               ;   in Loop: Header=BB129_21 Depth=1
	v_add_co_u32_e32 v72, vcc, v51, v62
	v_addc_co_u32_e32 v73, vcc, 0, v71, vcc
	v_add_co_u32_e32 v72, vcc, s39, v72
	v_addc_co_u32_e32 v73, vcc, 0, v73, vcc
	v_add_co_u32_e32 v74, vcc, v60, v36
	v_addc_co_u32_e32 v75, vcc, v61, v37, vcc
	v_add_co_u32_e32 v74, vcc, 0x200, v74
	v_addc_co_u32_e32 v75, vcc, 0, v75, vcc
	v_cndmask_b32_e64 v73, v75, v73, s[0:1]
	v_cndmask_b32_e64 v72, v74, v72, s[0:1]
	global_load_dword v76, v[72:73], off
	v_add_co_u32_e32 v72, vcc, v50, v0
	v_addc_co_u32_e32 v73, vcc, 0, v17, vcc
	v_lshlrev_b64 v[72:73], 2, v[72:73]
	v_mov_b32_e32 v75, s52
	v_add_co_u32_e32 v74, vcc, s33, v72
	v_addc_co_u32_e32 v75, vcc, v75, v73, vcc
	global_store_dword v[74:75], v69, off
	v_mov_b32_e32 v74, s54
	v_add_co_u32_e32 v72, vcc, s53, v72
	v_addc_co_u32_e32 v73, vcc, v74, v73, vcc
	s_waitcnt vmcnt(1)
	global_store_dword v[72:73], v76, off
.LBB129_89:                             ;   in Loop: Header=BB129_21 Depth=1
	s_or_b64 exec, exec, s[50:51]
	s_mov_b64 s[50:51], exec
	v_readlane_b32 vcc_lo, v77, 7
	v_readlane_b32 vcc_hi, v77, 8
	s_and_b64 vcc, s[50:51], vcc
	s_mov_b64 exec, vcc
	s_cbranch_execz .LBB129_91
; %bb.90:                               ;   in Loop: Header=BB129_21 Depth=1
	v_add_co_u32_e32 v72, vcc, v51, v62
	v_addc_co_u32_e32 v73, vcc, 0, v71, vcc
	v_add_co_u32_e32 v72, vcc, s73, v72
	v_addc_co_u32_e32 v73, vcc, 0, v73, vcc
	v_add_co_u32_e32 v74, vcc, v60, v38
	v_addc_co_u32_e32 v75, vcc, v61, v39, vcc
	v_add_co_u32_e32 v74, vcc, 0x200, v74
	v_addc_co_u32_e32 v75, vcc, 0, v75, vcc
	v_cndmask_b32_e64 v73, v75, v73, s[0:1]
	v_cndmask_b32_e64 v72, v74, v72, s[0:1]
	global_load_dword v76, v[72:73], off
	v_add_co_u32_e32 v72, vcc, v50, v0
	v_addc_co_u32_e32 v73, vcc, 0, v17, vcc
	v_lshlrev_b64 v[72:73], 2, v[72:73]
	v_mov_b32_e32 v75, s56
	v_add_co_u32_e32 v74, vcc, s55, v72
	v_addc_co_u32_e32 v75, vcc, v75, v73, vcc
	global_store_dword v[74:75], v68, off
	v_mov_b32_e32 v74, s10
	v_add_co_u32_e32 v72, vcc, s57, v72
	v_addc_co_u32_e32 v73, vcc, v74, v73, vcc
	s_waitcnt vmcnt(1)
	global_store_dword v[72:73], v76, off
.LBB129_91:                             ;   in Loop: Header=BB129_21 Depth=1
	;; [unrolled: 32-line block ×3, first 2 shown]
	s_or_b64 exec, exec, s[50:51]
	s_mov_b64 s[50:51], exec
	v_readlane_b32 vcc_lo, v77, 11
	v_readlane_b32 vcc_hi, v77, 12
	s_and_b64 vcc, s[50:51], vcc
	s_mov_b64 exec, vcc
	s_cbranch_execz .LBB129_95
; %bb.94:                               ;   in Loop: Header=BB129_21 Depth=1
	v_add_co_u32_e32 v72, vcc, v51, v62
	v_addc_co_u32_e32 v73, vcc, 0, v71, vcc
	v_add_co_u32_e32 v74, vcc, v60, v42
	v_addc_co_u32_e32 v75, vcc, v61, v43, vcc
	v_cndmask_b32_e64 v73, v75, v73, s[0:1]
	v_cndmask_b32_e64 v72, v74, v72, s[0:1]
	global_load_dword v76, v[72:73], off offset:512
	v_add_co_u32_e32 v72, vcc, v50, v0
	v_addc_co_u32_e32 v73, vcc, 0, v17, vcc
	v_lshlrev_b64 v[72:73], 2, v[72:73]
	v_mov_b32_e32 v75, s62
	v_add_co_u32_e32 v74, vcc, s61, v72
	v_addc_co_u32_e32 v75, vcc, v75, v73, vcc
	global_store_dword v[74:75], v66, off
	v_mov_b32_e32 v74, s2
	v_add_co_u32_e32 v72, vcc, s63, v72
	v_addc_co_u32_e32 v73, vcc, v74, v73, vcc
	s_waitcnt vmcnt(1)
	global_store_dword v[72:73], v76, off
.LBB129_95:                             ;   in Loop: Header=BB129_21 Depth=1
	s_or_b64 exec, exec, s[50:51]
	s_mov_b64 s[50:51], exec
	v_readlane_b32 vcc_lo, v77, 13
	v_readlane_b32 vcc_hi, v77, 14
	s_and_b64 vcc, s[50:51], vcc
	s_mov_b64 exec, vcc
	s_cbranch_execz .LBB129_97
; %bb.96:                               ;   in Loop: Header=BB129_21 Depth=1
	v_add_co_u32_e32 v72, vcc, v51, v62
	v_addc_co_u32_e32 v73, vcc, 0, v71, vcc
	v_add_co_u32_e32 v72, vcc, s76, v72
	v_addc_co_u32_e32 v73, vcc, 0, v73, vcc
	;; [unrolled: 2-line block ×4, first 2 shown]
	v_cndmask_b32_e64 v73, v75, v73, s[0:1]
	v_cndmask_b32_e64 v72, v74, v72, s[0:1]
	global_load_dword v76, v[72:73], off
	v_add_co_u32_e32 v72, vcc, v50, v0
	v_addc_co_u32_e32 v73, vcc, 0, v17, vcc
	v_lshlrev_b64 v[72:73], 2, v[72:73]
	v_mov_b32_e32 v75, s64
	v_add_co_u32_e32 v74, vcc, s3, v72
	v_addc_co_u32_e32 v75, vcc, v75, v73, vcc
	global_store_dword v[74:75], v65, off
	v_mov_b32_e32 v74, s66
	v_add_co_u32_e32 v72, vcc, s65, v72
	v_addc_co_u32_e32 v73, vcc, v74, v73, vcc
	s_waitcnt vmcnt(1)
	global_store_dword v[72:73], v76, off
.LBB129_97:                             ;   in Loop: Header=BB129_21 Depth=1
	s_or_b64 exec, exec, s[50:51]
	s_mov_b64 s[50:51], exec
	v_readlane_b32 vcc_lo, v77, 15
	v_readlane_b32 vcc_hi, v77, 16
	s_and_b64 vcc, s[50:51], vcc
	s_mov_b64 exec, vcc
	s_cbranch_execz .LBB129_99
; %bb.98:                               ;   in Loop: Header=BB129_21 Depth=1
	v_add_co_u32_e32 v72, vcc, v51, v62
	v_addc_co_u32_e32 v73, vcc, 0, v71, vcc
	v_add_co_u32_e32 v72, vcc, s77, v72
	v_addc_co_u32_e32 v73, vcc, 0, v73, vcc
	;; [unrolled: 2-line block ×4, first 2 shown]
	v_cndmask_b32_e64 v73, v75, v73, s[0:1]
	v_cndmask_b32_e64 v72, v74, v72, s[0:1]
	global_load_dword v76, v[72:73], off
	v_add_co_u32_e32 v72, vcc, v50, v0
	v_addc_co_u32_e32 v73, vcc, 0, v17, vcc
	v_lshlrev_b64 v[72:73], 2, v[72:73]
	v_mov_b32_e32 v75, s68
	v_add_co_u32_e32 v74, vcc, s67, v72
	v_addc_co_u32_e32 v75, vcc, v75, v73, vcc
	global_store_dword v[74:75], v64, off
	v_mov_b32_e32 v74, s12
	v_add_co_u32_e32 v72, vcc, s69, v72
	v_addc_co_u32_e32 v73, vcc, v74, v73, vcc
	s_waitcnt vmcnt(1)
	global_store_dword v[72:73], v76, off
.LBB129_99:                             ;   in Loop: Header=BB129_21 Depth=1
	s_or_b64 exec, exec, s[50:51]
	s_mov_b64 s[50:51], exec
	v_readlane_b32 vcc_lo, v77, 17
	v_readlane_b32 vcc_hi, v77, 18
	s_and_b64 vcc, s[50:51], vcc
	s_mov_b64 exec, vcc
	s_cbranch_execz .LBB129_101
; %bb.100:                              ;   in Loop: Header=BB129_21 Depth=1
	v_add_co_u32_e32 v51, vcc, v51, v62
	v_addc_co_u32_e32 v71, vcc, 0, v71, vcc
	v_add_co_u32_e32 v51, vcc, s6, v51
	v_addc_co_u32_e32 v71, vcc, 0, v71, vcc
	;; [unrolled: 2-line block ×4, first 2 shown]
	v_cndmask_b32_e64 v73, v73, v71, s[0:1]
	v_cndmask_b32_e64 v72, v72, v51, s[0:1]
	global_load_dword v71, v[72:73], off
	v_add_co_u32_e32 v50, vcc, v50, v0
	v_addc_co_u32_e32 v51, vcc, 0, v17, vcc
	v_lshlrev_b64 v[50:51], 2, v[50:51]
	v_mov_b32_e32 v17, s70
	v_add_co_u32_e32 v72, vcc, s13, v50
	v_addc_co_u32_e32 v73, vcc, v17, v51, vcc
	v_mov_b32_e32 v17, s72
	v_add_co_u32_e32 v50, vcc, s71, v50
	v_addc_co_u32_e32 v51, vcc, v17, v51, vcc
	global_store_dword v[72:73], v70, off
	s_waitcnt vmcnt(1)
	global_store_dword v[50:51], v71, off
.LBB129_101:                            ;   in Loop: Header=BB129_21 Depth=1
	s_or_b64 exec, exec, s[50:51]
	v_add_co_u32_e32 v71, vcc, s78, v12
	v_pk_mov_b32 v[50:51], s[44:45], s[44:45] op_sel:[0,1]
	v_mov_b32_e32 v17, s80
	v_mad_u64_u32 v[50:51], s[50:51], v71, s36, v[50:51]
	v_addc_co_u32_e32 v17, vcc, v11, v17, vcc
	v_mov_b32_e32 v72, v51
	v_mad_u64_u32 v[72:73], s[50:51], v17, s36, v[72:73]
	v_mov_b32_e32 v71, s79
	v_add_co_u32_e32 v51, vcc, s7, v28
	v_mov_b32_e32 v17, v72
	v_addc_co_u32_e32 v71, vcc, v71, v29, vcc
	s_mov_b64 s[50:51], exec
	v_readlane_b32 vcc_lo, v77, 19
	v_readlane_b32 vcc_hi, v77, 20
	s_and_b64 vcc, s[50:51], vcc
	s_mov_b64 exec, vcc
	s_cbranch_execz .LBB129_103
; %bb.102:                              ;   in Loop: Header=BB129_21 Depth=1
	v_add_co_u32_e32 v72, vcc, v51, v62
	v_addc_co_u32_e32 v73, vcc, 0, v71, vcc
	v_add_co_u32_e32 v74, vcc, v60, v34
	v_addc_co_u32_e32 v75, vcc, v61, v35, vcc
	;; [unrolled: 2-line block ×3, first 2 shown]
	v_cndmask_b32_e64 v73, v75, v73, s[0:1]
	v_cndmask_b32_e64 v72, v74, v72, s[0:1]
	global_load_dword v76, v[72:73], off
	v_add_co_u32_e32 v72, vcc, v50, v0
	v_addc_co_u32_e32 v73, vcc, 0, v17, vcc
	v_lshlrev_b64 v[72:73], 2, v[72:73]
	v_mov_b32_e32 v75, s5
	v_add_co_u32_e32 v74, vcc, s4, v72
	v_addc_co_u32_e32 v75, vcc, v75, v73, vcc
	global_store_dword v[74:75], v63, off
	v_mov_b32_e32 v74, s47
	v_add_co_u32_e32 v72, vcc, s46, v72
	v_addc_co_u32_e32 v73, vcc, v74, v73, vcc
	s_waitcnt vmcnt(1)
	global_store_dword v[72:73], v76, off
.LBB129_103:                            ;   in Loop: Header=BB129_21 Depth=1
	s_or_b64 exec, exec, s[50:51]
	s_mov_b64 s[50:51], exec
	v_readlane_b32 vcc_lo, v77, 21
	v_readlane_b32 vcc_hi, v77, 22
	s_and_b64 vcc, s[50:51], vcc
	s_mov_b64 exec, vcc
	s_cbranch_execz .LBB129_105
; %bb.104:                              ;   in Loop: Header=BB129_21 Depth=1
	v_add_co_u32_e32 v72, vcc, v51, v62
	v_addc_co_u32_e32 v73, vcc, 0, v71, vcc
	v_add_co_u32_e32 v72, vcc, s39, v72
	v_addc_co_u32_e32 v73, vcc, 0, v73, vcc
	v_add_co_u32_e32 v74, vcc, v60, v36
	v_addc_co_u32_e32 v75, vcc, v61, v37, vcc
	v_add_co_u32_e32 v74, vcc, 0x280, v74
	v_addc_co_u32_e32 v75, vcc, 0, v75, vcc
	v_cndmask_b32_e64 v73, v75, v73, s[0:1]
	v_cndmask_b32_e64 v72, v74, v72, s[0:1]
	global_load_dword v76, v[72:73], off
	v_add_co_u32_e32 v72, vcc, v50, v0
	v_addc_co_u32_e32 v73, vcc, 0, v17, vcc
	v_lshlrev_b64 v[72:73], 2, v[72:73]
	v_mov_b32_e32 v75, s52
	v_add_co_u32_e32 v74, vcc, s33, v72
	v_addc_co_u32_e32 v75, vcc, v75, v73, vcc
	global_store_dword v[74:75], v69, off
	v_mov_b32_e32 v74, s54
	v_add_co_u32_e32 v72, vcc, s53, v72
	v_addc_co_u32_e32 v73, vcc, v74, v73, vcc
	s_waitcnt vmcnt(1)
	global_store_dword v[72:73], v76, off
.LBB129_105:                            ;   in Loop: Header=BB129_21 Depth=1
	s_or_b64 exec, exec, s[50:51]
	s_mov_b64 s[50:51], exec
	v_readlane_b32 vcc_lo, v77, 23
	v_readlane_b32 vcc_hi, v77, 24
	s_and_b64 vcc, s[50:51], vcc
	s_mov_b64 exec, vcc
	s_cbranch_execz .LBB129_107
; %bb.106:                              ;   in Loop: Header=BB129_21 Depth=1
	v_add_co_u32_e32 v72, vcc, v51, v62
	v_addc_co_u32_e32 v73, vcc, 0, v71, vcc
	v_add_co_u32_e32 v72, vcc, s73, v72
	v_addc_co_u32_e32 v73, vcc, 0, v73, vcc
	v_add_co_u32_e32 v74, vcc, v60, v38
	v_addc_co_u32_e32 v75, vcc, v61, v39, vcc
	v_add_co_u32_e32 v74, vcc, 0x280, v74
	v_addc_co_u32_e32 v75, vcc, 0, v75, vcc
	v_cndmask_b32_e64 v73, v75, v73, s[0:1]
	v_cndmask_b32_e64 v72, v74, v72, s[0:1]
	global_load_dword v76, v[72:73], off
	v_add_co_u32_e32 v72, vcc, v50, v0
	v_addc_co_u32_e32 v73, vcc, 0, v17, vcc
	v_lshlrev_b64 v[72:73], 2, v[72:73]
	v_mov_b32_e32 v75, s56
	v_add_co_u32_e32 v74, vcc, s55, v72
	v_addc_co_u32_e32 v75, vcc, v75, v73, vcc
	global_store_dword v[74:75], v68, off
	v_mov_b32_e32 v74, s10
	v_add_co_u32_e32 v72, vcc, s57, v72
	v_addc_co_u32_e32 v73, vcc, v74, v73, vcc
	s_waitcnt vmcnt(1)
	global_store_dword v[72:73], v76, off
.LBB129_107:                            ;   in Loop: Header=BB129_21 Depth=1
	;; [unrolled: 32-line block ×4, first 2 shown]
	s_or_b64 exec, exec, s[50:51]
	s_mov_b64 s[50:51], exec
	v_readlane_b32 vcc_lo, v77, 29
	v_readlane_b32 vcc_hi, v77, 30
	s_and_b64 vcc, s[50:51], vcc
	s_mov_b64 exec, vcc
	s_cbranch_execz .LBB129_113
; %bb.112:                              ;   in Loop: Header=BB129_21 Depth=1
	v_add_co_u32_e32 v72, vcc, v51, v62
	v_addc_co_u32_e32 v73, vcc, 0, v71, vcc
	v_add_co_u32_e32 v74, vcc, v60, v44
	v_addc_co_u32_e32 v75, vcc, v61, v45, vcc
	v_cndmask_b32_e64 v73, v75, v73, s[0:1]
	v_cndmask_b32_e64 v72, v74, v72, s[0:1]
	global_load_dword v76, v[72:73], off offset:640
	v_add_co_u32_e32 v72, vcc, v50, v0
	v_addc_co_u32_e32 v73, vcc, 0, v17, vcc
	v_lshlrev_b64 v[72:73], 2, v[72:73]
	v_mov_b32_e32 v75, s64
	v_add_co_u32_e32 v74, vcc, s3, v72
	v_addc_co_u32_e32 v75, vcc, v75, v73, vcc
	global_store_dword v[74:75], v65, off
	v_mov_b32_e32 v74, s66
	v_add_co_u32_e32 v72, vcc, s65, v72
	v_addc_co_u32_e32 v73, vcc, v74, v73, vcc
	s_waitcnt vmcnt(1)
	global_store_dword v[72:73], v76, off
.LBB129_113:                            ;   in Loop: Header=BB129_21 Depth=1
	s_or_b64 exec, exec, s[50:51]
	s_mov_b64 s[50:51], exec
	v_readlane_b32 vcc_lo, v77, 31
	v_readlane_b32 vcc_hi, v77, 32
	s_and_b64 vcc, s[50:51], vcc
	s_mov_b64 exec, vcc
	s_cbranch_execz .LBB129_115
; %bb.114:                              ;   in Loop: Header=BB129_21 Depth=1
	v_add_co_u32_e32 v72, vcc, v51, v62
	v_addc_co_u32_e32 v73, vcc, 0, v71, vcc
	v_add_co_u32_e32 v72, vcc, s77, v72
	v_addc_co_u32_e32 v73, vcc, 0, v73, vcc
	;; [unrolled: 2-line block ×4, first 2 shown]
	v_cndmask_b32_e64 v73, v75, v73, s[0:1]
	v_cndmask_b32_e64 v72, v74, v72, s[0:1]
	global_load_dword v76, v[72:73], off
	v_add_co_u32_e32 v72, vcc, v50, v0
	v_addc_co_u32_e32 v73, vcc, 0, v17, vcc
	v_lshlrev_b64 v[72:73], 2, v[72:73]
	v_mov_b32_e32 v75, s68
	v_add_co_u32_e32 v74, vcc, s67, v72
	v_addc_co_u32_e32 v75, vcc, v75, v73, vcc
	global_store_dword v[74:75], v64, off
	v_mov_b32_e32 v74, s12
	v_add_co_u32_e32 v72, vcc, s69, v72
	v_addc_co_u32_e32 v73, vcc, v74, v73, vcc
	s_waitcnt vmcnt(1)
	global_store_dword v[72:73], v76, off
.LBB129_115:                            ;   in Loop: Header=BB129_21 Depth=1
	s_or_b64 exec, exec, s[50:51]
	s_and_saveexec_b64 s[50:51], s[14:15]
	s_cbranch_execz .LBB129_117
; %bb.116:                              ;   in Loop: Header=BB129_21 Depth=1
	v_add_co_u32_e32 v51, vcc, v51, v62
	v_addc_co_u32_e32 v71, vcc, 0, v71, vcc
	v_add_co_u32_e32 v51, vcc, s6, v51
	v_addc_co_u32_e32 v71, vcc, 0, v71, vcc
	;; [unrolled: 2-line block ×4, first 2 shown]
	v_cndmask_b32_e64 v73, v73, v71, s[0:1]
	v_cndmask_b32_e64 v72, v72, v51, s[0:1]
	global_load_dword v71, v[72:73], off
	v_add_co_u32_e32 v50, vcc, v50, v0
	v_addc_co_u32_e32 v51, vcc, 0, v17, vcc
	v_lshlrev_b64 v[50:51], 2, v[50:51]
	v_mov_b32_e32 v17, s70
	v_add_co_u32_e32 v72, vcc, s13, v50
	v_addc_co_u32_e32 v73, vcc, v17, v51, vcc
	v_mov_b32_e32 v17, s72
	v_add_co_u32_e32 v50, vcc, s71, v50
	v_addc_co_u32_e32 v51, vcc, v17, v51, vcc
	global_store_dword v[72:73], v70, off
	s_waitcnt vmcnt(1)
	global_store_dword v[50:51], v71, off
.LBB129_117:                            ;   in Loop: Header=BB129_21 Depth=1
	s_or_b64 exec, exec, s[50:51]
	v_add_co_u32_e32 v71, vcc, s78, v14
	v_pk_mov_b32 v[50:51], s[44:45], s[44:45] op_sel:[0,1]
	v_mov_b32_e32 v17, s80
	v_mad_u64_u32 v[50:51], s[50:51], v71, s36, v[50:51]
	v_addc_co_u32_e32 v17, vcc, v13, v17, vcc
	v_mov_b32_e32 v72, v51
	v_mad_u64_u32 v[72:73], s[50:51], v17, s36, v[72:73]
	v_mov_b32_e32 v71, s79
	v_add_co_u32_e32 v51, vcc, s7, v30
	v_mov_b32_e32 v17, v72
	v_addc_co_u32_e32 v71, vcc, v71, v31, vcc
	s_and_saveexec_b64 s[50:51], s[82:83]
	s_cbranch_execnz .LBB129_134
; %bb.118:                              ;   in Loop: Header=BB129_21 Depth=1
	s_or_b64 exec, exec, s[50:51]
	s_and_saveexec_b64 s[50:51], s[84:85]
	s_cbranch_execnz .LBB129_135
.LBB129_119:                            ;   in Loop: Header=BB129_21 Depth=1
	s_or_b64 exec, exec, s[50:51]
	s_and_saveexec_b64 s[50:51], s[86:87]
	s_cbranch_execnz .LBB129_136
.LBB129_120:                            ;   in Loop: Header=BB129_21 Depth=1
	s_or_b64 exec, exec, s[50:51]
	s_and_saveexec_b64 s[50:51], s[88:89]
	s_cbranch_execnz .LBB129_137
.LBB129_121:                            ;   in Loop: Header=BB129_21 Depth=1
	s_or_b64 exec, exec, s[50:51]
	s_and_saveexec_b64 s[50:51], s[90:91]
	s_cbranch_execnz .LBB129_138
.LBB129_122:                            ;   in Loop: Header=BB129_21 Depth=1
	s_or_b64 exec, exec, s[50:51]
	s_and_saveexec_b64 s[50:51], s[8:9]
	s_cbranch_execnz .LBB129_139
.LBB129_123:                            ;   in Loop: Header=BB129_21 Depth=1
	s_or_b64 exec, exec, s[50:51]
	s_and_saveexec_b64 s[50:51], s[92:93]
	s_cbranch_execnz .LBB129_140
.LBB129_124:                            ;   in Loop: Header=BB129_21 Depth=1
	s_or_b64 exec, exec, s[50:51]
	s_and_saveexec_b64 s[50:51], s[16:17]
	s_cbranch_execz .LBB129_126
.LBB129_125:                            ;   in Loop: Header=BB129_21 Depth=1
	v_add_co_u32_e32 v51, vcc, v51, v62
	v_addc_co_u32_e32 v71, vcc, 0, v71, vcc
	v_add_co_u32_e32 v51, vcc, s6, v51
	v_addc_co_u32_e32 v71, vcc, 0, v71, vcc
	;; [unrolled: 2-line block ×4, first 2 shown]
	v_cndmask_b32_e64 v73, v73, v71, s[0:1]
	v_cndmask_b32_e64 v72, v72, v51, s[0:1]
	global_load_dword v71, v[72:73], off
	v_add_co_u32_e32 v50, vcc, v50, v0
	v_addc_co_u32_e32 v51, vcc, 0, v17, vcc
	v_lshlrev_b64 v[50:51], 2, v[50:51]
	v_mov_b32_e32 v17, s70
	v_add_co_u32_e32 v72, vcc, s13, v50
	v_addc_co_u32_e32 v73, vcc, v17, v51, vcc
	v_mov_b32_e32 v17, s72
	v_add_co_u32_e32 v50, vcc, s71, v50
	v_addc_co_u32_e32 v51, vcc, v17, v51, vcc
	global_store_dword v[72:73], v70, off
	s_waitcnt vmcnt(1)
	global_store_dword v[50:51], v71, off
.LBB129_126:                            ;   in Loop: Header=BB129_21 Depth=1
	s_or_b64 exec, exec, s[50:51]
	v_add_co_u32_e32 v71, vcc, s78, v16
	v_pk_mov_b32 v[50:51], s[44:45], s[44:45] op_sel:[0,1]
	v_mov_b32_e32 v17, s80
	v_mad_u64_u32 v[50:51], s[50:51], v71, s36, v[50:51]
	v_addc_co_u32_e32 v17, vcc, v15, v17, vcc
	v_mov_b32_e32 v72, v51
	v_mad_u64_u32 v[72:73], s[50:51], v17, s36, v[72:73]
	v_mov_b32_e32 v71, s79
	v_add_co_u32_e32 v51, vcc, s7, v32
	v_mov_b32_e32 v17, v72
	v_addc_co_u32_e32 v71, vcc, v71, v33, vcc
	s_and_saveexec_b64 s[50:51], s[94:95]
	s_cbranch_execnz .LBB129_141
; %bb.127:                              ;   in Loop: Header=BB129_21 Depth=1
	s_or_b64 exec, exec, s[50:51]
	s_and_saveexec_b64 s[50:51], s[20:21]
	s_cbranch_execnz .LBB129_142
.LBB129_128:                            ;   in Loop: Header=BB129_21 Depth=1
	s_or_b64 exec, exec, s[50:51]
	s_and_saveexec_b64 s[50:51], s[22:23]
	s_cbranch_execnz .LBB129_143
.LBB129_129:                            ;   in Loop: Header=BB129_21 Depth=1
	s_or_b64 exec, exec, s[50:51]
	s_and_saveexec_b64 s[50:51], s[24:25]
	s_cbranch_execnz .LBB129_144
.LBB129_130:                            ;   in Loop: Header=BB129_21 Depth=1
	s_or_b64 exec, exec, s[50:51]
	s_and_saveexec_b64 s[50:51], s[26:27]
	s_cbranch_execnz .LBB129_145
.LBB129_131:                            ;   in Loop: Header=BB129_21 Depth=1
	s_or_b64 exec, exec, s[50:51]
	s_and_saveexec_b64 s[50:51], s[28:29]
	s_cbranch_execnz .LBB129_146
.LBB129_132:                            ;   in Loop: Header=BB129_21 Depth=1
	s_or_b64 exec, exec, s[50:51]
	s_and_saveexec_b64 s[50:51], s[30:31]
	s_cbranch_execnz .LBB129_147
.LBB129_133:                            ;   in Loop: Header=BB129_21 Depth=1
	s_or_b64 exec, exec, s[50:51]
	s_and_saveexec_b64 s[50:51], s[18:19]
	s_cbranch_execz .LBB129_20
	s_branch .LBB129_148
.LBB129_134:                            ;   in Loop: Header=BB129_21 Depth=1
	v_add_co_u32_e32 v72, vcc, v51, v62
	v_addc_co_u32_e32 v73, vcc, 0, v71, vcc
	v_add_co_u32_e32 v74, vcc, v60, v34
	v_addc_co_u32_e32 v75, vcc, v61, v35, vcc
	;; [unrolled: 2-line block ×3, first 2 shown]
	v_cndmask_b32_e64 v73, v75, v73, s[0:1]
	v_cndmask_b32_e64 v72, v74, v72, s[0:1]
	global_load_dword v76, v[72:73], off
	v_add_co_u32_e32 v72, vcc, v50, v0
	v_addc_co_u32_e32 v73, vcc, 0, v17, vcc
	v_lshlrev_b64 v[72:73], 2, v[72:73]
	v_mov_b32_e32 v75, s5
	v_add_co_u32_e32 v74, vcc, s4, v72
	v_addc_co_u32_e32 v75, vcc, v75, v73, vcc
	global_store_dword v[74:75], v63, off
	v_mov_b32_e32 v74, s47
	v_add_co_u32_e32 v72, vcc, s46, v72
	v_addc_co_u32_e32 v73, vcc, v74, v73, vcc
	s_waitcnt vmcnt(1)
	global_store_dword v[72:73], v76, off
	s_or_b64 exec, exec, s[50:51]
	s_and_saveexec_b64 s[50:51], s[84:85]
	s_cbranch_execz .LBB129_119
.LBB129_135:                            ;   in Loop: Header=BB129_21 Depth=1
	v_add_co_u32_e32 v72, vcc, v51, v62
	v_addc_co_u32_e32 v73, vcc, 0, v71, vcc
	v_add_co_u32_e32 v72, vcc, s39, v72
	v_addc_co_u32_e32 v73, vcc, 0, v73, vcc
	;; [unrolled: 2-line block ×4, first 2 shown]
	v_cndmask_b32_e64 v73, v75, v73, s[0:1]
	v_cndmask_b32_e64 v72, v74, v72, s[0:1]
	global_load_dword v76, v[72:73], off
	v_add_co_u32_e32 v72, vcc, v50, v0
	v_addc_co_u32_e32 v73, vcc, 0, v17, vcc
	v_lshlrev_b64 v[72:73], 2, v[72:73]
	v_mov_b32_e32 v75, s52
	v_add_co_u32_e32 v74, vcc, s33, v72
	v_addc_co_u32_e32 v75, vcc, v75, v73, vcc
	global_store_dword v[74:75], v69, off
	v_mov_b32_e32 v74, s54
	v_add_co_u32_e32 v72, vcc, s53, v72
	v_addc_co_u32_e32 v73, vcc, v74, v73, vcc
	s_waitcnt vmcnt(1)
	global_store_dword v[72:73], v76, off
	s_or_b64 exec, exec, s[50:51]
	s_and_saveexec_b64 s[50:51], s[86:87]
	s_cbranch_execz .LBB129_120
.LBB129_136:                            ;   in Loop: Header=BB129_21 Depth=1
	v_add_co_u32_e32 v72, vcc, v51, v62
	v_addc_co_u32_e32 v73, vcc, 0, v71, vcc
	v_add_co_u32_e32 v72, vcc, s73, v72
	v_addc_co_u32_e32 v73, vcc, 0, v73, vcc
	;; [unrolled: 2-line block ×4, first 2 shown]
	v_cndmask_b32_e64 v73, v75, v73, s[0:1]
	v_cndmask_b32_e64 v72, v74, v72, s[0:1]
	global_load_dword v76, v[72:73], off
	v_add_co_u32_e32 v72, vcc, v50, v0
	v_addc_co_u32_e32 v73, vcc, 0, v17, vcc
	v_lshlrev_b64 v[72:73], 2, v[72:73]
	v_mov_b32_e32 v75, s56
	v_add_co_u32_e32 v74, vcc, s55, v72
	v_addc_co_u32_e32 v75, vcc, v75, v73, vcc
	global_store_dword v[74:75], v68, off
	v_mov_b32_e32 v74, s10
	v_add_co_u32_e32 v72, vcc, s57, v72
	v_addc_co_u32_e32 v73, vcc, v74, v73, vcc
	s_waitcnt vmcnt(1)
	global_store_dword v[72:73], v76, off
	s_or_b64 exec, exec, s[50:51]
	s_and_saveexec_b64 s[50:51], s[88:89]
	s_cbranch_execz .LBB129_121
.LBB129_137:                            ;   in Loop: Header=BB129_21 Depth=1
	v_add_co_u32_e32 v72, vcc, v51, v62
	v_addc_co_u32_e32 v73, vcc, 0, v71, vcc
	v_add_co_u32_e32 v72, vcc, s74, v72
	v_addc_co_u32_e32 v73, vcc, 0, v73, vcc
	;; [unrolled: 2-line block ×4, first 2 shown]
	v_cndmask_b32_e64 v73, v75, v73, s[0:1]
	v_cndmask_b32_e64 v72, v74, v72, s[0:1]
	global_load_dword v76, v[72:73], off
	v_add_co_u32_e32 v72, vcc, v50, v0
	v_addc_co_u32_e32 v73, vcc, 0, v17, vcc
	v_lshlrev_b64 v[72:73], 2, v[72:73]
	v_mov_b32_e32 v75, s58
	v_add_co_u32_e32 v74, vcc, s11, v72
	v_addc_co_u32_e32 v75, vcc, v75, v73, vcc
	global_store_dword v[74:75], v67, off
	v_mov_b32_e32 v74, s60
	v_add_co_u32_e32 v72, vcc, s59, v72
	v_addc_co_u32_e32 v73, vcc, v74, v73, vcc
	s_waitcnt vmcnt(1)
	global_store_dword v[72:73], v76, off
	s_or_b64 exec, exec, s[50:51]
	s_and_saveexec_b64 s[50:51], s[90:91]
	s_cbranch_execz .LBB129_122
.LBB129_138:                            ;   in Loop: Header=BB129_21 Depth=1
	v_add_co_u32_e32 v72, vcc, v51, v62
	v_addc_co_u32_e32 v73, vcc, 0, v71, vcc
	v_add_co_u32_e32 v72, vcc, s75, v72
	v_addc_co_u32_e32 v73, vcc, 0, v73, vcc
	;; [unrolled: 2-line block ×4, first 2 shown]
	v_cndmask_b32_e64 v73, v75, v73, s[0:1]
	v_cndmask_b32_e64 v72, v74, v72, s[0:1]
	global_load_dword v76, v[72:73], off
	v_add_co_u32_e32 v72, vcc, v50, v0
	v_addc_co_u32_e32 v73, vcc, 0, v17, vcc
	v_lshlrev_b64 v[72:73], 2, v[72:73]
	v_mov_b32_e32 v75, s62
	v_add_co_u32_e32 v74, vcc, s61, v72
	v_addc_co_u32_e32 v75, vcc, v75, v73, vcc
	global_store_dword v[74:75], v66, off
	v_mov_b32_e32 v74, s2
	v_add_co_u32_e32 v72, vcc, s63, v72
	v_addc_co_u32_e32 v73, vcc, v74, v73, vcc
	s_waitcnt vmcnt(1)
	global_store_dword v[72:73], v76, off
	s_or_b64 exec, exec, s[50:51]
	s_and_saveexec_b64 s[50:51], s[8:9]
	s_cbranch_execz .LBB129_123
.LBB129_139:                            ;   in Loop: Header=BB129_21 Depth=1
	v_add_co_u32_e32 v72, vcc, v51, v62
	v_addc_co_u32_e32 v73, vcc, 0, v71, vcc
	v_add_co_u32_e32 v72, vcc, s76, v72
	v_addc_co_u32_e32 v73, vcc, 0, v73, vcc
	;; [unrolled: 2-line block ×4, first 2 shown]
	v_cndmask_b32_e64 v73, v75, v73, s[0:1]
	v_cndmask_b32_e64 v72, v74, v72, s[0:1]
	global_load_dword v76, v[72:73], off
	v_add_co_u32_e32 v72, vcc, v50, v0
	v_addc_co_u32_e32 v73, vcc, 0, v17, vcc
	v_lshlrev_b64 v[72:73], 2, v[72:73]
	v_mov_b32_e32 v75, s64
	v_add_co_u32_e32 v74, vcc, s3, v72
	v_addc_co_u32_e32 v75, vcc, v75, v73, vcc
	global_store_dword v[74:75], v65, off
	v_mov_b32_e32 v74, s66
	v_add_co_u32_e32 v72, vcc, s65, v72
	v_addc_co_u32_e32 v73, vcc, v74, v73, vcc
	s_waitcnt vmcnt(1)
	global_store_dword v[72:73], v76, off
	s_or_b64 exec, exec, s[50:51]
	s_and_saveexec_b64 s[50:51], s[92:93]
	s_cbranch_execz .LBB129_124
.LBB129_140:                            ;   in Loop: Header=BB129_21 Depth=1
	v_add_co_u32_e32 v72, vcc, v51, v62
	v_addc_co_u32_e32 v73, vcc, 0, v71, vcc
	v_add_co_u32_e32 v74, vcc, v60, v46
	v_addc_co_u32_e32 v75, vcc, v61, v47, vcc
	v_cndmask_b32_e64 v73, v75, v73, s[0:1]
	v_cndmask_b32_e64 v72, v74, v72, s[0:1]
	global_load_dword v76, v[72:73], off offset:768
	v_add_co_u32_e32 v72, vcc, v50, v0
	v_addc_co_u32_e32 v73, vcc, 0, v17, vcc
	v_lshlrev_b64 v[72:73], 2, v[72:73]
	v_mov_b32_e32 v75, s68
	v_add_co_u32_e32 v74, vcc, s67, v72
	v_addc_co_u32_e32 v75, vcc, v75, v73, vcc
	global_store_dword v[74:75], v64, off
	v_mov_b32_e32 v74, s12
	v_add_co_u32_e32 v72, vcc, s69, v72
	v_addc_co_u32_e32 v73, vcc, v74, v73, vcc
	s_waitcnt vmcnt(1)
	global_store_dword v[72:73], v76, off
	s_or_b64 exec, exec, s[50:51]
	s_and_saveexec_b64 s[50:51], s[16:17]
	s_cbranch_execnz .LBB129_125
	s_branch .LBB129_126
.LBB129_141:                            ;   in Loop: Header=BB129_21 Depth=1
	v_add_co_u32_e32 v72, vcc, v51, v62
	v_addc_co_u32_e32 v73, vcc, 0, v71, vcc
	v_add_co_u32_e32 v74, vcc, v60, v34
	v_addc_co_u32_e32 v75, vcc, v61, v35, vcc
	;; [unrolled: 2-line block ×3, first 2 shown]
	v_cndmask_b32_e64 v73, v75, v73, s[0:1]
	v_cndmask_b32_e64 v72, v74, v72, s[0:1]
	global_load_dword v76, v[72:73], off
	v_add_co_u32_e32 v72, vcc, v50, v0
	v_addc_co_u32_e32 v73, vcc, 0, v17, vcc
	v_lshlrev_b64 v[72:73], 2, v[72:73]
	v_mov_b32_e32 v75, s5
	v_add_co_u32_e32 v74, vcc, s4, v72
	v_addc_co_u32_e32 v75, vcc, v75, v73, vcc
	global_store_dword v[74:75], v63, off
	v_mov_b32_e32 v63, s47
	v_add_co_u32_e32 v72, vcc, s46, v72
	v_addc_co_u32_e32 v73, vcc, v63, v73, vcc
	s_waitcnt vmcnt(1)
	global_store_dword v[72:73], v76, off
	s_or_b64 exec, exec, s[50:51]
	s_and_saveexec_b64 s[50:51], s[20:21]
	s_cbranch_execz .LBB129_128
.LBB129_142:                            ;   in Loop: Header=BB129_21 Depth=1
	v_add_co_u32_e32 v63, vcc, v51, v62
	v_addc_co_u32_e32 v72, vcc, 0, v71, vcc
	v_add_co_u32_e32 v63, vcc, s39, v63
	v_addc_co_u32_e32 v72, vcc, 0, v72, vcc
	;; [unrolled: 2-line block ×4, first 2 shown]
	v_cndmask_b32_e64 v73, v73, v72, s[0:1]
	v_cndmask_b32_e64 v72, v75, v63, s[0:1]
	global_load_dword v63, v[72:73], off
	v_add_co_u32_e32 v72, vcc, v50, v0
	v_addc_co_u32_e32 v73, vcc, 0, v17, vcc
	v_lshlrev_b64 v[72:73], 2, v[72:73]
	v_mov_b32_e32 v75, s52
	v_add_co_u32_e32 v74, vcc, s33, v72
	v_addc_co_u32_e32 v75, vcc, v75, v73, vcc
	global_store_dword v[74:75], v69, off
	v_mov_b32_e32 v69, s54
	v_add_co_u32_e32 v72, vcc, s53, v72
	v_addc_co_u32_e32 v73, vcc, v69, v73, vcc
	s_waitcnt vmcnt(1)
	global_store_dword v[72:73], v63, off
	s_or_b64 exec, exec, s[50:51]
	s_and_saveexec_b64 s[50:51], s[22:23]
	s_cbranch_execz .LBB129_129
.LBB129_143:                            ;   in Loop: Header=BB129_21 Depth=1
	v_add_co_u32_e32 v63, vcc, v51, v62
	v_addc_co_u32_e32 v69, vcc, 0, v71, vcc
	v_add_co_u32_e32 v63, vcc, s73, v63
	v_addc_co_u32_e32 v69, vcc, 0, v69, vcc
	;; [unrolled: 2-line block ×4, first 2 shown]
	v_cndmask_b32_e64 v73, v73, v69, s[0:1]
	v_cndmask_b32_e64 v72, v72, v63, s[0:1]
	global_load_dword v63, v[72:73], off
	v_add_co_u32_e32 v72, vcc, v50, v0
	v_addc_co_u32_e32 v73, vcc, 0, v17, vcc
	v_lshlrev_b64 v[72:73], 2, v[72:73]
	v_mov_b32_e32 v69, s56
	v_add_co_u32_e32 v74, vcc, s55, v72
	v_addc_co_u32_e32 v75, vcc, v69, v73, vcc
	global_store_dword v[74:75], v68, off
	v_mov_b32_e32 v69, s10
	v_add_co_u32_e32 v68, vcc, s57, v72
	v_addc_co_u32_e32 v69, vcc, v69, v73, vcc
	s_waitcnt vmcnt(1)
	global_store_dword v[68:69], v63, off
	s_or_b64 exec, exec, s[50:51]
	s_and_saveexec_b64 s[50:51], s[24:25]
	s_cbranch_execz .LBB129_130
.LBB129_144:                            ;   in Loop: Header=BB129_21 Depth=1
	v_add_co_u32_e32 v63, vcc, v51, v62
	v_addc_co_u32_e32 v68, vcc, 0, v71, vcc
	v_add_co_u32_e32 v63, vcc, s74, v63
	v_addc_co_u32_e32 v68, vcc, 0, v68, vcc
	;; [unrolled: 2-line block ×4, first 2 shown]
	v_cndmask_b32_e64 v69, v69, v68, s[0:1]
	v_cndmask_b32_e64 v68, v73, v63, s[0:1]
	global_load_dword v63, v[68:69], off
	v_add_co_u32_e32 v68, vcc, v50, v0
	v_addc_co_u32_e32 v69, vcc, 0, v17, vcc
	v_lshlrev_b64 v[68:69], 2, v[68:69]
	v_mov_b32_e32 v73, s58
	v_add_co_u32_e32 v72, vcc, s11, v68
	v_addc_co_u32_e32 v73, vcc, v73, v69, vcc
	global_store_dword v[72:73], v67, off
	v_mov_b32_e32 v67, s60
	v_add_co_u32_e32 v68, vcc, s59, v68
	v_addc_co_u32_e32 v69, vcc, v67, v69, vcc
	s_waitcnt vmcnt(1)
	global_store_dword v[68:69], v63, off
	s_or_b64 exec, exec, s[50:51]
	s_and_saveexec_b64 s[50:51], s[26:27]
	s_cbranch_execz .LBB129_131
.LBB129_145:                            ;   in Loop: Header=BB129_21 Depth=1
	v_add_co_u32_e32 v63, vcc, v51, v62
	v_addc_co_u32_e32 v67, vcc, 0, v71, vcc
	v_add_co_u32_e32 v63, vcc, s75, v63
	v_addc_co_u32_e32 v67, vcc, 0, v67, vcc
	;; [unrolled: 2-line block ×4, first 2 shown]
	v_cndmask_b32_e64 v69, v69, v67, s[0:1]
	v_cndmask_b32_e64 v68, v68, v63, s[0:1]
	global_load_dword v63, v[68:69], off
	v_add_co_u32_e32 v68, vcc, v50, v0
	v_addc_co_u32_e32 v69, vcc, 0, v17, vcc
	v_lshlrev_b64 v[68:69], 2, v[68:69]
	v_mov_b32_e32 v67, s62
	v_add_co_u32_e32 v72, vcc, s61, v68
	v_addc_co_u32_e32 v73, vcc, v67, v69, vcc
	global_store_dword v[72:73], v66, off
	v_mov_b32_e32 v67, s2
	v_add_co_u32_e32 v66, vcc, s63, v68
	v_addc_co_u32_e32 v67, vcc, v67, v69, vcc
	s_waitcnt vmcnt(1)
	global_store_dword v[66:67], v63, off
	s_or_b64 exec, exec, s[50:51]
	s_and_saveexec_b64 s[50:51], s[28:29]
	s_cbranch_execz .LBB129_132
.LBB129_146:                            ;   in Loop: Header=BB129_21 Depth=1
	v_add_co_u32_e32 v63, vcc, v51, v62
	v_addc_co_u32_e32 v66, vcc, 0, v71, vcc
	v_add_co_u32_e32 v63, vcc, s76, v63
	v_addc_co_u32_e32 v66, vcc, 0, v66, vcc
	;; [unrolled: 2-line block ×4, first 2 shown]
	v_cndmask_b32_e64 v67, v67, v66, s[0:1]
	v_cndmask_b32_e64 v66, v69, v63, s[0:1]
	global_load_dword v63, v[66:67], off
	v_add_co_u32_e32 v66, vcc, v50, v0
	v_addc_co_u32_e32 v67, vcc, 0, v17, vcc
	v_lshlrev_b64 v[66:67], 2, v[66:67]
	v_mov_b32_e32 v69, s64
	v_add_co_u32_e32 v68, vcc, s3, v66
	v_addc_co_u32_e32 v69, vcc, v69, v67, vcc
	global_store_dword v[68:69], v65, off
	v_mov_b32_e32 v65, s66
	v_add_co_u32_e32 v66, vcc, s65, v66
	v_addc_co_u32_e32 v67, vcc, v65, v67, vcc
	s_waitcnt vmcnt(1)
	global_store_dword v[66:67], v63, off
	s_or_b64 exec, exec, s[50:51]
	s_and_saveexec_b64 s[50:51], s[30:31]
	s_cbranch_execz .LBB129_133
.LBB129_147:                            ;   in Loop: Header=BB129_21 Depth=1
	v_add_co_u32_e32 v63, vcc, v51, v62
	v_addc_co_u32_e32 v65, vcc, 0, v71, vcc
	v_add_co_u32_e32 v63, vcc, s77, v63
	v_addc_co_u32_e32 v65, vcc, 0, v65, vcc
	;; [unrolled: 2-line block ×4, first 2 shown]
	v_cndmask_b32_e64 v67, v67, v65, s[0:1]
	v_cndmask_b32_e64 v66, v66, v63, s[0:1]
	global_load_dword v63, v[66:67], off
	v_add_co_u32_e32 v66, vcc, v50, v0
	v_addc_co_u32_e32 v67, vcc, 0, v17, vcc
	v_lshlrev_b64 v[66:67], 2, v[66:67]
	v_mov_b32_e32 v65, s68
	v_add_co_u32_e32 v68, vcc, s67, v66
	v_addc_co_u32_e32 v69, vcc, v65, v67, vcc
	global_store_dword v[68:69], v64, off
	v_mov_b32_e32 v65, s12
	v_add_co_u32_e32 v64, vcc, s69, v66
	v_addc_co_u32_e32 v65, vcc, v65, v67, vcc
	s_waitcnt vmcnt(1)
	global_store_dword v[64:65], v63, off
	s_or_b64 exec, exec, s[50:51]
	s_and_saveexec_b64 s[50:51], s[18:19]
	s_cbranch_execz .LBB129_20
.LBB129_148:                            ;   in Loop: Header=BB129_21 Depth=1
	v_add_co_u32_e32 v51, vcc, v51, v62
	v_addc_co_u32_e32 v62, vcc, 0, v71, vcc
	v_add_co_u32_e32 v60, vcc, v60, v48
	v_addc_co_u32_e32 v61, vcc, v61, v49, vcc
	v_cndmask_b32_e64 v61, v61, v62, s[0:1]
	v_cndmask_b32_e64 v60, v60, v51, s[0:1]
	global_load_dword v62, v[60:61], off offset:896
	v_add_co_u32_e32 v50, vcc, v50, v0
	v_addc_co_u32_e32 v51, vcc, 0, v17, vcc
	v_lshlrev_b64 v[50:51], 2, v[50:51]
	v_mov_b32_e32 v17, s70
	v_add_co_u32_e32 v60, vcc, s13, v50
	v_addc_co_u32_e32 v61, vcc, v17, v51, vcc
	v_mov_b32_e32 v17, s72
	v_add_co_u32_e32 v50, vcc, s71, v50
	v_addc_co_u32_e32 v51, vcc, v17, v51, vcc
	global_store_dword v[60:61], v70, off
	s_waitcnt vmcnt(1)
	global_store_dword v[50:51], v62, off
	s_branch .LBB129_20
.LBB129_149:
	s_endpgm
	.section	.rodata,"a",@progbits
	.p2align	6, 0x0
	.amdhsa_kernel _ZN9rocsparseL35bsr2csr_block_per_row_33_256_kernelILj1024ELj256ELj32EfliEEv20rocsparse_direction_T4_S2_21rocsparse_index_base_PKT2_PKT3_PKS2_S2_S3_PS4_PS7_PS2_
		.amdhsa_group_segment_fixed_size 0
		.amdhsa_private_segment_fixed_size 0
		.amdhsa_kernarg_size 72
		.amdhsa_user_sgpr_count 6
		.amdhsa_user_sgpr_private_segment_buffer 1
		.amdhsa_user_sgpr_dispatch_ptr 0
		.amdhsa_user_sgpr_queue_ptr 0
		.amdhsa_user_sgpr_kernarg_segment_ptr 1
		.amdhsa_user_sgpr_dispatch_id 0
		.amdhsa_user_sgpr_flat_scratch_init 0
		.amdhsa_user_sgpr_kernarg_preload_length 0
		.amdhsa_user_sgpr_kernarg_preload_offset 0
		.amdhsa_user_sgpr_private_segment_size 0
		.amdhsa_uses_dynamic_stack 0
		.amdhsa_system_sgpr_private_segment_wavefront_offset 0
		.amdhsa_system_sgpr_workgroup_id_x 1
		.amdhsa_system_sgpr_workgroup_id_y 0
		.amdhsa_system_sgpr_workgroup_id_z 0
		.amdhsa_system_sgpr_workgroup_info 0
		.amdhsa_system_vgpr_workitem_id 0
		.amdhsa_next_free_vgpr 79
		.amdhsa_next_free_sgpr 96
		.amdhsa_accum_offset 80
		.amdhsa_reserve_vcc 1
		.amdhsa_reserve_flat_scratch 0
		.amdhsa_float_round_mode_32 0
		.amdhsa_float_round_mode_16_64 0
		.amdhsa_float_denorm_mode_32 3
		.amdhsa_float_denorm_mode_16_64 3
		.amdhsa_dx10_clamp 1
		.amdhsa_ieee_mode 1
		.amdhsa_fp16_overflow 0
		.amdhsa_tg_split 0
		.amdhsa_exception_fp_ieee_invalid_op 0
		.amdhsa_exception_fp_denorm_src 0
		.amdhsa_exception_fp_ieee_div_zero 0
		.amdhsa_exception_fp_ieee_overflow 0
		.amdhsa_exception_fp_ieee_underflow 0
		.amdhsa_exception_fp_ieee_inexact 0
		.amdhsa_exception_int_div_zero 0
	.end_amdhsa_kernel
	.section	.text._ZN9rocsparseL35bsr2csr_block_per_row_33_256_kernelILj1024ELj256ELj32EfliEEv20rocsparse_direction_T4_S2_21rocsparse_index_base_PKT2_PKT3_PKS2_S2_S3_PS4_PS7_PS2_,"axG",@progbits,_ZN9rocsparseL35bsr2csr_block_per_row_33_256_kernelILj1024ELj256ELj32EfliEEv20rocsparse_direction_T4_S2_21rocsparse_index_base_PKT2_PKT3_PKS2_S2_S3_PS4_PS7_PS2_,comdat
.Lfunc_end129:
	.size	_ZN9rocsparseL35bsr2csr_block_per_row_33_256_kernelILj1024ELj256ELj32EfliEEv20rocsparse_direction_T4_S2_21rocsparse_index_base_PKT2_PKT3_PKS2_S2_S3_PS4_PS7_PS2_, .Lfunc_end129-_ZN9rocsparseL35bsr2csr_block_per_row_33_256_kernelILj1024ELj256ELj32EfliEEv20rocsparse_direction_T4_S2_21rocsparse_index_base_PKT2_PKT3_PKS2_S2_S3_PS4_PS7_PS2_
                                        ; -- End function
	.section	.AMDGPU.csdata,"",@progbits
; Kernel info:
; codeLenInByte = 12976
; NumSgprs: 100
; NumVgprs: 79
; NumAgprs: 0
; TotalNumVgprs: 79
; ScratchSize: 0
; MemoryBound: 0
; FloatMode: 240
; IeeeMode: 1
; LDSByteSize: 0 bytes/workgroup (compile time only)
; SGPRBlocks: 12
; VGPRBlocks: 9
; NumSGPRsForWavesPerEU: 100
; NumVGPRsForWavesPerEU: 79
; AccumOffset: 80
; Occupancy: 6
; WaveLimiterHint : 1
; COMPUTE_PGM_RSRC2:SCRATCH_EN: 0
; COMPUTE_PGM_RSRC2:USER_SGPR: 6
; COMPUTE_PGM_RSRC2:TRAP_HANDLER: 0
; COMPUTE_PGM_RSRC2:TGID_X_EN: 1
; COMPUTE_PGM_RSRC2:TGID_Y_EN: 0
; COMPUTE_PGM_RSRC2:TGID_Z_EN: 0
; COMPUTE_PGM_RSRC2:TIDIG_COMP_CNT: 0
; COMPUTE_PGM_RSRC3_GFX90A:ACCUM_OFFSET: 19
; COMPUTE_PGM_RSRC3_GFX90A:TG_SPLIT: 0
	.section	.text._ZN9rocsparseL35bsr2csr_block_dim_equals_one_kernelILj1024EfilEEvT2_S1_21rocsparse_index_base_PKT0_PKT1_PKS1_S2_PS3_PS6_PS1_,"axG",@progbits,_ZN9rocsparseL35bsr2csr_block_dim_equals_one_kernelILj1024EfilEEvT2_S1_21rocsparse_index_base_PKT0_PKT1_PKS1_S2_PS3_PS6_PS1_,comdat
	.globl	_ZN9rocsparseL35bsr2csr_block_dim_equals_one_kernelILj1024EfilEEvT2_S1_21rocsparse_index_base_PKT0_PKT1_PKS1_S2_PS3_PS6_PS1_ ; -- Begin function _ZN9rocsparseL35bsr2csr_block_dim_equals_one_kernelILj1024EfilEEvT2_S1_21rocsparse_index_base_PKT0_PKT1_PKS1_S2_PS3_PS6_PS1_
	.p2align	8
	.type	_ZN9rocsparseL35bsr2csr_block_dim_equals_one_kernelILj1024EfilEEvT2_S1_21rocsparse_index_base_PKT0_PKT1_PKS1_S2_PS3_PS6_PS1_,@function
_ZN9rocsparseL35bsr2csr_block_dim_equals_one_kernelILj1024EfilEEvT2_S1_21rocsparse_index_base_PKT0_PKT1_PKS1_S2_PS3_PS6_PS1_: ; @_ZN9rocsparseL35bsr2csr_block_dim_equals_one_kernelILj1024EfilEEvT2_S1_21rocsparse_index_base_PKT0_PKT1_PKS1_S2_PS3_PS6_PS1_
; %bb.0:
	v_lshl_or_b32 v0, s6, 10, v0
	v_mov_b32_e32 v1, 0
	s_load_dwordx2 s[14:15], s[4:5], 0x0
	s_load_dword s20, s[4:5], 0x10
	s_load_dwordx4 s[0:3], s[4:5], 0x18
	s_load_dwordx2 s[8:9], s[4:5], 0x28
	s_load_dword s21, s[4:5], 0x30
	s_load_dwordx2 s[10:11], s[4:5], 0x48
	s_load_dwordx2 s[12:13], s[4:5], 0x38
	s_waitcnt lgkmcnt(0)
	v_cmp_gt_i64_e32 vcc, s[14:15], v[0:1]
	s_and_saveexec_b64 s[6:7], vcc
	s_cbranch_execz .LBB130_6
; %bb.1:
	s_load_dwordx2 s[16:17], s[4:5], 0x40
	v_cmp_ne_u32_e32 vcc, 0, v0
                                        ; implicit-def: $sgpr22
	s_and_saveexec_b64 s[18:19], vcc
	s_xor_b64 s[18:19], exec, s[18:19]
; %bb.2:
	s_sub_i32 s22, s21, s20
; %bb.3:
	s_or_saveexec_b64 s[18:19], s[18:19]
	v_mov_b32_e32 v2, s22
	s_xor_b64 exec, exec, s[18:19]
	s_cbranch_execz .LBB130_5
; %bb.4:
	s_load_dword s22, s[2:3], 0x0
	s_sub_i32 s23, s21, s20
	v_mov_b32_e32 v2, 0
	s_waitcnt lgkmcnt(0)
	s_add_i32 s22, s23, s22
	v_mov_b32_e32 v3, s22
	global_store_dword v2, v3, s[16:17]
	v_mov_b32_e32 v2, s23
.LBB130_5:
	s_or_b64 exec, exec, s[18:19]
	v_lshlrev_b64 v[4:5], 2, v[0:1]
	v_mov_b32_e32 v3, s3
	v_add_co_u32_e32 v6, vcc, s2, v4
	v_addc_co_u32_e32 v7, vcc, v3, v5, vcc
	global_load_dword v3, v[6:7], off offset:4
	s_waitcnt lgkmcnt(0)
	v_mov_b32_e32 v6, s17
	s_waitcnt vmcnt(0)
	v_add_u32_e32 v7, v2, v3
	v_add_co_u32_e32 v2, vcc, s16, v4
	v_addc_co_u32_e32 v3, vcc, v6, v5, vcc
	global_store_dword v[2:3], v7, off offset:4
.LBB130_6:
	s_or_b64 exec, exec, s[6:7]
	s_lshl_b64 s[6:7], s[14:15], 2
	s_add_u32 s6, s2, s6
	s_addc_u32 s7, s3, s7
	s_load_dword s14, s[6:7], 0x0
	s_load_dword s15, s[2:3], 0x0
	s_waitcnt lgkmcnt(0)
	s_sub_i32 s2, s14, s15
	s_ashr_i32 s3, s2, 31
	v_cmp_gt_i64_e32 vcc, s[2:3], v[0:1]
	s_and_saveexec_b64 s[6:7], vcc
	s_cbranch_execz .LBB130_9
; %bb.7:
	s_load_dword s4, s[4:5], 0x50
	s_sub_u32 s18, s21, s20
	s_mov_b32 s5, 0
	s_subb_u32 s19, 0, 0
	v_lshlrev_b64 v[2:3], 2, v[0:1]
	s_waitcnt lgkmcnt(0)
	s_lshl_b32 s4, s4, 10
	s_lshl_b64 s[6:7], s[4:5], 2
	s_lshl_b64 s[14:15], s[4:5], 3
	v_lshlrev_b64 v[4:5], 3, v[0:1]
	s_mov_b64 s[16:17], 0
	v_mov_b32_e32 v6, s9
	v_mov_b32_e32 v7, s19
	;; [unrolled: 1-line block ×8, first 2 shown]
.LBB130_8:                              ; =>This Inner Loop Header: Depth=1
	v_add_co_u32_e32 v14, vcc, s8, v4
	v_addc_co_u32_e32 v15, vcc, v6, v5, vcc
	v_add_co_u32_e32 v16, vcc, s0, v2
	v_addc_co_u32_e32 v17, vcc, v9, v3, vcc
	global_load_dwordx2 v[18:19], v[14:15], off
	global_load_dword v20, v[16:17], off
	v_add_co_u32_e32 v14, vcc, s10, v4
	v_addc_co_u32_e32 v15, vcc, v8, v5, vcc
	v_add_co_u32_e32 v16, vcc, s12, v2
	v_addc_co_u32_e32 v17, vcc, v10, v3, vcc
	;; [unrolled: 2-line block ×5, first 2 shown]
	v_cmp_le_i64_e32 vcc, s[2:3], v[0:1]
	s_or_b64 s[16:17], vcc, s[16:17]
	s_waitcnt vmcnt(1)
	v_add_co_u32_e32 v18, vcc, s18, v18
	v_addc_co_u32_e32 v19, vcc, v7, v19, vcc
	s_waitcnt vmcnt(0)
	global_store_dword v[16:17], v20, off
	global_store_dwordx2 v[14:15], v[18:19], off
	s_andn2_b64 exec, exec, s[16:17]
	s_cbranch_execnz .LBB130_8
.LBB130_9:
	s_endpgm
	.section	.rodata,"a",@progbits
	.p2align	6, 0x0
	.amdhsa_kernel _ZN9rocsparseL35bsr2csr_block_dim_equals_one_kernelILj1024EfilEEvT2_S1_21rocsparse_index_base_PKT0_PKT1_PKS1_S2_PS3_PS6_PS1_
		.amdhsa_group_segment_fixed_size 0
		.amdhsa_private_segment_fixed_size 0
		.amdhsa_kernarg_size 336
		.amdhsa_user_sgpr_count 6
		.amdhsa_user_sgpr_private_segment_buffer 1
		.amdhsa_user_sgpr_dispatch_ptr 0
		.amdhsa_user_sgpr_queue_ptr 0
		.amdhsa_user_sgpr_kernarg_segment_ptr 1
		.amdhsa_user_sgpr_dispatch_id 0
		.amdhsa_user_sgpr_flat_scratch_init 0
		.amdhsa_user_sgpr_kernarg_preload_length 0
		.amdhsa_user_sgpr_kernarg_preload_offset 0
		.amdhsa_user_sgpr_private_segment_size 0
		.amdhsa_uses_dynamic_stack 0
		.amdhsa_system_sgpr_private_segment_wavefront_offset 0
		.amdhsa_system_sgpr_workgroup_id_x 1
		.amdhsa_system_sgpr_workgroup_id_y 0
		.amdhsa_system_sgpr_workgroup_id_z 0
		.amdhsa_system_sgpr_workgroup_info 0
		.amdhsa_system_vgpr_workitem_id 0
		.amdhsa_next_free_vgpr 21
		.amdhsa_next_free_sgpr 24
		.amdhsa_accum_offset 24
		.amdhsa_reserve_vcc 1
		.amdhsa_reserve_flat_scratch 0
		.amdhsa_float_round_mode_32 0
		.amdhsa_float_round_mode_16_64 0
		.amdhsa_float_denorm_mode_32 3
		.amdhsa_float_denorm_mode_16_64 3
		.amdhsa_dx10_clamp 1
		.amdhsa_ieee_mode 1
		.amdhsa_fp16_overflow 0
		.amdhsa_tg_split 0
		.amdhsa_exception_fp_ieee_invalid_op 0
		.amdhsa_exception_fp_denorm_src 0
		.amdhsa_exception_fp_ieee_div_zero 0
		.amdhsa_exception_fp_ieee_overflow 0
		.amdhsa_exception_fp_ieee_underflow 0
		.amdhsa_exception_fp_ieee_inexact 0
		.amdhsa_exception_int_div_zero 0
	.end_amdhsa_kernel
	.section	.text._ZN9rocsparseL35bsr2csr_block_dim_equals_one_kernelILj1024EfilEEvT2_S1_21rocsparse_index_base_PKT0_PKT1_PKS1_S2_PS3_PS6_PS1_,"axG",@progbits,_ZN9rocsparseL35bsr2csr_block_dim_equals_one_kernelILj1024EfilEEvT2_S1_21rocsparse_index_base_PKT0_PKT1_PKS1_S2_PS3_PS6_PS1_,comdat
.Lfunc_end130:
	.size	_ZN9rocsparseL35bsr2csr_block_dim_equals_one_kernelILj1024EfilEEvT2_S1_21rocsparse_index_base_PKT0_PKT1_PKS1_S2_PS3_PS6_PS1_, .Lfunc_end130-_ZN9rocsparseL35bsr2csr_block_dim_equals_one_kernelILj1024EfilEEvT2_S1_21rocsparse_index_base_PKT0_PKT1_PKS1_S2_PS3_PS6_PS1_
                                        ; -- End function
	.section	.AMDGPU.csdata,"",@progbits
; Kernel info:
; codeLenInByte = 496
; NumSgprs: 28
; NumVgprs: 21
; NumAgprs: 0
; TotalNumVgprs: 21
; ScratchSize: 0
; MemoryBound: 0
; FloatMode: 240
; IeeeMode: 1
; LDSByteSize: 0 bytes/workgroup (compile time only)
; SGPRBlocks: 3
; VGPRBlocks: 2
; NumSGPRsForWavesPerEU: 28
; NumVGPRsForWavesPerEU: 21
; AccumOffset: 24
; Occupancy: 8
; WaveLimiterHint : 0
; COMPUTE_PGM_RSRC2:SCRATCH_EN: 0
; COMPUTE_PGM_RSRC2:USER_SGPR: 6
; COMPUTE_PGM_RSRC2:TRAP_HANDLER: 0
; COMPUTE_PGM_RSRC2:TGID_X_EN: 1
; COMPUTE_PGM_RSRC2:TGID_Y_EN: 0
; COMPUTE_PGM_RSRC2:TGID_Z_EN: 0
; COMPUTE_PGM_RSRC2:TIDIG_COMP_CNT: 0
; COMPUTE_PGM_RSRC3_GFX90A:ACCUM_OFFSET: 5
; COMPUTE_PGM_RSRC3_GFX90A:TG_SPLIT: 0
	.section	.text._ZN9rocsparseL32bsr2csr_block_per_row_2_7_kernelILj256ELj2EfilEEv20rocsparse_direction_T3_S2_21rocsparse_index_base_PKT1_PKT2_PKS2_S2_S3_PS4_PS7_PS2_,"axG",@progbits,_ZN9rocsparseL32bsr2csr_block_per_row_2_7_kernelILj256ELj2EfilEEv20rocsparse_direction_T3_S2_21rocsparse_index_base_PKT1_PKT2_PKS2_S2_S3_PS4_PS7_PS2_,comdat
	.globl	_ZN9rocsparseL32bsr2csr_block_per_row_2_7_kernelILj256ELj2EfilEEv20rocsparse_direction_T3_S2_21rocsparse_index_base_PKT1_PKT2_PKS2_S2_S3_PS4_PS7_PS2_ ; -- Begin function _ZN9rocsparseL32bsr2csr_block_per_row_2_7_kernelILj256ELj2EfilEEv20rocsparse_direction_T3_S2_21rocsparse_index_base_PKT1_PKT2_PKS2_S2_S3_PS4_PS7_PS2_
	.p2align	8
	.type	_ZN9rocsparseL32bsr2csr_block_per_row_2_7_kernelILj256ELj2EfilEEv20rocsparse_direction_T3_S2_21rocsparse_index_base_PKT1_PKT2_PKS2_S2_S3_PS4_PS7_PS2_,@function
_ZN9rocsparseL32bsr2csr_block_per_row_2_7_kernelILj256ELj2EfilEEv20rocsparse_direction_T3_S2_21rocsparse_index_base_PKT1_PKT2_PKS2_S2_S3_PS4_PS7_PS2_: ; @_ZN9rocsparseL32bsr2csr_block_per_row_2_7_kernelILj256ELj2EfilEEv20rocsparse_direction_T3_S2_21rocsparse_index_base_PKT1_PKT2_PKS2_S2_S3_PS4_PS7_PS2_
; %bb.0:
	s_load_dwordx2 s[0:1], s[4:5], 0x28
	s_load_dword s12, s[4:5], 0x40
	s_load_dwordx2 s[2:3], s[4:5], 0x50
	s_mov_b32 s7, 0
	s_lshl_b64 s[8:9], s[6:7], 2
	s_waitcnt lgkmcnt(0)
	s_add_u32 s0, s0, s8
	s_addc_u32 s1, s1, s9
	s_load_dwordx2 s[0:1], s[0:1], 0x0
	v_or_b32_e32 v1, s6, v0
	v_cmp_eq_u32_e32 vcc, 0, v1
	s_and_saveexec_b64 s[8:9], vcc
	s_cbranch_execz .LBB131_2
; %bb.1:
	v_mov_b32_e32 v1, 0
	v_mov_b32_e32 v2, s12
	global_store_dword v1, v2, s[2:3]
.LBB131_2:
	s_or_b64 exec, exec, s[8:9]
	s_load_dword s13, s[4:5], 0x18
	v_and_b32_e32 v10, 1, v0
	s_lshl_b64 s[6:7], s[6:7], 3
	v_lshl_or_b32 v3, v10, 2, s6
	v_mov_b32_e32 v5, s7
	s_waitcnt lgkmcnt(0)
	s_sub_i32 s8, s0, s13
	s_sub_i32 s14, s1, s13
	;; [unrolled: 1-line block ×3, first 2 shown]
	s_lshl_b32 s9, s9, 1
	s_lshl_b32 s1, s8, 2
	v_mul_lo_u32 v2, s9, v10
	s_add_i32 s9, s9, s12
	s_add_i32 s9, s9, s1
	v_mov_b32_e32 v6, s3
	v_add_co_u32_e32 v4, vcc, s2, v3
	v_lshrrev_b32_e32 v1, 1, v0
	v_add_u32_e32 v0, s9, v2
	v_addc_co_u32_e32 v5, vcc, v6, v5, vcc
	global_store_dword v[4:5], v0, off offset:4
	v_add_u32_e32 v0, s8, v1
	v_cmp_gt_i32_e32 vcc, s14, v0
	s_and_saveexec_b64 s[2:3], vcc
	s_cbranch_execz .LBB131_5
; %bb.3:
	s_load_dwordx2 s[2:3], s[4:5], 0x30
	s_load_dwordx2 s[6:7], s[4:5], 0x48
	;; [unrolled: 1-line block ×3, first 2 shown]
	s_load_dword s1, s[4:5], 0x0
	s_load_dwordx2 s[10:11], s[4:5], 0x58
	v_lshlrev_b32_e32 v1, 1, v1
	v_mov_b32_e32 v3, 0
	s_mov_b32 s17, 0
	s_waitcnt lgkmcnt(0)
	s_cmp_eq_u32 s1, 0
	s_cselect_b64 vcc, -1, 0
	s_add_u32 s15, s8, 4
	s_addc_u32 s1, s9, 0
	s_add_u32 s16, s8, 8
	s_addc_u32 s19, s9, 0
	s_lshl_b32 s0, s0, 2
	v_add3_u32 v1, v2, s0, v1
	s_lshl_b32 s0, s13, 2
	v_lshlrev_b32_e32 v4, 1, v10
	v_mov_b32_e32 v5, v3
	v_subrev_u32_e32 v6, s0, v1
	v_lshlrev_b32_e32 v11, 2, v0
	s_mov_b64 s[4:5], 0
	v_mov_b32_e32 v12, s3
	v_mov_b32_e32 v13, s17
	;; [unrolled: 1-line block ×9, first 2 shown]
.LBB131_4:                              ; =>This Inner Loop Header: Depth=1
	v_ashrrev_i32_e32 v1, 31, v0
	v_lshlrev_b64 v[22:23], 3, v[0:1]
	v_add_u32_e32 v2, v10, v11
	v_or_b32_e32 v20, v4, v11
	v_mov_b32_e32 v21, v5
	v_add_co_u32_e64 v22, s[0:1], s2, v22
	v_cndmask_b32_e32 v8, v2, v20, vcc
	v_lshlrev_b64 v[20:21], 2, v[20:21]
	v_addc_co_u32_e64 v23, s[0:1], v12, v23, s[0:1]
	v_add_co_u32_e64 v1, s[0:1], s15, v20
	v_lshlrev_b64 v[24:25], 2, v[2:3]
	v_addc_co_u32_e64 v2, s[0:1], v18, v21, s[0:1]
	global_load_dwordx2 v[20:21], v[22:23], off
	v_add_co_u32_e64 v7, s[0:1], s16, v24
	v_lshlrev_b64 v[26:27], 2, v[8:9]
	v_addc_co_u32_e64 v8, s[0:1], v19, v25, s[0:1]
	v_add_co_u32_e64 v22, s[0:1], s8, v26
	v_addc_co_u32_e64 v23, s[0:1], v16, v27, s[0:1]
	v_cndmask_b32_e32 v25, v8, v2, vcc
	v_cndmask_b32_e32 v24, v7, v1, vcc
	global_load_dword v26, v[22:23], off
	global_load_dword v27, v[24:25], off
	v_ashrrev_i32_e32 v7, 31, v6
	v_lshlrev_b64 v[22:23], 3, v[6:7]
	v_add_co_u32_e64 v28, s[0:1], s10, v22
	v_lshlrev_b64 v[24:25], 2, v[6:7]
	v_addc_co_u32_e64 v29, s[0:1], v15, v23, s[0:1]
	v_add_co_u32_e64 v22, s[0:1], s6, v24
	v_add_u32_e32 v0, 0x80, v0
	v_addc_co_u32_e64 v23, s[0:1], v17, v25, s[0:1]
	v_cmp_le_i32_e64 s[0:1], s14, v0
	s_or_b64 s[4:5], s[0:1], s[4:5]
	v_add_u32_e32 v11, 0x200, v11
	v_add_u32_e32 v6, 0x100, v6
	s_waitcnt vmcnt(2)
	v_subrev_co_u32_e64 v20, s[0:1], s13, v20
	v_subb_co_u32_e64 v21, s[0:1], v21, v13, s[0:1]
	v_lshlrev_b64 v[20:21], 1, v[20:21]
	v_add_co_u32_e64 v20, s[0:1], s12, v20
	v_addc_co_u32_e64 v21, s[0:1], v21, v14, s[0:1]
	s_waitcnt vmcnt(0)
	global_store_dwordx2 v[22:23], v[26:27], off
	v_add_co_u32_e64 v22, s[0:1], 1, v20
	v_addc_co_u32_e64 v23, s[0:1], 0, v21, s[0:1]
	global_store_dwordx4 v[28:29], v[20:23], off
	s_andn2_b64 exec, exec, s[4:5]
	s_cbranch_execnz .LBB131_4
.LBB131_5:
	s_endpgm
	.section	.rodata,"a",@progbits
	.p2align	6, 0x0
	.amdhsa_kernel _ZN9rocsparseL32bsr2csr_block_per_row_2_7_kernelILj256ELj2EfilEEv20rocsparse_direction_T3_S2_21rocsparse_index_base_PKT1_PKT2_PKS2_S2_S3_PS4_PS7_PS2_
		.amdhsa_group_segment_fixed_size 0
		.amdhsa_private_segment_fixed_size 0
		.amdhsa_kernarg_size 96
		.amdhsa_user_sgpr_count 6
		.amdhsa_user_sgpr_private_segment_buffer 1
		.amdhsa_user_sgpr_dispatch_ptr 0
		.amdhsa_user_sgpr_queue_ptr 0
		.amdhsa_user_sgpr_kernarg_segment_ptr 1
		.amdhsa_user_sgpr_dispatch_id 0
		.amdhsa_user_sgpr_flat_scratch_init 0
		.amdhsa_user_sgpr_kernarg_preload_length 0
		.amdhsa_user_sgpr_kernarg_preload_offset 0
		.amdhsa_user_sgpr_private_segment_size 0
		.amdhsa_uses_dynamic_stack 0
		.amdhsa_system_sgpr_private_segment_wavefront_offset 0
		.amdhsa_system_sgpr_workgroup_id_x 1
		.amdhsa_system_sgpr_workgroup_id_y 0
		.amdhsa_system_sgpr_workgroup_id_z 0
		.amdhsa_system_sgpr_workgroup_info 0
		.amdhsa_system_vgpr_workitem_id 0
		.amdhsa_next_free_vgpr 30
		.amdhsa_next_free_sgpr 20
		.amdhsa_accum_offset 32
		.amdhsa_reserve_vcc 1
		.amdhsa_reserve_flat_scratch 0
		.amdhsa_float_round_mode_32 0
		.amdhsa_float_round_mode_16_64 0
		.amdhsa_float_denorm_mode_32 3
		.amdhsa_float_denorm_mode_16_64 3
		.amdhsa_dx10_clamp 1
		.amdhsa_ieee_mode 1
		.amdhsa_fp16_overflow 0
		.amdhsa_tg_split 0
		.amdhsa_exception_fp_ieee_invalid_op 0
		.amdhsa_exception_fp_denorm_src 0
		.amdhsa_exception_fp_ieee_div_zero 0
		.amdhsa_exception_fp_ieee_overflow 0
		.amdhsa_exception_fp_ieee_underflow 0
		.amdhsa_exception_fp_ieee_inexact 0
		.amdhsa_exception_int_div_zero 0
	.end_amdhsa_kernel
	.section	.text._ZN9rocsparseL32bsr2csr_block_per_row_2_7_kernelILj256ELj2EfilEEv20rocsparse_direction_T3_S2_21rocsparse_index_base_PKT1_PKT2_PKS2_S2_S3_PS4_PS7_PS2_,"axG",@progbits,_ZN9rocsparseL32bsr2csr_block_per_row_2_7_kernelILj256ELj2EfilEEv20rocsparse_direction_T3_S2_21rocsparse_index_base_PKT1_PKT2_PKS2_S2_S3_PS4_PS7_PS2_,comdat
.Lfunc_end131:
	.size	_ZN9rocsparseL32bsr2csr_block_per_row_2_7_kernelILj256ELj2EfilEEv20rocsparse_direction_T3_S2_21rocsparse_index_base_PKT1_PKT2_PKS2_S2_S3_PS4_PS7_PS2_, .Lfunc_end131-_ZN9rocsparseL32bsr2csr_block_per_row_2_7_kernelILj256ELj2EfilEEv20rocsparse_direction_T3_S2_21rocsparse_index_base_PKT1_PKT2_PKS2_S2_S3_PS4_PS7_PS2_
                                        ; -- End function
	.section	.AMDGPU.csdata,"",@progbits
; Kernel info:
; codeLenInByte = 680
; NumSgprs: 24
; NumVgprs: 30
; NumAgprs: 0
; TotalNumVgprs: 30
; ScratchSize: 0
; MemoryBound: 0
; FloatMode: 240
; IeeeMode: 1
; LDSByteSize: 0 bytes/workgroup (compile time only)
; SGPRBlocks: 2
; VGPRBlocks: 3
; NumSGPRsForWavesPerEU: 24
; NumVGPRsForWavesPerEU: 30
; AccumOffset: 32
; Occupancy: 8
; WaveLimiterHint : 0
; COMPUTE_PGM_RSRC2:SCRATCH_EN: 0
; COMPUTE_PGM_RSRC2:USER_SGPR: 6
; COMPUTE_PGM_RSRC2:TRAP_HANDLER: 0
; COMPUTE_PGM_RSRC2:TGID_X_EN: 1
; COMPUTE_PGM_RSRC2:TGID_Y_EN: 0
; COMPUTE_PGM_RSRC2:TGID_Z_EN: 0
; COMPUTE_PGM_RSRC2:TIDIG_COMP_CNT: 0
; COMPUTE_PGM_RSRC3_GFX90A:ACCUM_OFFSET: 7
; COMPUTE_PGM_RSRC3_GFX90A:TG_SPLIT: 0
	.section	.text._ZN9rocsparseL32bsr2csr_block_per_row_2_7_kernelILj256ELj3EfilEEv20rocsparse_direction_T3_S2_21rocsparse_index_base_PKT1_PKT2_PKS2_S2_S3_PS4_PS7_PS2_,"axG",@progbits,_ZN9rocsparseL32bsr2csr_block_per_row_2_7_kernelILj256ELj3EfilEEv20rocsparse_direction_T3_S2_21rocsparse_index_base_PKT1_PKT2_PKS2_S2_S3_PS4_PS7_PS2_,comdat
	.globl	_ZN9rocsparseL32bsr2csr_block_per_row_2_7_kernelILj256ELj3EfilEEv20rocsparse_direction_T3_S2_21rocsparse_index_base_PKT1_PKT2_PKS2_S2_S3_PS4_PS7_PS2_ ; -- Begin function _ZN9rocsparseL32bsr2csr_block_per_row_2_7_kernelILj256ELj3EfilEEv20rocsparse_direction_T3_S2_21rocsparse_index_base_PKT1_PKT2_PKS2_S2_S3_PS4_PS7_PS2_
	.p2align	8
	.type	_ZN9rocsparseL32bsr2csr_block_per_row_2_7_kernelILj256ELj3EfilEEv20rocsparse_direction_T3_S2_21rocsparse_index_base_PKT1_PKT2_PKS2_S2_S3_PS4_PS7_PS2_,@function
_ZN9rocsparseL32bsr2csr_block_per_row_2_7_kernelILj256ELj3EfilEEv20rocsparse_direction_T3_S2_21rocsparse_index_base_PKT1_PKT2_PKS2_S2_S3_PS4_PS7_PS2_: ; @_ZN9rocsparseL32bsr2csr_block_per_row_2_7_kernelILj256ELj3EfilEEv20rocsparse_direction_T3_S2_21rocsparse_index_base_PKT1_PKT2_PKS2_S2_S3_PS4_PS7_PS2_
; %bb.0:
	s_load_dwordx2 s[2:3], s[4:5], 0x28
	s_load_dword s8, s[4:5], 0x40
	s_load_dwordx2 s[0:1], s[4:5], 0x50
	s_mov_b32 s7, 0
	s_lshl_b64 s[10:11], s[6:7], 2
	s_waitcnt lgkmcnt(0)
	s_add_u32 s10, s2, s10
	v_or_b32_e32 v1, s6, v0
	s_addc_u32 s11, s3, s11
	v_cmp_eq_u32_e32 vcc, 0, v1
	s_and_saveexec_b64 s[2:3], vcc
	s_cbranch_execz .LBB132_2
; %bb.1:
	v_mov_b32_e32 v1, 0
	v_mov_b32_e32 v2, s8
	global_store_dword v1, v2, s[0:1]
.LBB132_2:
	s_or_b64 exec, exec, s[2:3]
	v_and_b32_e32 v1, 3, v0
	v_cmp_ne_u32_e32 vcc, 3, v1
	s_and_saveexec_b64 s[2:3], vcc
	s_cbranch_execz .LBB132_6
; %bb.3:
	s_load_dwordx2 s[2:3], s[10:11], 0x0
	s_load_dword s14, s[4:5], 0x18
	v_lshrrev_b32_e32 v4, 2, v0
	v_lshlrev_b32_e32 v2, 2, v1
	s_waitcnt lgkmcnt(0)
	s_sub_i32 s7, s2, s14
	s_sub_i32 s15, s3, s14
	;; [unrolled: 1-line block ×3, first 2 shown]
	s_mul_i32 s9, s9, 3
	s_mul_i32 s3, s7, 9
	v_mul_lo_u32 v5, s9, v1
	s_add_i32 s9, s9, s8
	s_add_i32 s9, s9, s3
	s_mul_hi_u32 s3, s6, 12
	s_mul_i32 s6, s6, 12
	s_add_u32 s0, s0, s6
	v_add_u32_e32 v0, s9, v5
	s_addc_u32 s1, s1, s3
	global_store_dword v2, v0, s[0:1] offset:4
	v_add_u32_e32 v0, s7, v4
	v_cmp_gt_i32_e32 vcc, s15, v0
	s_and_b64 exec, exec, vcc
	s_cbranch_execz .LBB132_6
; %bb.4:
	s_load_dwordx2 s[6:7], s[4:5], 0x30
	s_load_dwordx2 s[10:11], s[4:5], 0x48
	;; [unrolled: 1-line block ×3, first 2 shown]
	s_load_dword s3, s[4:5], 0x0
	s_load_dwordx2 s[12:13], s[4:5], 0x58
	v_lshlrev_b32_e32 v1, 3, v1
	s_mov_b32 s16, 0
	s_waitcnt lgkmcnt(0)
	v_mov_b32_e32 v7, s1
	v_add_co_u32_e64 v6, s[0:1], s0, v2
	v_addc_co_u32_e64 v7, s[0:1], 0, v7, s[0:1]
	v_add_co_u32_e64 v8, s[0:1], v6, v1
	v_addc_co_u32_e64 v9, s[0:1], 0, v7, s[0:1]
	s_mul_i32 s0, s2, 9
	v_mul_u32_u24_e32 v1, 3, v4
	s_cmp_eq_u32 s3, 0
	v_add3_u32 v1, v5, s0, v1
	s_mul_i32 s0, s14, 9
	v_mov_b32_e32 v3, 0
	s_mov_b32 s9, s16
	s_cselect_b64 vcc, -1, 0
	v_lshl_add_u32 v2, v0, 3, v0
	v_subrev_u32_e32 v4, s0, v1
	s_mov_b64 s[4:5], 0
	v_mov_b32_e32 v10, s7
	v_mov_b32_e32 v11, s16
	v_mov_b32_e32 v12, s13
	v_mov_b32_e32 v13, s11
.LBB132_5:                              ; =>This Inner Loop Header: Depth=1
	v_ashrrev_i32_e32 v1, 31, v0
	v_lshlrev_b64 v[14:15], 2, v[2:3]
	v_lshlrev_b64 v[16:17], 3, v[0:1]
	v_add_co_u32_e64 v1, s[0:1], v6, v14
	v_addc_co_u32_e64 v5, s[0:1], v7, v15, s[0:1]
	v_add_co_u32_e64 v14, s[0:1], v8, v14
	v_addc_co_u32_e64 v15, s[0:1], v9, v15, s[0:1]
	;; [unrolled: 2-line block ×5, first 2 shown]
	v_add_co_u32_e64 v26, s[0:1], 8, v14
	v_cndmask_b32_e32 v19, v5, v15, vcc
	v_addc_co_u32_e64 v15, s[0:1], 0, v15, s[0:1]
	v_cndmask_b32_e32 v18, v1, v14, vcc
	v_add_co_u32_e64 v1, s[0:1], 24, v1
	v_addc_co_u32_e64 v5, s[0:1], 0, v5, s[0:1]
	global_load_dwordx2 v[20:21], v[16:17], off
	global_load_dword v14, v[18:19], off
	v_cndmask_b32_e32 v19, v25, v23, vcc
	v_cndmask_b32_e32 v18, v24, v22, vcc
	;; [unrolled: 1-line block ×4, first 2 shown]
	global_load_dword v15, v[18:19], off
	global_load_dword v16, v[22:23], off
	v_ashrrev_i32_e32 v5, 31, v4
	v_lshlrev_b64 v[18:19], 3, v[4:5]
	v_add_co_u32_e64 v18, s[0:1], s12, v18
	v_lshlrev_b64 v[22:23], 2, v[4:5]
	v_addc_co_u32_e64 v19, s[0:1], v12, v19, s[0:1]
	v_add_co_u32_e64 v22, s[0:1], s10, v22
	v_add_u32_e32 v0, 64, v0
	v_addc_co_u32_e64 v23, s[0:1], v13, v23, s[0:1]
	v_cmp_le_i32_e64 s[0:1], s15, v0
	s_or_b64 s[4:5], s[0:1], s[4:5]
	v_add_u32_e32 v2, 0x240, v2
	v_add_u32_e32 v4, 0xc0, v4
	s_waitcnt vmcnt(3)
	v_subrev_co_u32_e64 v1, s[0:1], s14, v20
	v_subb_co_u32_e64 v5, s[0:1], v21, v11, s[0:1]
	v_mad_u64_u32 v[20:21], s[0:1], v1, 3, s[8:9]
	s_waitcnt vmcnt(0)
	global_store_dwordx3 v[22:23], v[14:16], off
	s_nop 0
	v_mov_b32_e32 v16, v21
	v_mad_u64_u32 v[16:17], s[0:1], v5, 3, v[16:17]
	v_mov_b32_e32 v1, v16
	v_mov_b32_e32 v15, v16
	v_add_co_u32_e64 v16, s[2:3], 1, v20
	v_mov_b32_e32 v14, v20
	v_add_co_u32_e64 v22, s[0:1], 2, v20
	v_addc_co_u32_e64 v17, s[2:3], 0, v1, s[2:3]
	v_addc_co_u32_e64 v23, s[0:1], 0, v1, s[0:1]
	global_store_dwordx4 v[18:19], v[14:17], off
	global_store_dwordx2 v[18:19], v[22:23], off offset:16
	s_andn2_b64 exec, exec, s[4:5]
	s_cbranch_execnz .LBB132_5
.LBB132_6:
	s_endpgm
	.section	.rodata,"a",@progbits
	.p2align	6, 0x0
	.amdhsa_kernel _ZN9rocsparseL32bsr2csr_block_per_row_2_7_kernelILj256ELj3EfilEEv20rocsparse_direction_T3_S2_21rocsparse_index_base_PKT1_PKT2_PKS2_S2_S3_PS4_PS7_PS2_
		.amdhsa_group_segment_fixed_size 0
		.amdhsa_private_segment_fixed_size 0
		.amdhsa_kernarg_size 96
		.amdhsa_user_sgpr_count 6
		.amdhsa_user_sgpr_private_segment_buffer 1
		.amdhsa_user_sgpr_dispatch_ptr 0
		.amdhsa_user_sgpr_queue_ptr 0
		.amdhsa_user_sgpr_kernarg_segment_ptr 1
		.amdhsa_user_sgpr_dispatch_id 0
		.amdhsa_user_sgpr_flat_scratch_init 0
		.amdhsa_user_sgpr_kernarg_preload_length 0
		.amdhsa_user_sgpr_kernarg_preload_offset 0
		.amdhsa_user_sgpr_private_segment_size 0
		.amdhsa_uses_dynamic_stack 0
		.amdhsa_system_sgpr_private_segment_wavefront_offset 0
		.amdhsa_system_sgpr_workgroup_id_x 1
		.amdhsa_system_sgpr_workgroup_id_y 0
		.amdhsa_system_sgpr_workgroup_id_z 0
		.amdhsa_system_sgpr_workgroup_info 0
		.amdhsa_system_vgpr_workitem_id 0
		.amdhsa_next_free_vgpr 27
		.amdhsa_next_free_sgpr 17
		.amdhsa_accum_offset 28
		.amdhsa_reserve_vcc 1
		.amdhsa_reserve_flat_scratch 0
		.amdhsa_float_round_mode_32 0
		.amdhsa_float_round_mode_16_64 0
		.amdhsa_float_denorm_mode_32 3
		.amdhsa_float_denorm_mode_16_64 3
		.amdhsa_dx10_clamp 1
		.amdhsa_ieee_mode 1
		.amdhsa_fp16_overflow 0
		.amdhsa_tg_split 0
		.amdhsa_exception_fp_ieee_invalid_op 0
		.amdhsa_exception_fp_denorm_src 0
		.amdhsa_exception_fp_ieee_div_zero 0
		.amdhsa_exception_fp_ieee_overflow 0
		.amdhsa_exception_fp_ieee_underflow 0
		.amdhsa_exception_fp_ieee_inexact 0
		.amdhsa_exception_int_div_zero 0
	.end_amdhsa_kernel
	.section	.text._ZN9rocsparseL32bsr2csr_block_per_row_2_7_kernelILj256ELj3EfilEEv20rocsparse_direction_T3_S2_21rocsparse_index_base_PKT1_PKT2_PKS2_S2_S3_PS4_PS7_PS2_,"axG",@progbits,_ZN9rocsparseL32bsr2csr_block_per_row_2_7_kernelILj256ELj3EfilEEv20rocsparse_direction_T3_S2_21rocsparse_index_base_PKT1_PKT2_PKS2_S2_S3_PS4_PS7_PS2_,comdat
.Lfunc_end132:
	.size	_ZN9rocsparseL32bsr2csr_block_per_row_2_7_kernelILj256ELj3EfilEEv20rocsparse_direction_T3_S2_21rocsparse_index_base_PKT1_PKT2_PKS2_S2_S3_PS4_PS7_PS2_, .Lfunc_end132-_ZN9rocsparseL32bsr2csr_block_per_row_2_7_kernelILj256ELj3EfilEEv20rocsparse_direction_T3_S2_21rocsparse_index_base_PKT1_PKT2_PKS2_S2_S3_PS4_PS7_PS2_
                                        ; -- End function
	.section	.AMDGPU.csdata,"",@progbits
; Kernel info:
; codeLenInByte = 760
; NumSgprs: 21
; NumVgprs: 27
; NumAgprs: 0
; TotalNumVgprs: 27
; ScratchSize: 0
; MemoryBound: 0
; FloatMode: 240
; IeeeMode: 1
; LDSByteSize: 0 bytes/workgroup (compile time only)
; SGPRBlocks: 2
; VGPRBlocks: 3
; NumSGPRsForWavesPerEU: 21
; NumVGPRsForWavesPerEU: 27
; AccumOffset: 28
; Occupancy: 8
; WaveLimiterHint : 0
; COMPUTE_PGM_RSRC2:SCRATCH_EN: 0
; COMPUTE_PGM_RSRC2:USER_SGPR: 6
; COMPUTE_PGM_RSRC2:TRAP_HANDLER: 0
; COMPUTE_PGM_RSRC2:TGID_X_EN: 1
; COMPUTE_PGM_RSRC2:TGID_Y_EN: 0
; COMPUTE_PGM_RSRC2:TGID_Z_EN: 0
; COMPUTE_PGM_RSRC2:TIDIG_COMP_CNT: 0
; COMPUTE_PGM_RSRC3_GFX90A:ACCUM_OFFSET: 6
; COMPUTE_PGM_RSRC3_GFX90A:TG_SPLIT: 0
	.section	.text._ZN9rocsparseL32bsr2csr_block_per_row_2_7_kernelILj256ELj4EfilEEv20rocsparse_direction_T3_S2_21rocsparse_index_base_PKT1_PKT2_PKS2_S2_S3_PS4_PS7_PS2_,"axG",@progbits,_ZN9rocsparseL32bsr2csr_block_per_row_2_7_kernelILj256ELj4EfilEEv20rocsparse_direction_T3_S2_21rocsparse_index_base_PKT1_PKT2_PKS2_S2_S3_PS4_PS7_PS2_,comdat
	.globl	_ZN9rocsparseL32bsr2csr_block_per_row_2_7_kernelILj256ELj4EfilEEv20rocsparse_direction_T3_S2_21rocsparse_index_base_PKT1_PKT2_PKS2_S2_S3_PS4_PS7_PS2_ ; -- Begin function _ZN9rocsparseL32bsr2csr_block_per_row_2_7_kernelILj256ELj4EfilEEv20rocsparse_direction_T3_S2_21rocsparse_index_base_PKT1_PKT2_PKS2_S2_S3_PS4_PS7_PS2_
	.p2align	8
	.type	_ZN9rocsparseL32bsr2csr_block_per_row_2_7_kernelILj256ELj4EfilEEv20rocsparse_direction_T3_S2_21rocsparse_index_base_PKT1_PKT2_PKS2_S2_S3_PS4_PS7_PS2_,@function
_ZN9rocsparseL32bsr2csr_block_per_row_2_7_kernelILj256ELj4EfilEEv20rocsparse_direction_T3_S2_21rocsparse_index_base_PKT1_PKT2_PKS2_S2_S3_PS4_PS7_PS2_: ; @_ZN9rocsparseL32bsr2csr_block_per_row_2_7_kernelILj256ELj4EfilEEv20rocsparse_direction_T3_S2_21rocsparse_index_base_PKT1_PKT2_PKS2_S2_S3_PS4_PS7_PS2_
; %bb.0:
	s_load_dwordx2 s[0:1], s[4:5], 0x28
	s_load_dword s12, s[4:5], 0x40
	s_load_dwordx2 s[2:3], s[4:5], 0x50
	s_mov_b32 s7, 0
	s_lshl_b64 s[8:9], s[6:7], 2
	s_waitcnt lgkmcnt(0)
	s_add_u32 s0, s0, s8
	s_addc_u32 s1, s1, s9
	s_load_dwordx2 s[0:1], s[0:1], 0x0
	v_or_b32_e32 v1, s6, v0
	v_cmp_eq_u32_e32 vcc, 0, v1
	s_and_saveexec_b64 s[8:9], vcc
	s_cbranch_execz .LBB133_2
; %bb.1:
	v_mov_b32_e32 v1, 0
	v_mov_b32_e32 v2, s12
	global_store_dword v1, v2, s[2:3]
.LBB133_2:
	s_or_b64 exec, exec, s[8:9]
	s_load_dword s13, s[4:5], 0x18
	v_and_b32_e32 v10, 3, v0
	s_lshl_b64 s[6:7], s[6:7], 4
	v_lshl_or_b32 v3, v10, 2, s6
	v_mov_b32_e32 v5, s7
	s_waitcnt lgkmcnt(0)
	s_sub_i32 s8, s0, s13
	s_sub_i32 s14, s1, s13
	;; [unrolled: 1-line block ×3, first 2 shown]
	s_lshl_b32 s9, s9, 2
	s_lshl_b32 s1, s8, 4
	v_mul_lo_u32 v2, s9, v10
	s_add_i32 s9, s9, s12
	s_add_i32 s9, s9, s1
	v_mov_b32_e32 v6, s3
	v_add_co_u32_e32 v4, vcc, s2, v3
	v_lshrrev_b32_e32 v1, 2, v0
	v_add_u32_e32 v0, s9, v2
	v_addc_co_u32_e32 v5, vcc, v6, v5, vcc
	global_store_dword v[4:5], v0, off offset:4
	v_add_u32_e32 v0, s8, v1
	v_cmp_gt_i32_e32 vcc, s14, v0
	s_and_saveexec_b64 s[2:3], vcc
	s_cbranch_execz .LBB133_5
; %bb.3:
	s_load_dwordx2 s[2:3], s[4:5], 0x30
	s_load_dwordx2 s[6:7], s[4:5], 0x48
	;; [unrolled: 1-line block ×3, first 2 shown]
	s_load_dword s1, s[4:5], 0x0
	s_load_dwordx2 s[10:11], s[4:5], 0x58
	v_lshlrev_b32_e32 v1, 2, v1
	v_mov_b32_e32 v3, 0
	s_mov_b32 s15, 0
	s_waitcnt lgkmcnt(0)
	s_cmp_eq_u32 s1, 0
	s_cselect_b64 vcc, -1, 0
	s_lshl_b32 s0, s0, 4
	v_add3_u32 v1, v2, s0, v1
	s_lshl_b32 s0, s13, 4
	v_lshlrev_b32_e32 v4, 2, v10
	v_mov_b32_e32 v5, v3
	v_subrev_u32_e32 v6, s0, v1
	v_lshlrev_b32_e32 v11, 4, v0
	s_mov_b64 s[4:5], 0
	v_mov_b32_e32 v12, s3
	v_mov_b32_e32 v13, s15
	;; [unrolled: 1-line block ×7, first 2 shown]
.LBB133_4:                              ; =>This Inner Loop Header: Depth=1
	v_ashrrev_i32_e32 v1, 31, v0
	v_lshlrev_b64 v[20:21], 3, v[0:1]
	v_add_u32_e32 v2, v10, v11
	v_or_b32_e32 v18, v4, v11
	v_mov_b32_e32 v19, v5
	v_add_co_u32_e64 v20, s[0:1], s2, v20
	v_cndmask_b32_e32 v8, v2, v18, vcc
	v_lshlrev_b64 v[18:19], 2, v[18:19]
	v_addc_co_u32_e64 v21, s[0:1], v12, v21, s[0:1]
	v_add_co_u32_e64 v1, s[0:1], s8, v18
	v_lshlrev_b64 v[22:23], 2, v[2:3]
	v_addc_co_u32_e64 v2, s[0:1], v16, v19, s[0:1]
	v_add_co_u32_e64 v7, s[0:1], s8, v22
	;; [unrolled: 3-line block ×3, first 2 shown]
	v_addc_co_u32_e64 v19, s[0:1], v16, v25, s[0:1]
	global_load_dwordx2 v[22:23], v[20:21], off
	v_add_co_u32_e64 v20, s[0:1], 4, v1
	v_addc_co_u32_e64 v21, s[0:1], 0, v2, s[0:1]
	v_add_co_u32_e64 v24, s[0:1], 16, v7
	v_addc_co_u32_e64 v25, s[0:1], 0, v8, s[0:1]
	;; [unrolled: 2-line block ×6, first 2 shown]
	v_cndmask_b32_e32 v25, v25, v21, vcc
	v_cndmask_b32_e32 v24, v24, v20, vcc
	global_load_dword v18, v[18:19], off
	v_cndmask_b32_e32 v27, v29, v27, vcc
	v_cndmask_b32_e32 v26, v28, v26, vcc
	v_cndmask_b32_e32 v29, v8, v2, vcc
	v_cndmask_b32_e32 v28, v7, v1, vcc
	global_load_dword v19, v[24:25], off
	global_load_dword v20, v[26:27], off
	global_load_dword v21, v[28:29], off
	v_ashrrev_i32_e32 v7, 31, v6
	v_lshlrev_b64 v[24:25], 3, v[6:7]
	v_add_co_u32_e64 v28, s[0:1], s10, v24
	v_lshlrev_b64 v[26:27], 2, v[6:7]
	v_addc_co_u32_e64 v29, s[0:1], v15, v25, s[0:1]
	v_add_co_u32_e64 v24, s[0:1], s6, v26
	v_add_u32_e32 v0, 64, v0
	v_addc_co_u32_e64 v25, s[0:1], v17, v27, s[0:1]
	v_cmp_le_i32_e64 s[0:1], s14, v0
	s_or_b64 s[4:5], s[0:1], s[4:5]
	v_add_u32_e32 v11, 0x400, v11
	v_add_u32_e32 v6, 0x100, v6
	s_waitcnt vmcnt(4)
	v_subrev_co_u32_e64 v22, s[0:1], s13, v22
	v_subb_co_u32_e64 v23, s[0:1], v23, v13, s[0:1]
	v_lshlrev_b64 v[22:23], 2, v[22:23]
	v_add_co_u32_e64 v22, s[0:1], s12, v22
	v_addc_co_u32_e64 v23, s[0:1], v23, v14, s[0:1]
	s_waitcnt vmcnt(0)
	global_store_dwordx4 v[24:25], v[18:21], off
	v_add_co_u32_e64 v24, s[0:1], 1, v22
	v_addc_co_u32_e64 v25, s[0:1], 0, v23, s[0:1]
	v_add_co_u32_e64 v18, s[0:1], 2, v22
	v_addc_co_u32_e64 v19, s[0:1], 0, v23, s[0:1]
	;; [unrolled: 2-line block ×3, first 2 shown]
	global_store_dwordx4 v[28:29], v[22:25], off
	global_store_dwordx4 v[28:29], v[18:21], off offset:16
	s_andn2_b64 exec, exec, s[4:5]
	s_cbranch_execnz .LBB133_4
.LBB133_5:
	s_endpgm
	.section	.rodata,"a",@progbits
	.p2align	6, 0x0
	.amdhsa_kernel _ZN9rocsparseL32bsr2csr_block_per_row_2_7_kernelILj256ELj4EfilEEv20rocsparse_direction_T3_S2_21rocsparse_index_base_PKT1_PKT2_PKS2_S2_S3_PS4_PS7_PS2_
		.amdhsa_group_segment_fixed_size 0
		.amdhsa_private_segment_fixed_size 0
		.amdhsa_kernarg_size 96
		.amdhsa_user_sgpr_count 6
		.amdhsa_user_sgpr_private_segment_buffer 1
		.amdhsa_user_sgpr_dispatch_ptr 0
		.amdhsa_user_sgpr_queue_ptr 0
		.amdhsa_user_sgpr_kernarg_segment_ptr 1
		.amdhsa_user_sgpr_dispatch_id 0
		.amdhsa_user_sgpr_flat_scratch_init 0
		.amdhsa_user_sgpr_kernarg_preload_length 0
		.amdhsa_user_sgpr_kernarg_preload_offset 0
		.amdhsa_user_sgpr_private_segment_size 0
		.amdhsa_uses_dynamic_stack 0
		.amdhsa_system_sgpr_private_segment_wavefront_offset 0
		.amdhsa_system_sgpr_workgroup_id_x 1
		.amdhsa_system_sgpr_workgroup_id_y 0
		.amdhsa_system_sgpr_workgroup_id_z 0
		.amdhsa_system_sgpr_workgroup_info 0
		.amdhsa_system_vgpr_workitem_id 0
		.amdhsa_next_free_vgpr 30
		.amdhsa_next_free_sgpr 16
		.amdhsa_accum_offset 32
		.amdhsa_reserve_vcc 1
		.amdhsa_reserve_flat_scratch 0
		.amdhsa_float_round_mode_32 0
		.amdhsa_float_round_mode_16_64 0
		.amdhsa_float_denorm_mode_32 3
		.amdhsa_float_denorm_mode_16_64 3
		.amdhsa_dx10_clamp 1
		.amdhsa_ieee_mode 1
		.amdhsa_fp16_overflow 0
		.amdhsa_tg_split 0
		.amdhsa_exception_fp_ieee_invalid_op 0
		.amdhsa_exception_fp_denorm_src 0
		.amdhsa_exception_fp_ieee_div_zero 0
		.amdhsa_exception_fp_ieee_overflow 0
		.amdhsa_exception_fp_ieee_underflow 0
		.amdhsa_exception_fp_ieee_inexact 0
		.amdhsa_exception_int_div_zero 0
	.end_amdhsa_kernel
	.section	.text._ZN9rocsparseL32bsr2csr_block_per_row_2_7_kernelILj256ELj4EfilEEv20rocsparse_direction_T3_S2_21rocsparse_index_base_PKT1_PKT2_PKS2_S2_S3_PS4_PS7_PS2_,"axG",@progbits,_ZN9rocsparseL32bsr2csr_block_per_row_2_7_kernelILj256ELj4EfilEEv20rocsparse_direction_T3_S2_21rocsparse_index_base_PKT1_PKT2_PKS2_S2_S3_PS4_PS7_PS2_,comdat
.Lfunc_end133:
	.size	_ZN9rocsparseL32bsr2csr_block_per_row_2_7_kernelILj256ELj4EfilEEv20rocsparse_direction_T3_S2_21rocsparse_index_base_PKT1_PKT2_PKS2_S2_S3_PS4_PS7_PS2_, .Lfunc_end133-_ZN9rocsparseL32bsr2csr_block_per_row_2_7_kernelILj256ELj4EfilEEv20rocsparse_direction_T3_S2_21rocsparse_index_base_PKT1_PKT2_PKS2_S2_S3_PS4_PS7_PS2_
                                        ; -- End function
	.section	.AMDGPU.csdata,"",@progbits
; Kernel info:
; codeLenInByte = 820
; NumSgprs: 20
; NumVgprs: 30
; NumAgprs: 0
; TotalNumVgprs: 30
; ScratchSize: 0
; MemoryBound: 0
; FloatMode: 240
; IeeeMode: 1
; LDSByteSize: 0 bytes/workgroup (compile time only)
; SGPRBlocks: 2
; VGPRBlocks: 3
; NumSGPRsForWavesPerEU: 20
; NumVGPRsForWavesPerEU: 30
; AccumOffset: 32
; Occupancy: 8
; WaveLimiterHint : 0
; COMPUTE_PGM_RSRC2:SCRATCH_EN: 0
; COMPUTE_PGM_RSRC2:USER_SGPR: 6
; COMPUTE_PGM_RSRC2:TRAP_HANDLER: 0
; COMPUTE_PGM_RSRC2:TGID_X_EN: 1
; COMPUTE_PGM_RSRC2:TGID_Y_EN: 0
; COMPUTE_PGM_RSRC2:TGID_Z_EN: 0
; COMPUTE_PGM_RSRC2:TIDIG_COMP_CNT: 0
; COMPUTE_PGM_RSRC3_GFX90A:ACCUM_OFFSET: 7
; COMPUTE_PGM_RSRC3_GFX90A:TG_SPLIT: 0
	.section	.text._ZN9rocsparseL32bsr2csr_block_per_row_2_7_kernelILj256ELj5EfilEEv20rocsparse_direction_T3_S2_21rocsparse_index_base_PKT1_PKT2_PKS2_S2_S3_PS4_PS7_PS2_,"axG",@progbits,_ZN9rocsparseL32bsr2csr_block_per_row_2_7_kernelILj256ELj5EfilEEv20rocsparse_direction_T3_S2_21rocsparse_index_base_PKT1_PKT2_PKS2_S2_S3_PS4_PS7_PS2_,comdat
	.globl	_ZN9rocsparseL32bsr2csr_block_per_row_2_7_kernelILj256ELj5EfilEEv20rocsparse_direction_T3_S2_21rocsparse_index_base_PKT1_PKT2_PKS2_S2_S3_PS4_PS7_PS2_ ; -- Begin function _ZN9rocsparseL32bsr2csr_block_per_row_2_7_kernelILj256ELj5EfilEEv20rocsparse_direction_T3_S2_21rocsparse_index_base_PKT1_PKT2_PKS2_S2_S3_PS4_PS7_PS2_
	.p2align	8
	.type	_ZN9rocsparseL32bsr2csr_block_per_row_2_7_kernelILj256ELj5EfilEEv20rocsparse_direction_T3_S2_21rocsparse_index_base_PKT1_PKT2_PKS2_S2_S3_PS4_PS7_PS2_,@function
_ZN9rocsparseL32bsr2csr_block_per_row_2_7_kernelILj256ELj5EfilEEv20rocsparse_direction_T3_S2_21rocsparse_index_base_PKT1_PKT2_PKS2_S2_S3_PS4_PS7_PS2_: ; @_ZN9rocsparseL32bsr2csr_block_per_row_2_7_kernelILj256ELj5EfilEEv20rocsparse_direction_T3_S2_21rocsparse_index_base_PKT1_PKT2_PKS2_S2_S3_PS4_PS7_PS2_
; %bb.0:
	s_load_dwordx2 s[2:3], s[4:5], 0x28
	s_load_dword s8, s[4:5], 0x40
	s_load_dwordx2 s[0:1], s[4:5], 0x50
	s_mov_b32 s7, 0
	s_lshl_b64 s[10:11], s[6:7], 2
	s_waitcnt lgkmcnt(0)
	s_add_u32 s10, s2, s10
	v_or_b32_e32 v1, s6, v0
	s_addc_u32 s11, s3, s11
	v_cmp_eq_u32_e32 vcc, 0, v1
	s_and_saveexec_b64 s[2:3], vcc
	s_cbranch_execz .LBB134_2
; %bb.1:
	v_mov_b32_e32 v1, 0
	v_mov_b32_e32 v2, s8
	global_store_dword v1, v2, s[0:1]
.LBB134_2:
	s_or_b64 exec, exec, s[2:3]
	v_and_b32_e32 v1, 7, v0
	v_cmp_gt_u32_e32 vcc, 5, v1
	s_and_saveexec_b64 s[2:3], vcc
	s_cbranch_execz .LBB134_6
; %bb.3:
	s_load_dwordx2 s[2:3], s[10:11], 0x0
	s_load_dword s18, s[4:5], 0x18
	v_lshrrev_b32_e32 v4, 3, v0
	v_lshlrev_b32_e32 v2, 2, v1
	s_waitcnt lgkmcnt(0)
	s_sub_i32 s7, s2, s18
	s_sub_i32 s19, s3, s18
	s_sub_i32 s9, s19, s7
	s_mul_i32 s9, s9, 5
	s_mul_i32 s3, s7, 25
	v_mul_lo_u32 v5, s9, v1
	s_add_i32 s9, s9, s8
	s_add_i32 s9, s9, s3
	s_mul_hi_u32 s3, s6, 20
	s_mul_i32 s6, s6, 20
	s_add_u32 s0, s0, s6
	v_add_u32_e32 v0, s9, v5
	s_addc_u32 s1, s1, s3
	global_store_dword v2, v0, s[0:1] offset:4
	v_add_u32_e32 v0, s7, v4
	v_cmp_gt_i32_e32 vcc, s19, v0
	s_and_b64 exec, exec, vcc
	s_cbranch_execz .LBB134_6
; %bb.4:
	s_load_dwordx2 s[10:11], s[4:5], 0x30
	s_load_dwordx2 s[12:13], s[4:5], 0x48
	s_load_dwordx2 s[6:7], s[4:5], 0x20
	s_load_dword s0, s[4:5], 0x0
	s_load_dwordx2 s[14:15], s[4:5], 0x58
	v_lshlrev_b32_e32 v1, 4, v1
	s_mul_i32 s2, s2, 25
	s_waitcnt lgkmcnt(0)
	v_mov_b32_e32 v7, s7
	v_add_co_u32_e32 v6, vcc, s6, v2
	v_addc_co_u32_e32 v7, vcc, 0, v7, vcc
	v_add_co_u32_e32 v8, vcc, v6, v1
	v_mul_u32_u24_e32 v1, 5, v4
	s_mov_b32 s3, 0
	s_cmp_eq_u32 s0, 0
	v_add3_u32 v1, v5, s2, v1
	s_mul_i32 s2, s18, 25
	v_mov_b32_e32 v3, 0
	s_mov_b32 s9, s3
	s_cselect_b64 s[0:1], -1, 0
	v_addc_co_u32_e32 v9, vcc, 0, v7, vcc
	v_mul_lo_u32 v2, v0, 25
	v_subrev_u32_e32 v4, s2, v1
	s_mov_b64 s[16:17], 0
	v_mov_b32_e32 v10, s11
	v_mov_b32_e32 v11, s3
	;; [unrolled: 1-line block ×4, first 2 shown]
	s_movk_i32 s11, 0x50
.LBB134_5:                              ; =>This Inner Loop Header: Depth=1
	v_ashrrev_i32_e32 v1, 31, v0
	v_lshlrev_b64 v[14:15], 2, v[2:3]
	v_lshlrev_b64 v[16:17], 3, v[0:1]
	v_add_co_u32_e32 v1, vcc, v6, v14
	v_addc_co_u32_e32 v5, vcc, v7, v15, vcc
	v_add_co_u32_e32 v14, vcc, v8, v14
	v_addc_co_u32_e32 v15, vcc, v9, v15, vcc
	;; [unrolled: 2-line block ×9, first 2 shown]
	v_add_co_u32_e32 v34, vcc, 16, v14
	v_cndmask_b32_e64 v19, v5, v15, s[0:1]
	v_cndmask_b32_e64 v18, v1, v14, s[0:1]
	v_addc_co_u32_e32 v35, vcc, 0, v15, vcc
	v_add_co_u32_e32 v1, vcc, s11, v1
	global_load_dwordx2 v[20:21], v[16:17], off
	global_load_dword v14, v[18:19], off
	v_cndmask_b32_e64 v19, v25, v23, s[0:1]
	v_cndmask_b32_e64 v18, v24, v22, s[0:1]
	;; [unrolled: 1-line block ×6, first 2 shown]
	v_addc_co_u32_e32 v5, vcc, 0, v5, vcc
	global_load_dword v15, v[18:19], off
	global_load_dword v16, v[22:23], off
	global_load_dword v17, v[24:25], off
	v_cndmask_b32_e64 v26, v1, v34, s[0:1]
	v_cndmask_b32_e64 v27, v5, v35, s[0:1]
	global_load_dword v1, v[26:27], off
	v_ashrrev_i32_e32 v5, 31, v4
	v_lshlrev_b64 v[18:19], 3, v[4:5]
	v_add_co_u32_e32 v24, vcc, s14, v18
	v_lshlrev_b64 v[22:23], 2, v[4:5]
	v_addc_co_u32_e32 v25, vcc, v12, v19, vcc
	v_add_co_u32_e32 v18, vcc, s12, v22
	v_add_u32_e32 v0, 32, v0
	v_addc_co_u32_e32 v19, vcc, v13, v23, vcc
	v_cmp_le_i32_e32 vcc, s19, v0
	s_or_b64 s[16:17], vcc, s[16:17]
	v_add_u32_e32 v2, 0x320, v2
	v_add_u32_e32 v4, 0xa0, v4
	s_waitcnt vmcnt(5)
	v_subrev_co_u32_e32 v5, vcc, s18, v20
	v_mad_u64_u32 v[22:23], s[2:3], v5, 5, s[8:9]
	v_subb_co_u32_e32 v20, vcc, v21, v11, vcc
	v_add_co_u32_e64 v26, s[4:5], 4, v22
	s_waitcnt vmcnt(1)
	global_store_dwordx4 v[18:19], v[14:17], off
	s_nop 0
	v_mov_b32_e32 v16, v23
	v_mad_u64_u32 v[16:17], s[2:3], v20, 5, v[16:17]
	s_waitcnt vmcnt(1)
	global_store_dword v[18:19], v1, off offset:16
	v_mov_b32_e32 v1, v16
	v_mov_b32_e32 v15, v16
	v_add_co_u32_e64 v16, s[6:7], 1, v22
	v_mov_b32_e32 v14, v22
	v_add_co_u32_e32 v18, vcc, 2, v22
	v_add_co_u32_e64 v20, s[2:3], 3, v22
	v_addc_co_u32_e64 v17, s[6:7], 0, v1, s[6:7]
	v_addc_co_u32_e32 v19, vcc, 0, v1, vcc
	v_addc_co_u32_e64 v21, vcc, 0, v1, s[2:3]
	v_addc_co_u32_e64 v27, vcc, 0, v1, s[4:5]
	global_store_dwordx4 v[24:25], v[14:17], off
	global_store_dwordx4 v[24:25], v[18:21], off offset:16
	global_store_dwordx2 v[24:25], v[26:27], off offset:32
	s_andn2_b64 exec, exec, s[16:17]
	s_cbranch_execnz .LBB134_5
.LBB134_6:
	s_endpgm
	.section	.rodata,"a",@progbits
	.p2align	6, 0x0
	.amdhsa_kernel _ZN9rocsparseL32bsr2csr_block_per_row_2_7_kernelILj256ELj5EfilEEv20rocsparse_direction_T3_S2_21rocsparse_index_base_PKT1_PKT2_PKS2_S2_S3_PS4_PS7_PS2_
		.amdhsa_group_segment_fixed_size 0
		.amdhsa_private_segment_fixed_size 0
		.amdhsa_kernarg_size 96
		.amdhsa_user_sgpr_count 6
		.amdhsa_user_sgpr_private_segment_buffer 1
		.amdhsa_user_sgpr_dispatch_ptr 0
		.amdhsa_user_sgpr_queue_ptr 0
		.amdhsa_user_sgpr_kernarg_segment_ptr 1
		.amdhsa_user_sgpr_dispatch_id 0
		.amdhsa_user_sgpr_flat_scratch_init 0
		.amdhsa_user_sgpr_kernarg_preload_length 0
		.amdhsa_user_sgpr_kernarg_preload_offset 0
		.amdhsa_user_sgpr_private_segment_size 0
		.amdhsa_uses_dynamic_stack 0
		.amdhsa_system_sgpr_private_segment_wavefront_offset 0
		.amdhsa_system_sgpr_workgroup_id_x 1
		.amdhsa_system_sgpr_workgroup_id_y 0
		.amdhsa_system_sgpr_workgroup_id_z 0
		.amdhsa_system_sgpr_workgroup_info 0
		.amdhsa_system_vgpr_workitem_id 0
		.amdhsa_next_free_vgpr 36
		.amdhsa_next_free_sgpr 20
		.amdhsa_accum_offset 36
		.amdhsa_reserve_vcc 1
		.amdhsa_reserve_flat_scratch 0
		.amdhsa_float_round_mode_32 0
		.amdhsa_float_round_mode_16_64 0
		.amdhsa_float_denorm_mode_32 3
		.amdhsa_float_denorm_mode_16_64 3
		.amdhsa_dx10_clamp 1
		.amdhsa_ieee_mode 1
		.amdhsa_fp16_overflow 0
		.amdhsa_tg_split 0
		.amdhsa_exception_fp_ieee_invalid_op 0
		.amdhsa_exception_fp_denorm_src 0
		.amdhsa_exception_fp_ieee_div_zero 0
		.amdhsa_exception_fp_ieee_overflow 0
		.amdhsa_exception_fp_ieee_underflow 0
		.amdhsa_exception_fp_ieee_inexact 0
		.amdhsa_exception_int_div_zero 0
	.end_amdhsa_kernel
	.section	.text._ZN9rocsparseL32bsr2csr_block_per_row_2_7_kernelILj256ELj5EfilEEv20rocsparse_direction_T3_S2_21rocsparse_index_base_PKT1_PKT2_PKS2_S2_S3_PS4_PS7_PS2_,"axG",@progbits,_ZN9rocsparseL32bsr2csr_block_per_row_2_7_kernelILj256ELj5EfilEEv20rocsparse_direction_T3_S2_21rocsparse_index_base_PKT1_PKT2_PKS2_S2_S3_PS4_PS7_PS2_,comdat
.Lfunc_end134:
	.size	_ZN9rocsparseL32bsr2csr_block_per_row_2_7_kernelILj256ELj5EfilEEv20rocsparse_direction_T3_S2_21rocsparse_index_base_PKT1_PKT2_PKS2_S2_S3_PS4_PS7_PS2_, .Lfunc_end134-_ZN9rocsparseL32bsr2csr_block_per_row_2_7_kernelILj256ELj5EfilEEv20rocsparse_direction_T3_S2_21rocsparse_index_base_PKT1_PKT2_PKS2_S2_S3_PS4_PS7_PS2_
                                        ; -- End function
	.section	.AMDGPU.csdata,"",@progbits
; Kernel info:
; codeLenInByte = 812
; NumSgprs: 24
; NumVgprs: 36
; NumAgprs: 0
; TotalNumVgprs: 36
; ScratchSize: 0
; MemoryBound: 0
; FloatMode: 240
; IeeeMode: 1
; LDSByteSize: 0 bytes/workgroup (compile time only)
; SGPRBlocks: 2
; VGPRBlocks: 4
; NumSGPRsForWavesPerEU: 24
; NumVGPRsForWavesPerEU: 36
; AccumOffset: 36
; Occupancy: 8
; WaveLimiterHint : 0
; COMPUTE_PGM_RSRC2:SCRATCH_EN: 0
; COMPUTE_PGM_RSRC2:USER_SGPR: 6
; COMPUTE_PGM_RSRC2:TRAP_HANDLER: 0
; COMPUTE_PGM_RSRC2:TGID_X_EN: 1
; COMPUTE_PGM_RSRC2:TGID_Y_EN: 0
; COMPUTE_PGM_RSRC2:TGID_Z_EN: 0
; COMPUTE_PGM_RSRC2:TIDIG_COMP_CNT: 0
; COMPUTE_PGM_RSRC3_GFX90A:ACCUM_OFFSET: 8
; COMPUTE_PGM_RSRC3_GFX90A:TG_SPLIT: 0
	.section	.text._ZN9rocsparseL32bsr2csr_block_per_row_2_7_kernelILj256ELj6EfilEEv20rocsparse_direction_T3_S2_21rocsparse_index_base_PKT1_PKT2_PKS2_S2_S3_PS4_PS7_PS2_,"axG",@progbits,_ZN9rocsparseL32bsr2csr_block_per_row_2_7_kernelILj256ELj6EfilEEv20rocsparse_direction_T3_S2_21rocsparse_index_base_PKT1_PKT2_PKS2_S2_S3_PS4_PS7_PS2_,comdat
	.globl	_ZN9rocsparseL32bsr2csr_block_per_row_2_7_kernelILj256ELj6EfilEEv20rocsparse_direction_T3_S2_21rocsparse_index_base_PKT1_PKT2_PKS2_S2_S3_PS4_PS7_PS2_ ; -- Begin function _ZN9rocsparseL32bsr2csr_block_per_row_2_7_kernelILj256ELj6EfilEEv20rocsparse_direction_T3_S2_21rocsparse_index_base_PKT1_PKT2_PKS2_S2_S3_PS4_PS7_PS2_
	.p2align	8
	.type	_ZN9rocsparseL32bsr2csr_block_per_row_2_7_kernelILj256ELj6EfilEEv20rocsparse_direction_T3_S2_21rocsparse_index_base_PKT1_PKT2_PKS2_S2_S3_PS4_PS7_PS2_,@function
_ZN9rocsparseL32bsr2csr_block_per_row_2_7_kernelILj256ELj6EfilEEv20rocsparse_direction_T3_S2_21rocsparse_index_base_PKT1_PKT2_PKS2_S2_S3_PS4_PS7_PS2_: ; @_ZN9rocsparseL32bsr2csr_block_per_row_2_7_kernelILj256ELj6EfilEEv20rocsparse_direction_T3_S2_21rocsparse_index_base_PKT1_PKT2_PKS2_S2_S3_PS4_PS7_PS2_
; %bb.0:
	s_load_dwordx2 s[2:3], s[4:5], 0x28
	s_load_dword s10, s[4:5], 0x40
	s_load_dwordx2 s[0:1], s[4:5], 0x50
	s_mov_b32 s7, 0
	s_lshl_b64 s[8:9], s[6:7], 2
	s_waitcnt lgkmcnt(0)
	s_add_u32 s8, s2, s8
	v_or_b32_e32 v1, s6, v0
	s_addc_u32 s9, s3, s9
	v_cmp_eq_u32_e32 vcc, 0, v1
	s_and_saveexec_b64 s[2:3], vcc
	s_cbranch_execz .LBB135_2
; %bb.1:
	v_mov_b32_e32 v1, 0
	v_mov_b32_e32 v2, s10
	global_store_dword v1, v2, s[0:1]
.LBB135_2:
	s_or_b64 exec, exec, s[2:3]
	v_and_b32_e32 v1, 7, v0
	v_cmp_gt_u32_e32 vcc, 6, v1
	s_and_saveexec_b64 s[2:3], vcc
	s_cbranch_execz .LBB135_6
; %bb.3:
	s_load_dwordx2 s[2:3], s[8:9], 0x0
	s_load_dword s20, s[4:5], 0x18
	v_lshrrev_b32_e32 v8, 3, v0
	v_lshlrev_b32_e32 v2, 2, v1
	s_waitcnt lgkmcnt(0)
	s_sub_i32 s7, s2, s20
	s_sub_i32 s21, s3, s20
	;; [unrolled: 1-line block ×3, first 2 shown]
	s_mul_i32 s8, s8, 6
	s_mul_i32 s3, s7, 36
	v_mul_lo_u32 v9, s8, v1
	s_add_i32 s8, s8, s10
	s_add_i32 s8, s8, s3
	s_mul_hi_u32 s3, s6, 24
	s_mul_i32 s6, s6, 24
	s_add_u32 s0, s0, s6
	v_add_u32_e32 v0, s8, v9
	s_addc_u32 s1, s1, s3
	global_store_dword v2, v0, s[0:1] offset:4
	v_add_u32_e32 v0, s7, v8
	v_cmp_gt_i32_e32 vcc, s21, v0
	s_and_b64 exec, exec, vcc
	s_cbranch_execz .LBB135_6
; %bb.4:
	s_load_dwordx2 s[12:13], s[4:5], 0x30
	s_load_dwordx2 s[14:15], s[4:5], 0x48
	;; [unrolled: 1-line block ×3, first 2 shown]
	s_load_dword s0, s[4:5], 0x0
	s_load_dwordx2 s[16:17], s[4:5], 0x58
	s_mul_i32 s2, s2, 36
	s_mov_b32 s3, 0
	s_waitcnt lgkmcnt(0)
	v_mov_b32_e32 v5, s7
	v_add_co_u32_e32 v4, vcc, s6, v2
	v_addc_co_u32_e32 v5, vcc, 0, v5, vcc
	v_mad_u64_u32 v[6:7], s[4:5], v1, 20, v[4:5]
	v_mul_u32_u24_e32 v1, 6, v8
	s_cmp_eq_u32 s0, 0
	v_add3_u32 v1, v9, s2, v1
	s_mul_i32 s2, s20, 36
	v_mov_b32_e32 v3, 0
	s_mov_b32 s11, s3
	s_cselect_b64 s[0:1], -1, 0
	v_mul_lo_u32 v2, v0, 36
	v_subrev_u32_e32 v8, s2, v1
	s_mov_b64 s[18:19], 0
	v_mov_b32_e32 v10, s13
	v_mov_b32_e32 v11, s3
	;; [unrolled: 1-line block ×4, first 2 shown]
	s_movk_i32 s13, 0x48
	s_movk_i32 s15, 0x60
	;; [unrolled: 1-line block ×3, first 2 shown]
.LBB135_5:                              ; =>This Inner Loop Header: Depth=1
	v_ashrrev_i32_e32 v1, 31, v0
	v_lshlrev_b64 v[14:15], 2, v[2:3]
	v_lshlrev_b64 v[16:17], 3, v[0:1]
	v_add_co_u32_e32 v1, vcc, v4, v14
	v_addc_co_u32_e32 v9, vcc, v5, v15, vcc
	v_add_co_u32_e32 v14, vcc, v6, v14
	v_addc_co_u32_e32 v15, vcc, v7, v15, vcc
	v_add_co_u32_e32 v16, vcc, s12, v16
	v_addc_co_u32_e32 v17, vcc, v10, v17, vcc
	v_add_co_u32_e32 v22, vcc, 4, v14
	v_addc_co_u32_e32 v23, vcc, 0, v15, vcc
	v_add_co_u32_e32 v24, vcc, 24, v1
	v_addc_co_u32_e32 v25, vcc, 0, v9, vcc
	v_add_co_u32_e32 v26, vcc, 8, v14
	v_addc_co_u32_e32 v27, vcc, 0, v15, vcc
	v_add_co_u32_e32 v28, vcc, 48, v1
	v_addc_co_u32_e32 v29, vcc, 0, v9, vcc
	v_add_co_u32_e32 v30, vcc, 12, v14
	v_addc_co_u32_e32 v31, vcc, 0, v15, vcc
	v_add_co_u32_e32 v32, vcc, s13, v1
	v_addc_co_u32_e32 v33, vcc, 0, v9, vcc
	v_add_co_u32_e32 v34, vcc, 16, v14
	v_addc_co_u32_e32 v35, vcc, 0, v15, vcc
	v_add_co_u32_e32 v36, vcc, s15, v1
	v_addc_co_u32_e32 v37, vcc, 0, v9, vcc
	v_add_co_u32_e32 v38, vcc, 20, v14
	v_cndmask_b32_e64 v19, v9, v15, s[0:1]
	v_cndmask_b32_e64 v18, v1, v14, s[0:1]
	v_addc_co_u32_e32 v39, vcc, 0, v15, vcc
	global_load_dwordx2 v[20:21], v[16:17], off
	global_load_dword v14, v[18:19], off
	v_add_co_u32_e32 v1, vcc, s17, v1
	v_cndmask_b32_e64 v19, v25, v23, s[0:1]
	v_cndmask_b32_e64 v18, v24, v22, s[0:1]
	;; [unrolled: 1-line block ×8, first 2 shown]
	v_addc_co_u32_e32 v9, vcc, 0, v9, vcc
	global_load_dword v15, v[18:19], off
	global_load_dword v16, v[22:23], off
	global_load_dword v17, v[24:25], off
	global_load_dword v30, v[26:27], off
	v_cndmask_b32_e64 v28, v1, v38, s[0:1]
	v_cndmask_b32_e64 v29, v9, v39, s[0:1]
	global_load_dword v31, v[28:29], off
	v_ashrrev_i32_e32 v9, 31, v8
	v_lshlrev_b64 v[18:19], 3, v[8:9]
	v_add_co_u32_e32 v26, vcc, s16, v18
	v_lshlrev_b64 v[22:23], 2, v[8:9]
	v_addc_co_u32_e32 v27, vcc, v12, v19, vcc
	v_add_co_u32_e32 v18, vcc, s14, v22
	v_add_u32_e32 v0, 32, v0
	v_addc_co_u32_e32 v19, vcc, v13, v23, vcc
	v_cmp_le_i32_e32 vcc, s21, v0
	s_or_b64 s[18:19], vcc, s[18:19]
	v_add_u32_e32 v2, 0x480, v2
	v_add_u32_e32 v8, 0xc0, v8
	s_waitcnt vmcnt(6)
	v_subrev_co_u32_e32 v1, vcc, s20, v20
	v_mad_u64_u32 v[28:29], s[2:3], v1, 6, s[10:11]
	v_subb_co_u32_e32 v9, vcc, v21, v11, vcc
	v_add_co_u32_e64 v22, s[4:5], 4, v28
	v_add_co_u32_e64 v24, s[6:7], 5, v28
	s_waitcnt vmcnt(2)
	global_store_dwordx4 v[18:19], v[14:17], off
	s_nop 0
	v_mov_b32_e32 v16, v29
	v_mad_u64_u32 v[16:17], s[2:3], v9, 6, v[16:17]
	v_mov_b32_e32 v1, v16
	v_mov_b32_e32 v15, v16
	v_add_co_u32_e64 v16, s[8:9], 1, v28
	v_mov_b32_e32 v14, v28
	s_waitcnt vmcnt(1)
	global_store_dwordx2 v[18:19], v[30:31], off offset:16
	v_add_co_u32_e32 v18, vcc, 2, v28
	v_add_co_u32_e64 v20, s[2:3], 3, v28
	v_addc_co_u32_e64 v17, s[8:9], 0, v1, s[8:9]
	v_addc_co_u32_e32 v19, vcc, 0, v1, vcc
	v_addc_co_u32_e64 v21, vcc, 0, v1, s[2:3]
	v_addc_co_u32_e64 v23, vcc, 0, v1, s[4:5]
	;; [unrolled: 1-line block ×3, first 2 shown]
	global_store_dwordx4 v[26:27], v[14:17], off
	global_store_dwordx4 v[26:27], v[18:21], off offset:16
	global_store_dwordx4 v[26:27], v[22:25], off offset:32
	s_andn2_b64 exec, exec, s[18:19]
	s_cbranch_execnz .LBB135_5
.LBB135_6:
	s_endpgm
	.section	.rodata,"a",@progbits
	.p2align	6, 0x0
	.amdhsa_kernel _ZN9rocsparseL32bsr2csr_block_per_row_2_7_kernelILj256ELj6EfilEEv20rocsparse_direction_T3_S2_21rocsparse_index_base_PKT1_PKT2_PKS2_S2_S3_PS4_PS7_PS2_
		.amdhsa_group_segment_fixed_size 0
		.amdhsa_private_segment_fixed_size 0
		.amdhsa_kernarg_size 96
		.amdhsa_user_sgpr_count 6
		.amdhsa_user_sgpr_private_segment_buffer 1
		.amdhsa_user_sgpr_dispatch_ptr 0
		.amdhsa_user_sgpr_queue_ptr 0
		.amdhsa_user_sgpr_kernarg_segment_ptr 1
		.amdhsa_user_sgpr_dispatch_id 0
		.amdhsa_user_sgpr_flat_scratch_init 0
		.amdhsa_user_sgpr_kernarg_preload_length 0
		.amdhsa_user_sgpr_kernarg_preload_offset 0
		.amdhsa_user_sgpr_private_segment_size 0
		.amdhsa_uses_dynamic_stack 0
		.amdhsa_system_sgpr_private_segment_wavefront_offset 0
		.amdhsa_system_sgpr_workgroup_id_x 1
		.amdhsa_system_sgpr_workgroup_id_y 0
		.amdhsa_system_sgpr_workgroup_id_z 0
		.amdhsa_system_sgpr_workgroup_info 0
		.amdhsa_system_vgpr_workitem_id 0
		.amdhsa_next_free_vgpr 40
		.amdhsa_next_free_sgpr 22
		.amdhsa_accum_offset 40
		.amdhsa_reserve_vcc 1
		.amdhsa_reserve_flat_scratch 0
		.amdhsa_float_round_mode_32 0
		.amdhsa_float_round_mode_16_64 0
		.amdhsa_float_denorm_mode_32 3
		.amdhsa_float_denorm_mode_16_64 3
		.amdhsa_dx10_clamp 1
		.amdhsa_ieee_mode 1
		.amdhsa_fp16_overflow 0
		.amdhsa_tg_split 0
		.amdhsa_exception_fp_ieee_invalid_op 0
		.amdhsa_exception_fp_denorm_src 0
		.amdhsa_exception_fp_ieee_div_zero 0
		.amdhsa_exception_fp_ieee_overflow 0
		.amdhsa_exception_fp_ieee_underflow 0
		.amdhsa_exception_fp_ieee_inexact 0
		.amdhsa_exception_int_div_zero 0
	.end_amdhsa_kernel
	.section	.text._ZN9rocsparseL32bsr2csr_block_per_row_2_7_kernelILj256ELj6EfilEEv20rocsparse_direction_T3_S2_21rocsparse_index_base_PKT1_PKT2_PKS2_S2_S3_PS4_PS7_PS2_,"axG",@progbits,_ZN9rocsparseL32bsr2csr_block_per_row_2_7_kernelILj256ELj6EfilEEv20rocsparse_direction_T3_S2_21rocsparse_index_base_PKT1_PKT2_PKS2_S2_S3_PS4_PS7_PS2_,comdat
.Lfunc_end135:
	.size	_ZN9rocsparseL32bsr2csr_block_per_row_2_7_kernelILj256ELj6EfilEEv20rocsparse_direction_T3_S2_21rocsparse_index_base_PKT1_PKT2_PKS2_S2_S3_PS4_PS7_PS2_, .Lfunc_end135-_ZN9rocsparseL32bsr2csr_block_per_row_2_7_kernelILj256ELj6EfilEEv20rocsparse_direction_T3_S2_21rocsparse_index_base_PKT1_PKT2_PKS2_S2_S3_PS4_PS7_PS2_
                                        ; -- End function
	.section	.AMDGPU.csdata,"",@progbits
; Kernel info:
; codeLenInByte = 872
; NumSgprs: 26
; NumVgprs: 40
; NumAgprs: 0
; TotalNumVgprs: 40
; ScratchSize: 0
; MemoryBound: 0
; FloatMode: 240
; IeeeMode: 1
; LDSByteSize: 0 bytes/workgroup (compile time only)
; SGPRBlocks: 3
; VGPRBlocks: 4
; NumSGPRsForWavesPerEU: 26
; NumVGPRsForWavesPerEU: 40
; AccumOffset: 40
; Occupancy: 8
; WaveLimiterHint : 0
; COMPUTE_PGM_RSRC2:SCRATCH_EN: 0
; COMPUTE_PGM_RSRC2:USER_SGPR: 6
; COMPUTE_PGM_RSRC2:TRAP_HANDLER: 0
; COMPUTE_PGM_RSRC2:TGID_X_EN: 1
; COMPUTE_PGM_RSRC2:TGID_Y_EN: 0
; COMPUTE_PGM_RSRC2:TGID_Z_EN: 0
; COMPUTE_PGM_RSRC2:TIDIG_COMP_CNT: 0
; COMPUTE_PGM_RSRC3_GFX90A:ACCUM_OFFSET: 9
; COMPUTE_PGM_RSRC3_GFX90A:TG_SPLIT: 0
	.section	.text._ZN9rocsparseL32bsr2csr_block_per_row_2_7_kernelILj256ELj7EfilEEv20rocsparse_direction_T3_S2_21rocsparse_index_base_PKT1_PKT2_PKS2_S2_S3_PS4_PS7_PS2_,"axG",@progbits,_ZN9rocsparseL32bsr2csr_block_per_row_2_7_kernelILj256ELj7EfilEEv20rocsparse_direction_T3_S2_21rocsparse_index_base_PKT1_PKT2_PKS2_S2_S3_PS4_PS7_PS2_,comdat
	.globl	_ZN9rocsparseL32bsr2csr_block_per_row_2_7_kernelILj256ELj7EfilEEv20rocsparse_direction_T3_S2_21rocsparse_index_base_PKT1_PKT2_PKS2_S2_S3_PS4_PS7_PS2_ ; -- Begin function _ZN9rocsparseL32bsr2csr_block_per_row_2_7_kernelILj256ELj7EfilEEv20rocsparse_direction_T3_S2_21rocsparse_index_base_PKT1_PKT2_PKS2_S2_S3_PS4_PS7_PS2_
	.p2align	8
	.type	_ZN9rocsparseL32bsr2csr_block_per_row_2_7_kernelILj256ELj7EfilEEv20rocsparse_direction_T3_S2_21rocsparse_index_base_PKT1_PKT2_PKS2_S2_S3_PS4_PS7_PS2_,@function
_ZN9rocsparseL32bsr2csr_block_per_row_2_7_kernelILj256ELj7EfilEEv20rocsparse_direction_T3_S2_21rocsparse_index_base_PKT1_PKT2_PKS2_S2_S3_PS4_PS7_PS2_: ; @_ZN9rocsparseL32bsr2csr_block_per_row_2_7_kernelILj256ELj7EfilEEv20rocsparse_direction_T3_S2_21rocsparse_index_base_PKT1_PKT2_PKS2_S2_S3_PS4_PS7_PS2_
; %bb.0:
	s_load_dwordx2 s[2:3], s[4:5], 0x28
	s_load_dword s12, s[4:5], 0x40
	s_load_dwordx2 s[0:1], s[4:5], 0x50
	s_mov_b32 s7, 0
	s_lshl_b64 s[8:9], s[6:7], 2
	s_waitcnt lgkmcnt(0)
	s_add_u32 s8, s2, s8
	v_or_b32_e32 v1, s6, v0
	s_addc_u32 s9, s3, s9
	v_cmp_eq_u32_e32 vcc, 0, v1
	s_and_saveexec_b64 s[2:3], vcc
	s_cbranch_execz .LBB136_2
; %bb.1:
	v_mov_b32_e32 v1, 0
	v_mov_b32_e32 v2, s12
	global_store_dword v1, v2, s[0:1]
.LBB136_2:
	s_or_b64 exec, exec, s[2:3]
	v_and_b32_e32 v1, 7, v0
	v_cmp_ne_u32_e32 vcc, 7, v1
	s_and_saveexec_b64 s[2:3], vcc
	s_cbranch_execz .LBB136_6
; %bb.3:
	s_load_dwordx2 s[2:3], s[8:9], 0x0
	s_load_dword s22, s[4:5], 0x18
	v_lshrrev_b32_e32 v8, 3, v0
	v_lshlrev_b32_e32 v2, 2, v1
	s_waitcnt lgkmcnt(0)
	s_sub_i32 s7, s2, s22
	s_sub_i32 s23, s3, s22
	;; [unrolled: 1-line block ×3, first 2 shown]
	s_mul_i32 s8, s8, 7
	s_mul_i32 s3, s7, 49
	v_mul_lo_u32 v9, s8, v1
	s_add_i32 s8, s8, s12
	s_add_i32 s8, s8, s3
	s_mul_hi_u32 s3, s6, 28
	s_mul_i32 s6, s6, 28
	s_add_u32 s0, s0, s6
	v_add_u32_e32 v0, s8, v9
	s_addc_u32 s1, s1, s3
	global_store_dword v2, v0, s[0:1] offset:4
	v_add_u32_e32 v0, s7, v8
	v_cmp_gt_i32_e32 vcc, s23, v0
	s_and_b64 exec, exec, vcc
	s_cbranch_execz .LBB136_6
; %bb.4:
	s_load_dwordx2 s[14:15], s[4:5], 0x30
	s_load_dwordx2 s[16:17], s[4:5], 0x48
	;; [unrolled: 1-line block ×3, first 2 shown]
	s_load_dword s0, s[4:5], 0x0
	s_load_dwordx2 s[18:19], s[4:5], 0x58
	s_mul_i32 s2, s2, 49
	s_mov_b32 s3, 0
	s_waitcnt lgkmcnt(0)
	v_mov_b32_e32 v5, s7
	v_add_co_u32_e32 v4, vcc, s6, v2
	v_addc_co_u32_e32 v5, vcc, 0, v5, vcc
	v_mad_u64_u32 v[6:7], s[4:5], v1, 24, v[4:5]
	v_mul_u32_u24_e32 v1, 7, v8
	s_cmp_eq_u32 s0, 0
	v_add3_u32 v1, v9, s2, v1
	s_mul_i32 s2, s22, 49
	v_mov_b32_e32 v3, 0
	s_mov_b32 s13, s3
	s_cselect_b64 s[0:1], -1, 0
	v_mul_lo_u32 v2, v0, 49
	v_subrev_u32_e32 v8, s2, v1
	s_mov_b64 s[20:21], 0
	v_mov_b32_e32 v10, s15
	v_mov_b32_e32 v11, s3
	;; [unrolled: 1-line block ×4, first 2 shown]
	s_movk_i32 s15, 0x54
	s_movk_i32 s17, 0x70
	;; [unrolled: 1-line block ×4, first 2 shown]
.LBB136_5:                              ; =>This Inner Loop Header: Depth=1
	v_ashrrev_i32_e32 v1, 31, v0
	v_lshlrev_b64 v[14:15], 2, v[2:3]
	v_lshlrev_b64 v[16:17], 3, v[0:1]
	v_add_co_u32_e32 v1, vcc, v4, v14
	v_addc_co_u32_e32 v9, vcc, v5, v15, vcc
	v_add_co_u32_e32 v14, vcc, v6, v14
	v_addc_co_u32_e32 v15, vcc, v7, v15, vcc
	;; [unrolled: 2-line block ×13, first 2 shown]
	v_add_co_u32_e32 v42, vcc, 24, v14
	v_cndmask_b32_e64 v19, v9, v15, s[0:1]
	v_cndmask_b32_e64 v18, v1, v14, s[0:1]
	v_addc_co_u32_e32 v43, vcc, 0, v15, vcc
	global_load_dwordx2 v[22:23], v[16:17], off
	global_load_dword v14, v[18:19], off
	v_add_co_u32_e32 v1, vcc, s24, v1
	v_cndmask_b32_e64 v21, v25, v21, s[0:1]
	v_cndmask_b32_e64 v20, v24, v20, s[0:1]
	v_addc_co_u32_e32 v9, vcc, 0, v9, vcc
	v_cndmask_b32_e64 v25, v29, v27, s[0:1]
	v_cndmask_b32_e64 v24, v28, v26, s[0:1]
	;; [unrolled: 1-line block ×9, first 2 shown]
	global_load_dword v15, v[20:21], off
	global_load_dword v16, v[24:25], off
	;; [unrolled: 1-line block ×5, first 2 shown]
	v_cndmask_b32_e64 v33, v9, v43, s[0:1]
	global_load_dword v20, v[32:33], off
	v_ashrrev_i32_e32 v9, 31, v8
	v_lshlrev_b64 v[24:25], 3, v[8:9]
	v_add_co_u32_e32 v28, vcc, s18, v24
	v_lshlrev_b64 v[26:27], 2, v[8:9]
	v_addc_co_u32_e32 v29, vcc, v12, v25, vcc
	v_add_co_u32_e32 v24, vcc, s16, v26
	v_add_u32_e32 v0, 32, v0
	v_addc_co_u32_e32 v25, vcc, v13, v27, vcc
	v_cmp_le_i32_e32 vcc, s23, v0
	s_or_b64 s[20:21], vcc, s[20:21]
	v_add_u32_e32 v2, 0x620, v2
	v_add_u32_e32 v8, 0xe0, v8
	s_waitcnt vmcnt(7)
	v_subrev_co_u32_e32 v1, vcc, s22, v22
	v_mad_u64_u32 v[26:27], s[2:3], v1, 7, s[12:13]
	v_subb_co_u32_e32 v9, vcc, v23, v11, vcc
	v_add_co_u32_e64 v22, s[4:5], 4, v26
	v_add_co_u32_e64 v30, s[8:9], 6, v26
	s_waitcnt vmcnt(3)
	global_store_dwordx4 v[24:25], v[14:17], off
	s_nop 0
	v_mov_b32_e32 v16, v27
	v_mad_u64_u32 v[16:17], s[2:3], v9, 7, v[16:17]
	v_mov_b32_e32 v1, v16
	v_mov_b32_e32 v15, v16
	v_add_co_u32_e64 v16, s[10:11], 1, v26
	v_mov_b32_e32 v14, v26
	s_waitcnt vmcnt(1)
	global_store_dwordx3 v[24:25], v[18:20], off offset:16
	v_add_co_u32_e64 v24, s[6:7], 5, v26
	v_add_co_u32_e32 v18, vcc, 2, v26
	v_add_co_u32_e64 v20, s[2:3], 3, v26
	v_addc_co_u32_e64 v17, s[10:11], 0, v1, s[10:11]
	v_addc_co_u32_e32 v19, vcc, 0, v1, vcc
	v_addc_co_u32_e64 v21, vcc, 0, v1, s[2:3]
	v_addc_co_u32_e64 v23, vcc, 0, v1, s[4:5]
	;; [unrolled: 1-line block ×4, first 2 shown]
	global_store_dwordx4 v[28:29], v[14:17], off
	global_store_dwordx4 v[28:29], v[18:21], off offset:16
	global_store_dwordx4 v[28:29], v[22:25], off offset:32
	global_store_dwordx2 v[28:29], v[30:31], off offset:48
	s_andn2_b64 exec, exec, s[20:21]
	s_cbranch_execnz .LBB136_5
.LBB136_6:
	s_endpgm
	.section	.rodata,"a",@progbits
	.p2align	6, 0x0
	.amdhsa_kernel _ZN9rocsparseL32bsr2csr_block_per_row_2_7_kernelILj256ELj7EfilEEv20rocsparse_direction_T3_S2_21rocsparse_index_base_PKT1_PKT2_PKS2_S2_S3_PS4_PS7_PS2_
		.amdhsa_group_segment_fixed_size 0
		.amdhsa_private_segment_fixed_size 0
		.amdhsa_kernarg_size 96
		.amdhsa_user_sgpr_count 6
		.amdhsa_user_sgpr_private_segment_buffer 1
		.amdhsa_user_sgpr_dispatch_ptr 0
		.amdhsa_user_sgpr_queue_ptr 0
		.amdhsa_user_sgpr_kernarg_segment_ptr 1
		.amdhsa_user_sgpr_dispatch_id 0
		.amdhsa_user_sgpr_flat_scratch_init 0
		.amdhsa_user_sgpr_kernarg_preload_length 0
		.amdhsa_user_sgpr_kernarg_preload_offset 0
		.amdhsa_user_sgpr_private_segment_size 0
		.amdhsa_uses_dynamic_stack 0
		.amdhsa_system_sgpr_private_segment_wavefront_offset 0
		.amdhsa_system_sgpr_workgroup_id_x 1
		.amdhsa_system_sgpr_workgroup_id_y 0
		.amdhsa_system_sgpr_workgroup_id_z 0
		.amdhsa_system_sgpr_workgroup_info 0
		.amdhsa_system_vgpr_workitem_id 0
		.amdhsa_next_free_vgpr 44
		.amdhsa_next_free_sgpr 25
		.amdhsa_accum_offset 44
		.amdhsa_reserve_vcc 1
		.amdhsa_reserve_flat_scratch 0
		.amdhsa_float_round_mode_32 0
		.amdhsa_float_round_mode_16_64 0
		.amdhsa_float_denorm_mode_32 3
		.amdhsa_float_denorm_mode_16_64 3
		.amdhsa_dx10_clamp 1
		.amdhsa_ieee_mode 1
		.amdhsa_fp16_overflow 0
		.amdhsa_tg_split 0
		.amdhsa_exception_fp_ieee_invalid_op 0
		.amdhsa_exception_fp_denorm_src 0
		.amdhsa_exception_fp_ieee_div_zero 0
		.amdhsa_exception_fp_ieee_overflow 0
		.amdhsa_exception_fp_ieee_underflow 0
		.amdhsa_exception_fp_ieee_inexact 0
		.amdhsa_exception_int_div_zero 0
	.end_amdhsa_kernel
	.section	.text._ZN9rocsparseL32bsr2csr_block_per_row_2_7_kernelILj256ELj7EfilEEv20rocsparse_direction_T3_S2_21rocsparse_index_base_PKT1_PKT2_PKS2_S2_S3_PS4_PS7_PS2_,"axG",@progbits,_ZN9rocsparseL32bsr2csr_block_per_row_2_7_kernelILj256ELj7EfilEEv20rocsparse_direction_T3_S2_21rocsparse_index_base_PKT1_PKT2_PKS2_S2_S3_PS4_PS7_PS2_,comdat
.Lfunc_end136:
	.size	_ZN9rocsparseL32bsr2csr_block_per_row_2_7_kernelILj256ELj7EfilEEv20rocsparse_direction_T3_S2_21rocsparse_index_base_PKT1_PKT2_PKS2_S2_S3_PS4_PS7_PS2_, .Lfunc_end136-_ZN9rocsparseL32bsr2csr_block_per_row_2_7_kernelILj256ELj7EfilEEv20rocsparse_direction_T3_S2_21rocsparse_index_base_PKT1_PKT2_PKS2_S2_S3_PS4_PS7_PS2_
                                        ; -- End function
	.section	.AMDGPU.csdata,"",@progbits
; Kernel info:
; codeLenInByte = 940
; NumSgprs: 29
; NumVgprs: 44
; NumAgprs: 0
; TotalNumVgprs: 44
; ScratchSize: 0
; MemoryBound: 0
; FloatMode: 240
; IeeeMode: 1
; LDSByteSize: 0 bytes/workgroup (compile time only)
; SGPRBlocks: 3
; VGPRBlocks: 5
; NumSGPRsForWavesPerEU: 29
; NumVGPRsForWavesPerEU: 44
; AccumOffset: 44
; Occupancy: 8
; WaveLimiterHint : 0
; COMPUTE_PGM_RSRC2:SCRATCH_EN: 0
; COMPUTE_PGM_RSRC2:USER_SGPR: 6
; COMPUTE_PGM_RSRC2:TRAP_HANDLER: 0
; COMPUTE_PGM_RSRC2:TGID_X_EN: 1
; COMPUTE_PGM_RSRC2:TGID_Y_EN: 0
; COMPUTE_PGM_RSRC2:TGID_Z_EN: 0
; COMPUTE_PGM_RSRC2:TIDIG_COMP_CNT: 0
; COMPUTE_PGM_RSRC3_GFX90A:ACCUM_OFFSET: 10
; COMPUTE_PGM_RSRC3_GFX90A:TG_SPLIT: 0
	.section	.text._ZN9rocsparseL33bsr2csr_block_per_row_8_32_kernelILj1024ELj8EfilEEv20rocsparse_direction_T3_S2_21rocsparse_index_base_PKT1_PKT2_PKS2_S2_S3_PS4_PS7_PS2_,"axG",@progbits,_ZN9rocsparseL33bsr2csr_block_per_row_8_32_kernelILj1024ELj8EfilEEv20rocsparse_direction_T3_S2_21rocsparse_index_base_PKT1_PKT2_PKS2_S2_S3_PS4_PS7_PS2_,comdat
	.globl	_ZN9rocsparseL33bsr2csr_block_per_row_8_32_kernelILj1024ELj8EfilEEv20rocsparse_direction_T3_S2_21rocsparse_index_base_PKT1_PKT2_PKS2_S2_S3_PS4_PS7_PS2_ ; -- Begin function _ZN9rocsparseL33bsr2csr_block_per_row_8_32_kernelILj1024ELj8EfilEEv20rocsparse_direction_T3_S2_21rocsparse_index_base_PKT1_PKT2_PKS2_S2_S3_PS4_PS7_PS2_
	.p2align	8
	.type	_ZN9rocsparseL33bsr2csr_block_per_row_8_32_kernelILj1024ELj8EfilEEv20rocsparse_direction_T3_S2_21rocsparse_index_base_PKT1_PKT2_PKS2_S2_S3_PS4_PS7_PS2_,@function
_ZN9rocsparseL33bsr2csr_block_per_row_8_32_kernelILj1024ELj8EfilEEv20rocsparse_direction_T3_S2_21rocsparse_index_base_PKT1_PKT2_PKS2_S2_S3_PS4_PS7_PS2_: ; @_ZN9rocsparseL33bsr2csr_block_per_row_8_32_kernelILj1024ELj8EfilEEv20rocsparse_direction_T3_S2_21rocsparse_index_base_PKT1_PKT2_PKS2_S2_S3_PS4_PS7_PS2_
; %bb.0:
	s_load_dwordx2 s[0:1], s[4:5], 0x28
	s_load_dword s14, s[4:5], 0x40
	s_load_dwordx2 s[8:9], s[4:5], 0x50
	s_mov_b32 s7, 0
	s_lshl_b64 s[2:3], s[6:7], 2
	s_waitcnt lgkmcnt(0)
	s_add_u32 s10, s0, s2
	v_or_b32_e32 v1, s6, v0
	s_addc_u32 s11, s1, s3
	v_cmp_eq_u32_e32 vcc, 0, v1
	s_and_saveexec_b64 s[0:1], vcc
	s_cbranch_execz .LBB137_2
; %bb.1:
	v_mov_b32_e32 v1, 0
	v_mov_b32_e32 v2, s14
	global_store_dword v1, v2, s[8:9]
.LBB137_2:
	s_or_b64 exec, exec, s[0:1]
	s_load_dwordx2 s[2:3], s[4:5], 0x38
	v_mov_b32_e32 v7, 0
	v_and_b32_e32 v6, 7, v0
	v_bfe_u32 v8, v0, 3, 3
	v_mov_b32_e32 v9, v7
	s_waitcnt lgkmcnt(0)
	v_cmp_gt_i64_e32 vcc, s[2:3], v[8:9]
	v_cmp_gt_i64_e64 s[0:1], s[2:3], v[6:7]
	s_and_b64 s[0:1], vcc, s[0:1]
	s_and_saveexec_b64 s[12:13], s[0:1]
	s_cbranch_execz .LBB137_6
; %bb.3:
	s_load_dwordx2 s[0:1], s[10:11], 0x0
	s_load_dword s12, s[4:5], 0x18
	s_mul_i32 s10, s2, s2
	v_lshrrev_b32_e32 v1, 6, v0
	v_lshlrev_b32_e32 v5, 2, v8
	s_waitcnt lgkmcnt(0)
	s_sub_i32 s15, s0, s12
	s_sub_i32 s11, s1, s12
	;; [unrolled: 1-line block ×3, first 2 shown]
	s_mul_i32 s1, s16, s2
	s_mul_i32 s0, s10, s15
	v_mul_lo_u32 v0, s1, v8
	s_add_i32 s1, s1, s14
	s_add_i32 s1, s1, s0
	v_add_u32_e32 v0, s1, v0
	s_mul_i32 s0, s6, s3
	s_mul_hi_u32 s1, s6, s2
	s_add_i32 s1, s1, s0
	s_mul_i32 s0, s6, s2
	s_lshl_b64 s[0:1], s[0:1], 2
	s_add_u32 s0, s8, s0
	s_addc_u32 s1, s9, s1
	global_store_dword v5, v0, s[0:1] offset:4
	v_add_u32_e32 v0, s15, v1
	v_cmp_gt_i32_e32 vcc, s11, v0
	s_and_b64 exec, exec, vcc
	s_cbranch_execz .LBB137_6
; %bb.4:
	s_mul_i32 s13, s2, s3
	s_mul_hi_u32 s17, s2, s2
	s_add_i32 s17, s17, s13
	s_load_dwordx2 s[0:1], s[4:5], 0x30
	s_load_dwordx2 s[6:7], s[4:5], 0x48
	;; [unrolled: 1-line block ×3, first 2 shown]
	s_add_i32 s13, s17, s13
	s_load_dwordx2 s[18:19], s[4:5], 0x20
	s_load_dword s17, s[4:5], 0x0
	v_mad_u64_u32 v[10:11], s[4:5], v6, s2, 0
	v_mov_b32_e32 v4, v11
	v_mad_u64_u32 v[12:13], s[4:5], v6, s3, v[4:5]
	v_mov_b32_e32 v11, v12
	v_add_co_u32_e32 v2, vcc, s14, v6
	v_lshlrev_b64 v[10:11], 2, v[10:11]
	v_addc_co_u32_e64 v3, s[4:5], 0, 0, vcc
	s_waitcnt lgkmcnt(0)
	v_mov_b32_e32 v7, s19
	v_add_co_u32_e32 v9, vcc, s18, v10
	v_addc_co_u32_e32 v10, vcc, v7, v11, vcc
	v_add_co_u32_e32 v5, vcc, v9, v5
	v_addc_co_u32_e32 v9, vcc, 0, v10, vcc
	v_mad_u64_u32 v[10:11], s[4:5], v8, s2, 0
	v_mov_b32_e32 v12, v11
	v_mad_u64_u32 v[12:13], s[4:5], v8, s3, v[12:13]
	v_mov_b32_e32 v11, v12
	v_lshlrev_b64 v[10:11], 2, v[10:11]
	v_add_co_u32_e32 v10, vcc, s18, v10
	v_addc_co_u32_e32 v7, vcc, v7, v11, vcc
	v_lshlrev_b32_e32 v11, 2, v6
	v_add_co_u32_e32 v10, vcc, v10, v11
	s_cmp_eq_u32 s17, 0
	v_addc_co_u32_e32 v7, vcc, 0, v7, vcc
	s_cselect_b64 vcc, -1, 0
	v_cndmask_b32_e32 v10, v5, v10, vcc
	s_mul_i32 s4, s2, s15
	v_mul_lo_u32 v5, s16, v8
	v_cndmask_b32_e32 v7, v9, v7, vcc
	v_add3_u32 v1, v1, s4, v5
	s_mov_b32 s20, 0
	v_mad_u64_u32 v[8:9], s[4:5], s2, v1, v[6:7]
	s_lshl_b32 s14, s2, 4
	v_mov_b32_e32 v4, 0
	v_mov_b32_e32 v5, v8
	s_mov_b64 s[4:5], 0
	v_mov_b32_e32 v6, s1
	v_mov_b32_e32 v8, s20
	;; [unrolled: 1-line block ×5, first 2 shown]
.LBB137_5:                              ; =>This Inner Loop Header: Depth=1
	v_ashrrev_i32_e32 v1, 31, v0
	v_lshlrev_b64 v[16:17], 3, v[0:1]
	v_mul_lo_u32 v13, s13, v0
	v_mad_u64_u32 v[14:15], s[14:15], s10, v0, 0
	v_mul_lo_u32 v1, s10, v1
	v_add_co_u32_e32 v16, vcc, s0, v16
	v_addc_co_u32_e32 v17, vcc, v6, v17, vcc
	v_add3_u32 v15, v15, v1, v13
	global_load_dwordx2 v[16:17], v[16:17], off
	v_lshlrev_b64 v[14:15], 2, v[14:15]
	v_add_co_u32_e32 v14, vcc, v10, v14
	v_addc_co_u32_e32 v15, vcc, v7, v15, vcc
	global_load_dword v1, v[14:15], off
	v_ashrrev_i64 v[14:15], 29, v[4:5]
	v_ashrrev_i64 v[18:19], 30, v[4:5]
	v_add_co_u32_e32 v4, vcc, 0, v4
	v_addc_co_u32_e32 v5, vcc, v5, v12, vcc
	v_add_co_u32_e32 v14, vcc, s8, v14
	v_addc_co_u32_e32 v15, vcc, v9, v15, vcc
	;; [unrolled: 2-line block ×3, first 2 shown]
	v_add_u32_e32 v0, 16, v0
	v_cmp_le_i32_e32 vcc, s11, v0
	s_or_b64 s[4:5], vcc, s[4:5]
	s_waitcnt vmcnt(1)
	v_subrev_co_u32_e32 v13, vcc, s12, v16
	v_subb_co_u32_e32 v16, vcc, v17, v8, vcc
	v_mul_lo_u32 v20, v13, s3
	v_mul_lo_u32 v21, v16, s2
	v_mad_u64_u32 v[16:17], s[14:15], v13, s2, v[2:3]
	v_add3_u32 v17, v21, v17, v20
	s_waitcnt vmcnt(0)
	global_store_dword v[18:19], v1, off
	global_store_dwordx2 v[14:15], v[16:17], off
	s_andn2_b64 exec, exec, s[4:5]
	s_cbranch_execnz .LBB137_5
.LBB137_6:
	s_endpgm
	.section	.rodata,"a",@progbits
	.p2align	6, 0x0
	.amdhsa_kernel _ZN9rocsparseL33bsr2csr_block_per_row_8_32_kernelILj1024ELj8EfilEEv20rocsparse_direction_T3_S2_21rocsparse_index_base_PKT1_PKT2_PKS2_S2_S3_PS4_PS7_PS2_
		.amdhsa_group_segment_fixed_size 0
		.amdhsa_private_segment_fixed_size 0
		.amdhsa_kernarg_size 96
		.amdhsa_user_sgpr_count 6
		.amdhsa_user_sgpr_private_segment_buffer 1
		.amdhsa_user_sgpr_dispatch_ptr 0
		.amdhsa_user_sgpr_queue_ptr 0
		.amdhsa_user_sgpr_kernarg_segment_ptr 1
		.amdhsa_user_sgpr_dispatch_id 0
		.amdhsa_user_sgpr_flat_scratch_init 0
		.amdhsa_user_sgpr_kernarg_preload_length 0
		.amdhsa_user_sgpr_kernarg_preload_offset 0
		.amdhsa_user_sgpr_private_segment_size 0
		.amdhsa_uses_dynamic_stack 0
		.amdhsa_system_sgpr_private_segment_wavefront_offset 0
		.amdhsa_system_sgpr_workgroup_id_x 1
		.amdhsa_system_sgpr_workgroup_id_y 0
		.amdhsa_system_sgpr_workgroup_id_z 0
		.amdhsa_system_sgpr_workgroup_info 0
		.amdhsa_system_vgpr_workitem_id 0
		.amdhsa_next_free_vgpr 22
		.amdhsa_next_free_sgpr 21
		.amdhsa_accum_offset 24
		.amdhsa_reserve_vcc 1
		.amdhsa_reserve_flat_scratch 0
		.amdhsa_float_round_mode_32 0
		.amdhsa_float_round_mode_16_64 0
		.amdhsa_float_denorm_mode_32 3
		.amdhsa_float_denorm_mode_16_64 3
		.amdhsa_dx10_clamp 1
		.amdhsa_ieee_mode 1
		.amdhsa_fp16_overflow 0
		.amdhsa_tg_split 0
		.amdhsa_exception_fp_ieee_invalid_op 0
		.amdhsa_exception_fp_denorm_src 0
		.amdhsa_exception_fp_ieee_div_zero 0
		.amdhsa_exception_fp_ieee_overflow 0
		.amdhsa_exception_fp_ieee_underflow 0
		.amdhsa_exception_fp_ieee_inexact 0
		.amdhsa_exception_int_div_zero 0
	.end_amdhsa_kernel
	.section	.text._ZN9rocsparseL33bsr2csr_block_per_row_8_32_kernelILj1024ELj8EfilEEv20rocsparse_direction_T3_S2_21rocsparse_index_base_PKT1_PKT2_PKS2_S2_S3_PS4_PS7_PS2_,"axG",@progbits,_ZN9rocsparseL33bsr2csr_block_per_row_8_32_kernelILj1024ELj8EfilEEv20rocsparse_direction_T3_S2_21rocsparse_index_base_PKT1_PKT2_PKS2_S2_S3_PS4_PS7_PS2_,comdat
.Lfunc_end137:
	.size	_ZN9rocsparseL33bsr2csr_block_per_row_8_32_kernelILj1024ELj8EfilEEv20rocsparse_direction_T3_S2_21rocsparse_index_base_PKT1_PKT2_PKS2_S2_S3_PS4_PS7_PS2_, .Lfunc_end137-_ZN9rocsparseL33bsr2csr_block_per_row_8_32_kernelILj1024ELj8EfilEEv20rocsparse_direction_T3_S2_21rocsparse_index_base_PKT1_PKT2_PKS2_S2_S3_PS4_PS7_PS2_
                                        ; -- End function
	.section	.AMDGPU.csdata,"",@progbits
; Kernel info:
; codeLenInByte = 732
; NumSgprs: 25
; NumVgprs: 22
; NumAgprs: 0
; TotalNumVgprs: 22
; ScratchSize: 0
; MemoryBound: 0
; FloatMode: 240
; IeeeMode: 1
; LDSByteSize: 0 bytes/workgroup (compile time only)
; SGPRBlocks: 3
; VGPRBlocks: 2
; NumSGPRsForWavesPerEU: 25
; NumVGPRsForWavesPerEU: 22
; AccumOffset: 24
; Occupancy: 8
; WaveLimiterHint : 0
; COMPUTE_PGM_RSRC2:SCRATCH_EN: 0
; COMPUTE_PGM_RSRC2:USER_SGPR: 6
; COMPUTE_PGM_RSRC2:TRAP_HANDLER: 0
; COMPUTE_PGM_RSRC2:TGID_X_EN: 1
; COMPUTE_PGM_RSRC2:TGID_Y_EN: 0
; COMPUTE_PGM_RSRC2:TGID_Z_EN: 0
; COMPUTE_PGM_RSRC2:TIDIG_COMP_CNT: 0
; COMPUTE_PGM_RSRC3_GFX90A:ACCUM_OFFSET: 5
; COMPUTE_PGM_RSRC3_GFX90A:TG_SPLIT: 0
	.section	.text._ZN9rocsparseL33bsr2csr_block_per_row_8_32_kernelILj1024ELj16EfilEEv20rocsparse_direction_T3_S2_21rocsparse_index_base_PKT1_PKT2_PKS2_S2_S3_PS4_PS7_PS2_,"axG",@progbits,_ZN9rocsparseL33bsr2csr_block_per_row_8_32_kernelILj1024ELj16EfilEEv20rocsparse_direction_T3_S2_21rocsparse_index_base_PKT1_PKT2_PKS2_S2_S3_PS4_PS7_PS2_,comdat
	.globl	_ZN9rocsparseL33bsr2csr_block_per_row_8_32_kernelILj1024ELj16EfilEEv20rocsparse_direction_T3_S2_21rocsparse_index_base_PKT1_PKT2_PKS2_S2_S3_PS4_PS7_PS2_ ; -- Begin function _ZN9rocsparseL33bsr2csr_block_per_row_8_32_kernelILj1024ELj16EfilEEv20rocsparse_direction_T3_S2_21rocsparse_index_base_PKT1_PKT2_PKS2_S2_S3_PS4_PS7_PS2_
	.p2align	8
	.type	_ZN9rocsparseL33bsr2csr_block_per_row_8_32_kernelILj1024ELj16EfilEEv20rocsparse_direction_T3_S2_21rocsparse_index_base_PKT1_PKT2_PKS2_S2_S3_PS4_PS7_PS2_,@function
_ZN9rocsparseL33bsr2csr_block_per_row_8_32_kernelILj1024ELj16EfilEEv20rocsparse_direction_T3_S2_21rocsparse_index_base_PKT1_PKT2_PKS2_S2_S3_PS4_PS7_PS2_: ; @_ZN9rocsparseL33bsr2csr_block_per_row_8_32_kernelILj1024ELj16EfilEEv20rocsparse_direction_T3_S2_21rocsparse_index_base_PKT1_PKT2_PKS2_S2_S3_PS4_PS7_PS2_
; %bb.0:
	s_load_dwordx2 s[0:1], s[4:5], 0x28
	s_load_dword s14, s[4:5], 0x40
	s_load_dwordx2 s[8:9], s[4:5], 0x50
	s_mov_b32 s7, 0
	s_lshl_b64 s[2:3], s[6:7], 2
	s_waitcnt lgkmcnt(0)
	s_add_u32 s10, s0, s2
	v_or_b32_e32 v1, s6, v0
	s_addc_u32 s11, s1, s3
	v_cmp_eq_u32_e32 vcc, 0, v1
	s_and_saveexec_b64 s[0:1], vcc
	s_cbranch_execz .LBB138_2
; %bb.1:
	v_mov_b32_e32 v1, 0
	v_mov_b32_e32 v2, s14
	global_store_dword v1, v2, s[8:9]
.LBB138_2:
	s_or_b64 exec, exec, s[0:1]
	s_load_dwordx2 s[2:3], s[4:5], 0x38
	v_mov_b32_e32 v7, 0
	v_and_b32_e32 v6, 15, v0
	v_bfe_u32 v8, v0, 4, 4
	v_mov_b32_e32 v9, v7
	s_waitcnt lgkmcnt(0)
	v_cmp_gt_i64_e32 vcc, s[2:3], v[8:9]
	v_cmp_gt_i64_e64 s[0:1], s[2:3], v[6:7]
	s_and_b64 s[0:1], vcc, s[0:1]
	s_and_saveexec_b64 s[12:13], s[0:1]
	s_cbranch_execz .LBB138_6
; %bb.3:
	s_load_dwordx2 s[0:1], s[10:11], 0x0
	s_load_dword s12, s[4:5], 0x18
	s_mul_i32 s10, s2, s2
	v_lshrrev_b32_e32 v1, 8, v0
	v_lshlrev_b32_e32 v5, 2, v8
	s_waitcnt lgkmcnt(0)
	s_sub_i32 s15, s0, s12
	s_sub_i32 s11, s1, s12
	;; [unrolled: 1-line block ×3, first 2 shown]
	s_mul_i32 s1, s16, s2
	s_mul_i32 s0, s10, s15
	v_mul_lo_u32 v0, s1, v8
	s_add_i32 s1, s1, s14
	s_add_i32 s1, s1, s0
	v_add_u32_e32 v0, s1, v0
	s_mul_i32 s0, s6, s3
	s_mul_hi_u32 s1, s6, s2
	s_add_i32 s1, s1, s0
	s_mul_i32 s0, s6, s2
	s_lshl_b64 s[0:1], s[0:1], 2
	s_add_u32 s0, s8, s0
	s_addc_u32 s1, s9, s1
	global_store_dword v5, v0, s[0:1] offset:4
	v_add_u32_e32 v0, s15, v1
	v_cmp_gt_i32_e32 vcc, s11, v0
	s_and_b64 exec, exec, vcc
	s_cbranch_execz .LBB138_6
; %bb.4:
	s_mul_i32 s13, s2, s3
	s_mul_hi_u32 s17, s2, s2
	s_add_i32 s17, s17, s13
	s_load_dwordx2 s[0:1], s[4:5], 0x30
	s_load_dwordx2 s[6:7], s[4:5], 0x48
	;; [unrolled: 1-line block ×3, first 2 shown]
	s_add_i32 s13, s17, s13
	s_load_dwordx2 s[18:19], s[4:5], 0x20
	s_load_dword s17, s[4:5], 0x0
	v_mad_u64_u32 v[10:11], s[4:5], v6, s2, 0
	v_mov_b32_e32 v4, v11
	v_mad_u64_u32 v[12:13], s[4:5], v6, s3, v[4:5]
	v_mov_b32_e32 v11, v12
	v_add_co_u32_e32 v2, vcc, s14, v6
	v_lshlrev_b64 v[10:11], 2, v[10:11]
	v_addc_co_u32_e64 v3, s[4:5], 0, 0, vcc
	s_waitcnt lgkmcnt(0)
	v_mov_b32_e32 v7, s19
	v_add_co_u32_e32 v9, vcc, s18, v10
	v_addc_co_u32_e32 v10, vcc, v7, v11, vcc
	v_add_co_u32_e32 v5, vcc, v9, v5
	v_addc_co_u32_e32 v9, vcc, 0, v10, vcc
	v_mad_u64_u32 v[10:11], s[4:5], v8, s2, 0
	v_mov_b32_e32 v12, v11
	v_mad_u64_u32 v[12:13], s[4:5], v8, s3, v[12:13]
	v_mov_b32_e32 v11, v12
	v_lshlrev_b64 v[10:11], 2, v[10:11]
	v_add_co_u32_e32 v10, vcc, s18, v10
	v_addc_co_u32_e32 v7, vcc, v7, v11, vcc
	v_lshlrev_b32_e32 v11, 2, v6
	v_add_co_u32_e32 v10, vcc, v10, v11
	s_cmp_eq_u32 s17, 0
	v_addc_co_u32_e32 v7, vcc, 0, v7, vcc
	s_cselect_b64 vcc, -1, 0
	v_cndmask_b32_e32 v10, v5, v10, vcc
	s_mul_i32 s4, s2, s15
	v_mul_lo_u32 v5, s16, v8
	v_cndmask_b32_e32 v7, v9, v7, vcc
	v_add3_u32 v1, v1, s4, v5
	s_mov_b32 s20, 0
	v_mad_u64_u32 v[8:9], s[4:5], s2, v1, v[6:7]
	s_lshl_b32 s14, s2, 2
	v_mov_b32_e32 v4, 0
	v_mov_b32_e32 v5, v8
	s_mov_b64 s[4:5], 0
	v_mov_b32_e32 v6, s1
	v_mov_b32_e32 v8, s20
	;; [unrolled: 1-line block ×5, first 2 shown]
.LBB138_5:                              ; =>This Inner Loop Header: Depth=1
	v_ashrrev_i32_e32 v1, 31, v0
	v_lshlrev_b64 v[16:17], 3, v[0:1]
	v_mul_lo_u32 v13, s13, v0
	v_mad_u64_u32 v[14:15], s[14:15], s10, v0, 0
	v_mul_lo_u32 v1, s10, v1
	v_add_co_u32_e32 v16, vcc, s0, v16
	v_addc_co_u32_e32 v17, vcc, v6, v17, vcc
	v_add3_u32 v15, v15, v1, v13
	global_load_dwordx2 v[16:17], v[16:17], off
	v_lshlrev_b64 v[14:15], 2, v[14:15]
	v_add_co_u32_e32 v14, vcc, v10, v14
	v_addc_co_u32_e32 v15, vcc, v7, v15, vcc
	global_load_dword v1, v[14:15], off
	v_ashrrev_i64 v[14:15], 29, v[4:5]
	v_ashrrev_i64 v[18:19], 30, v[4:5]
	v_add_co_u32_e32 v4, vcc, 0, v4
	v_addc_co_u32_e32 v5, vcc, v5, v12, vcc
	v_add_co_u32_e32 v14, vcc, s8, v14
	v_addc_co_u32_e32 v15, vcc, v9, v15, vcc
	;; [unrolled: 2-line block ×3, first 2 shown]
	v_add_u32_e32 v0, 4, v0
	v_cmp_le_i32_e32 vcc, s11, v0
	s_or_b64 s[4:5], vcc, s[4:5]
	s_waitcnt vmcnt(1)
	v_subrev_co_u32_e32 v13, vcc, s12, v16
	v_subb_co_u32_e32 v16, vcc, v17, v8, vcc
	v_mul_lo_u32 v20, v13, s3
	v_mul_lo_u32 v21, v16, s2
	v_mad_u64_u32 v[16:17], s[14:15], v13, s2, v[2:3]
	v_add3_u32 v17, v21, v17, v20
	s_waitcnt vmcnt(0)
	global_store_dword v[18:19], v1, off
	global_store_dwordx2 v[14:15], v[16:17], off
	s_andn2_b64 exec, exec, s[4:5]
	s_cbranch_execnz .LBB138_5
.LBB138_6:
	s_endpgm
	.section	.rodata,"a",@progbits
	.p2align	6, 0x0
	.amdhsa_kernel _ZN9rocsparseL33bsr2csr_block_per_row_8_32_kernelILj1024ELj16EfilEEv20rocsparse_direction_T3_S2_21rocsparse_index_base_PKT1_PKT2_PKS2_S2_S3_PS4_PS7_PS2_
		.amdhsa_group_segment_fixed_size 0
		.amdhsa_private_segment_fixed_size 0
		.amdhsa_kernarg_size 96
		.amdhsa_user_sgpr_count 6
		.amdhsa_user_sgpr_private_segment_buffer 1
		.amdhsa_user_sgpr_dispatch_ptr 0
		.amdhsa_user_sgpr_queue_ptr 0
		.amdhsa_user_sgpr_kernarg_segment_ptr 1
		.amdhsa_user_sgpr_dispatch_id 0
		.amdhsa_user_sgpr_flat_scratch_init 0
		.amdhsa_user_sgpr_kernarg_preload_length 0
		.amdhsa_user_sgpr_kernarg_preload_offset 0
		.amdhsa_user_sgpr_private_segment_size 0
		.amdhsa_uses_dynamic_stack 0
		.amdhsa_system_sgpr_private_segment_wavefront_offset 0
		.amdhsa_system_sgpr_workgroup_id_x 1
		.amdhsa_system_sgpr_workgroup_id_y 0
		.amdhsa_system_sgpr_workgroup_id_z 0
		.amdhsa_system_sgpr_workgroup_info 0
		.amdhsa_system_vgpr_workitem_id 0
		.amdhsa_next_free_vgpr 22
		.amdhsa_next_free_sgpr 21
		.amdhsa_accum_offset 24
		.amdhsa_reserve_vcc 1
		.amdhsa_reserve_flat_scratch 0
		.amdhsa_float_round_mode_32 0
		.amdhsa_float_round_mode_16_64 0
		.amdhsa_float_denorm_mode_32 3
		.amdhsa_float_denorm_mode_16_64 3
		.amdhsa_dx10_clamp 1
		.amdhsa_ieee_mode 1
		.amdhsa_fp16_overflow 0
		.amdhsa_tg_split 0
		.amdhsa_exception_fp_ieee_invalid_op 0
		.amdhsa_exception_fp_denorm_src 0
		.amdhsa_exception_fp_ieee_div_zero 0
		.amdhsa_exception_fp_ieee_overflow 0
		.amdhsa_exception_fp_ieee_underflow 0
		.amdhsa_exception_fp_ieee_inexact 0
		.amdhsa_exception_int_div_zero 0
	.end_amdhsa_kernel
	.section	.text._ZN9rocsparseL33bsr2csr_block_per_row_8_32_kernelILj1024ELj16EfilEEv20rocsparse_direction_T3_S2_21rocsparse_index_base_PKT1_PKT2_PKS2_S2_S3_PS4_PS7_PS2_,"axG",@progbits,_ZN9rocsparseL33bsr2csr_block_per_row_8_32_kernelILj1024ELj16EfilEEv20rocsparse_direction_T3_S2_21rocsparse_index_base_PKT1_PKT2_PKS2_S2_S3_PS4_PS7_PS2_,comdat
.Lfunc_end138:
	.size	_ZN9rocsparseL33bsr2csr_block_per_row_8_32_kernelILj1024ELj16EfilEEv20rocsparse_direction_T3_S2_21rocsparse_index_base_PKT1_PKT2_PKS2_S2_S3_PS4_PS7_PS2_, .Lfunc_end138-_ZN9rocsparseL33bsr2csr_block_per_row_8_32_kernelILj1024ELj16EfilEEv20rocsparse_direction_T3_S2_21rocsparse_index_base_PKT1_PKT2_PKS2_S2_S3_PS4_PS7_PS2_
                                        ; -- End function
	.section	.AMDGPU.csdata,"",@progbits
; Kernel info:
; codeLenInByte = 732
; NumSgprs: 25
; NumVgprs: 22
; NumAgprs: 0
; TotalNumVgprs: 22
; ScratchSize: 0
; MemoryBound: 0
; FloatMode: 240
; IeeeMode: 1
; LDSByteSize: 0 bytes/workgroup (compile time only)
; SGPRBlocks: 3
; VGPRBlocks: 2
; NumSGPRsForWavesPerEU: 25
; NumVGPRsForWavesPerEU: 22
; AccumOffset: 24
; Occupancy: 8
; WaveLimiterHint : 0
; COMPUTE_PGM_RSRC2:SCRATCH_EN: 0
; COMPUTE_PGM_RSRC2:USER_SGPR: 6
; COMPUTE_PGM_RSRC2:TRAP_HANDLER: 0
; COMPUTE_PGM_RSRC2:TGID_X_EN: 1
; COMPUTE_PGM_RSRC2:TGID_Y_EN: 0
; COMPUTE_PGM_RSRC2:TGID_Z_EN: 0
; COMPUTE_PGM_RSRC2:TIDIG_COMP_CNT: 0
; COMPUTE_PGM_RSRC3_GFX90A:ACCUM_OFFSET: 5
; COMPUTE_PGM_RSRC3_GFX90A:TG_SPLIT: 0
	.section	.text._ZN9rocsparseL33bsr2csr_block_per_row_8_32_kernelILj1024ELj32EfilEEv20rocsparse_direction_T3_S2_21rocsparse_index_base_PKT1_PKT2_PKS2_S2_S3_PS4_PS7_PS2_,"axG",@progbits,_ZN9rocsparseL33bsr2csr_block_per_row_8_32_kernelILj1024ELj32EfilEEv20rocsparse_direction_T3_S2_21rocsparse_index_base_PKT1_PKT2_PKS2_S2_S3_PS4_PS7_PS2_,comdat
	.globl	_ZN9rocsparseL33bsr2csr_block_per_row_8_32_kernelILj1024ELj32EfilEEv20rocsparse_direction_T3_S2_21rocsparse_index_base_PKT1_PKT2_PKS2_S2_S3_PS4_PS7_PS2_ ; -- Begin function _ZN9rocsparseL33bsr2csr_block_per_row_8_32_kernelILj1024ELj32EfilEEv20rocsparse_direction_T3_S2_21rocsparse_index_base_PKT1_PKT2_PKS2_S2_S3_PS4_PS7_PS2_
	.p2align	8
	.type	_ZN9rocsparseL33bsr2csr_block_per_row_8_32_kernelILj1024ELj32EfilEEv20rocsparse_direction_T3_S2_21rocsparse_index_base_PKT1_PKT2_PKS2_S2_S3_PS4_PS7_PS2_,@function
_ZN9rocsparseL33bsr2csr_block_per_row_8_32_kernelILj1024ELj32EfilEEv20rocsparse_direction_T3_S2_21rocsparse_index_base_PKT1_PKT2_PKS2_S2_S3_PS4_PS7_PS2_: ; @_ZN9rocsparseL33bsr2csr_block_per_row_8_32_kernelILj1024ELj32EfilEEv20rocsparse_direction_T3_S2_21rocsparse_index_base_PKT1_PKT2_PKS2_S2_S3_PS4_PS7_PS2_
; %bb.0:
	s_load_dwordx2 s[0:1], s[4:5], 0x28
	s_load_dword s14, s[4:5], 0x40
	s_load_dwordx2 s[8:9], s[4:5], 0x50
	s_mov_b32 s7, 0
	s_lshl_b64 s[2:3], s[6:7], 2
	s_waitcnt lgkmcnt(0)
	s_add_u32 s10, s0, s2
	v_or_b32_e32 v1, s6, v0
	s_addc_u32 s11, s1, s3
	v_cmp_eq_u32_e32 vcc, 0, v1
	s_and_saveexec_b64 s[0:1], vcc
	s_cbranch_execz .LBB139_2
; %bb.1:
	v_mov_b32_e32 v1, 0
	v_mov_b32_e32 v2, s14
	global_store_dword v1, v2, s[8:9]
.LBB139_2:
	s_or_b64 exec, exec, s[0:1]
	s_load_dwordx2 s[2:3], s[4:5], 0x38
	v_mov_b32_e32 v5, 0
	v_and_b32_e32 v4, 31, v0
	v_lshrrev_b32_e32 v6, 5, v0
	v_mov_b32_e32 v7, v5
	s_waitcnt lgkmcnt(0)
	v_cmp_gt_i64_e32 vcc, s[2:3], v[6:7]
	v_cmp_gt_i64_e64 s[0:1], s[2:3], v[4:5]
	s_and_b64 s[0:1], vcc, s[0:1]
	s_and_saveexec_b64 s[12:13], s[0:1]
	s_cbranch_execz .LBB139_6
; %bb.3:
	s_load_dwordx2 s[16:17], s[10:11], 0x0
	s_load_dword s12, s[4:5], 0x18
	s_mul_i32 s10, s2, s2
	v_lshlrev_b32_e32 v3, 2, v6
	s_waitcnt lgkmcnt(0)
	s_sub_i32 s0, s16, s12
	s_sub_i32 s13, s17, s12
	;; [unrolled: 1-line block ×3, first 2 shown]
	s_mul_i32 s11, s1, s2
	s_mul_i32 s7, s10, s0
	v_mul_lo_u32 v0, s11, v6
	s_add_i32 s11, s11, s14
	s_add_i32 s11, s11, s7
	v_add_u32_e32 v0, s11, v0
	s_mul_i32 s7, s6, s3
	s_mul_hi_u32 s11, s6, s2
	s_add_i32 s7, s11, s7
	s_mul_i32 s6, s6, s2
	s_lshl_b64 s[6:7], s[6:7], 2
	s_add_u32 s6, s8, s6
	s_addc_u32 s7, s9, s7
	s_cmp_ge_i32 s16, s17
	global_store_dword v3, v0, s[6:7] offset:4
	s_cbranch_scc1 .LBB139_6
; %bb.4:
	s_mul_i32 s11, s2, s3
	s_mul_hi_u32 s15, s2, s2
	s_add_i32 s15, s15, s11
	s_load_dwordx2 s[16:17], s[4:5], 0x30
	s_load_dwordx2 s[6:7], s[4:5], 0x48
	;; [unrolled: 1-line block ×3, first 2 shown]
	s_add_i32 s11, s15, s11
	s_load_dwordx2 s[18:19], s[4:5], 0x20
	s_load_dword s15, s[4:5], 0x0
	v_mad_u64_u32 v[8:9], s[4:5], v4, s2, 0
	v_mov_b32_e32 v2, v9
	v_mad_u64_u32 v[10:11], s[4:5], v4, s3, v[2:3]
	v_mov_b32_e32 v9, v10
	v_add_co_u32_e32 v0, vcc, s14, v4
	v_lshlrev_b64 v[8:9], 2, v[8:9]
	v_addc_co_u32_e64 v1, s[4:5], 0, 0, vcc
	s_waitcnt lgkmcnt(0)
	v_mov_b32_e32 v5, s19
	v_add_co_u32_e32 v7, vcc, s18, v8
	v_addc_co_u32_e32 v8, vcc, v5, v9, vcc
	v_add_co_u32_e32 v3, vcc, v7, v3
	v_addc_co_u32_e32 v7, vcc, 0, v8, vcc
	v_mad_u64_u32 v[8:9], s[4:5], v6, s2, 0
	v_mov_b32_e32 v10, v9
	v_mad_u64_u32 v[10:11], s[4:5], v6, s3, v[10:11]
	v_mov_b32_e32 v9, v10
	v_lshlrev_b64 v[8:9], 2, v[8:9]
	v_add_co_u32_e32 v8, vcc, s18, v8
	v_addc_co_u32_e32 v5, vcc, v5, v9, vcc
	v_lshlrev_b32_e32 v9, 2, v4
	v_add_co_u32_e32 v8, vcc, v8, v9
	s_cmp_eq_u32 s15, 0
	v_addc_co_u32_e32 v5, vcc, 0, v5, vcc
	s_cselect_b64 vcc, -1, 0
	v_cndmask_b32_e32 v8, v3, v8, vcc
	s_mul_i32 s4, s2, s0
	v_mul_lo_u32 v3, v6, s1
	v_add_u32_e32 v3, s4, v3
	v_cndmask_b32_e32 v7, v7, v5, vcc
	v_mad_u64_u32 v[4:5], s[4:5], s2, v3, v[4:5]
	s_ashr_i32 s1, s0, 31
	s_lshl_b64 s[4:5], s[0:1], 3
	s_add_u32 s4, s16, s4
	s_mul_hi_u32 s14, s10, s0
	s_mul_i32 s1, s10, s1
	s_addc_u32 s5, s17, s5
	s_add_i32 s1, s14, s1
	s_mul_i32 s14, s11, s0
	s_add_i32 s15, s1, s14
	s_mul_i32 s14, s10, s0
	s_lshl_b64 s[14:15], s[14:15], 2
	v_mov_b32_e32 v3, v4
	v_mov_b32_e32 v5, s15
	v_add_co_u32_e32 v4, vcc, s14, v8
	s_lshl_b64 s[10:11], s[10:11], 2
	v_mov_b32_e32 v2, 0
	v_addc_co_u32_e32 v5, vcc, v7, v5, vcc
	v_mov_b32_e32 v6, s2
	v_mov_b32_e32 v7, s9
	;; [unrolled: 1-line block ×5, first 2 shown]
.LBB139_5:                              ; =>This Inner Loop Header: Depth=1
	global_load_dword v11, v[4:5], off
	s_load_dwordx2 s[14:15], s[4:5], 0x0
	v_ashrrev_i64 v[12:13], 29, v[2:3]
	v_ashrrev_i64 v[14:15], 30, v[2:3]
	v_add_co_u32_e32 v2, vcc, 0, v2
	v_addc_co_u32_e32 v3, vcc, v3, v9, vcc
	s_waitcnt lgkmcnt(0)
	s_sub_u32 s1, s14, s12
	v_add_co_u32_e32 v4, vcc, s10, v4
	s_subb_u32 s7, s15, 0
	v_addc_co_u32_e32 v5, vcc, v5, v10, vcc
	s_mul_i32 s9, s1, s3
	s_mul_i32 s7, s7, s2
	v_add_co_u32_e32 v12, vcc, s8, v12
	s_add_i32 s0, s0, 1
	s_add_i32 s9, s9, s7
	v_addc_co_u32_e32 v13, vcc, v7, v13, vcc
	s_add_u32 s4, s4, 8
	v_add_co_u32_e32 v14, vcc, s6, v14
	v_mad_u64_u32 v[16:17], s[14:15], s1, v6, v[0:1]
	s_addc_u32 s5, s5, 0
	v_addc_co_u32_e32 v15, vcc, v8, v15, vcc
	v_add_u32_e32 v17, s9, v17
	s_cmp_lt_i32 s0, s13
	global_store_dwordx2 v[12:13], v[16:17], off
	s_waitcnt vmcnt(1)
	global_store_dword v[14:15], v11, off
	s_cbranch_scc1 .LBB139_5
.LBB139_6:
	s_endpgm
	.section	.rodata,"a",@progbits
	.p2align	6, 0x0
	.amdhsa_kernel _ZN9rocsparseL33bsr2csr_block_per_row_8_32_kernelILj1024ELj32EfilEEv20rocsparse_direction_T3_S2_21rocsparse_index_base_PKT1_PKT2_PKS2_S2_S3_PS4_PS7_PS2_
		.amdhsa_group_segment_fixed_size 0
		.amdhsa_private_segment_fixed_size 0
		.amdhsa_kernarg_size 96
		.amdhsa_user_sgpr_count 6
		.amdhsa_user_sgpr_private_segment_buffer 1
		.amdhsa_user_sgpr_dispatch_ptr 0
		.amdhsa_user_sgpr_queue_ptr 0
		.amdhsa_user_sgpr_kernarg_segment_ptr 1
		.amdhsa_user_sgpr_dispatch_id 0
		.amdhsa_user_sgpr_flat_scratch_init 0
		.amdhsa_user_sgpr_kernarg_preload_length 0
		.amdhsa_user_sgpr_kernarg_preload_offset 0
		.amdhsa_user_sgpr_private_segment_size 0
		.amdhsa_uses_dynamic_stack 0
		.amdhsa_system_sgpr_private_segment_wavefront_offset 0
		.amdhsa_system_sgpr_workgroup_id_x 1
		.amdhsa_system_sgpr_workgroup_id_y 0
		.amdhsa_system_sgpr_workgroup_id_z 0
		.amdhsa_system_sgpr_workgroup_info 0
		.amdhsa_system_vgpr_workitem_id 0
		.amdhsa_next_free_vgpr 18
		.amdhsa_next_free_sgpr 20
		.amdhsa_accum_offset 20
		.amdhsa_reserve_vcc 1
		.amdhsa_reserve_flat_scratch 0
		.amdhsa_float_round_mode_32 0
		.amdhsa_float_round_mode_16_64 0
		.amdhsa_float_denorm_mode_32 3
		.amdhsa_float_denorm_mode_16_64 3
		.amdhsa_dx10_clamp 1
		.amdhsa_ieee_mode 1
		.amdhsa_fp16_overflow 0
		.amdhsa_tg_split 0
		.amdhsa_exception_fp_ieee_invalid_op 0
		.amdhsa_exception_fp_denorm_src 0
		.amdhsa_exception_fp_ieee_div_zero 0
		.amdhsa_exception_fp_ieee_overflow 0
		.amdhsa_exception_fp_ieee_underflow 0
		.amdhsa_exception_fp_ieee_inexact 0
		.amdhsa_exception_int_div_zero 0
	.end_amdhsa_kernel
	.section	.text._ZN9rocsparseL33bsr2csr_block_per_row_8_32_kernelILj1024ELj32EfilEEv20rocsparse_direction_T3_S2_21rocsparse_index_base_PKT1_PKT2_PKS2_S2_S3_PS4_PS7_PS2_,"axG",@progbits,_ZN9rocsparseL33bsr2csr_block_per_row_8_32_kernelILj1024ELj32EfilEEv20rocsparse_direction_T3_S2_21rocsparse_index_base_PKT1_PKT2_PKS2_S2_S3_PS4_PS7_PS2_,comdat
.Lfunc_end139:
	.size	_ZN9rocsparseL33bsr2csr_block_per_row_8_32_kernelILj1024ELj32EfilEEv20rocsparse_direction_T3_S2_21rocsparse_index_base_PKT1_PKT2_PKS2_S2_S3_PS4_PS7_PS2_, .Lfunc_end139-_ZN9rocsparseL33bsr2csr_block_per_row_8_32_kernelILj1024ELj32EfilEEv20rocsparse_direction_T3_S2_21rocsparse_index_base_PKT1_PKT2_PKS2_S2_S3_PS4_PS7_PS2_
                                        ; -- End function
	.section	.AMDGPU.csdata,"",@progbits
; Kernel info:
; codeLenInByte = 692
; NumSgprs: 24
; NumVgprs: 18
; NumAgprs: 0
; TotalNumVgprs: 18
; ScratchSize: 0
; MemoryBound: 0
; FloatMode: 240
; IeeeMode: 1
; LDSByteSize: 0 bytes/workgroup (compile time only)
; SGPRBlocks: 2
; VGPRBlocks: 2
; NumSGPRsForWavesPerEU: 24
; NumVGPRsForWavesPerEU: 18
; AccumOffset: 20
; Occupancy: 8
; WaveLimiterHint : 0
; COMPUTE_PGM_RSRC2:SCRATCH_EN: 0
; COMPUTE_PGM_RSRC2:USER_SGPR: 6
; COMPUTE_PGM_RSRC2:TRAP_HANDLER: 0
; COMPUTE_PGM_RSRC2:TGID_X_EN: 1
; COMPUTE_PGM_RSRC2:TGID_Y_EN: 0
; COMPUTE_PGM_RSRC2:TGID_Z_EN: 0
; COMPUTE_PGM_RSRC2:TIDIG_COMP_CNT: 0
; COMPUTE_PGM_RSRC3_GFX90A:ACCUM_OFFSET: 4
; COMPUTE_PGM_RSRC3_GFX90A:TG_SPLIT: 0
	.section	.text._ZN9rocsparseL35bsr2csr_block_per_row_33_256_kernelILj1024ELj64ELj32EfilEEv20rocsparse_direction_T4_S2_21rocsparse_index_base_PKT2_PKT3_PKS2_S2_S3_PS4_PS7_PS2_,"axG",@progbits,_ZN9rocsparseL35bsr2csr_block_per_row_33_256_kernelILj1024ELj64ELj32EfilEEv20rocsparse_direction_T4_S2_21rocsparse_index_base_PKT2_PKT3_PKS2_S2_S3_PS4_PS7_PS2_,comdat
	.globl	_ZN9rocsparseL35bsr2csr_block_per_row_33_256_kernelILj1024ELj64ELj32EfilEEv20rocsparse_direction_T4_S2_21rocsparse_index_base_PKT2_PKT3_PKS2_S2_S3_PS4_PS7_PS2_ ; -- Begin function _ZN9rocsparseL35bsr2csr_block_per_row_33_256_kernelILj1024ELj64ELj32EfilEEv20rocsparse_direction_T4_S2_21rocsparse_index_base_PKT2_PKT3_PKS2_S2_S3_PS4_PS7_PS2_
	.p2align	8
	.type	_ZN9rocsparseL35bsr2csr_block_per_row_33_256_kernelILj1024ELj64ELj32EfilEEv20rocsparse_direction_T4_S2_21rocsparse_index_base_PKT2_PKT3_PKS2_S2_S3_PS4_PS7_PS2_,@function
_ZN9rocsparseL35bsr2csr_block_per_row_33_256_kernelILj1024ELj64ELj32EfilEEv20rocsparse_direction_T4_S2_21rocsparse_index_base_PKT2_PKT3_PKS2_S2_S3_PS4_PS7_PS2_: ; @_ZN9rocsparseL35bsr2csr_block_per_row_33_256_kernelILj1024ELj64ELj32EfilEEv20rocsparse_direction_T4_S2_21rocsparse_index_base_PKT2_PKT3_PKS2_S2_S3_PS4_PS7_PS2_
; %bb.0:
	s_load_dwordx2 s[0:1], s[4:5], 0x28
	s_load_dword s26, s[4:5], 0x40
	s_load_dwordx2 s[2:3], s[4:5], 0x50
	s_mov_b32 s7, 0
	s_lshl_b64 s[8:9], s[6:7], 2
	s_waitcnt lgkmcnt(0)
	s_add_u32 s0, s0, s8
	s_addc_u32 s1, s1, s9
	s_load_dwordx2 s[0:1], s[0:1], 0x0
	v_or_b32_e32 v1, s6, v0
	v_cmp_eq_u32_e32 vcc, 0, v1
	s_and_saveexec_b64 s[8:9], vcc
	s_cbranch_execz .LBB140_2
; %bb.1:
	v_mov_b32_e32 v1, 0
	v_mov_b32_e32 v2, s26
	global_store_dword v1, v2, s[2:3]
.LBB140_2:
	s_or_b64 exec, exec, s[8:9]
	s_load_dword s27, s[4:5], 0x18
	s_load_dwordx2 s[8:9], s[4:5], 0x38
	v_mov_b32_e32 v3, 0
	v_lshrrev_b32_e32 v2, 5, v0
	v_lshlrev_b32_e32 v14, 2, v2
	s_waitcnt lgkmcnt(0)
	s_sub_i32 s10, s0, s27
	s_mul_i32 s7, s8, s9
	s_mul_hi_u32 s11, s8, s8
	s_sub_i32 s28, s1, s27
	s_add_i32 s11, s11, s7
	s_add_i32 s23, s11, s7
	s_sub_i32 s11, s28, s10
	s_mul_i32 s7, s6, s9
	s_mul_hi_u32 s12, s6, s8
	s_mul_i32 s16, s11, s8
	s_add_i32 s7, s12, s7
	s_mul_i32 s6, s6, s8
	s_add_i32 s15, s16, s26
	s_lshl_b64 s[6:7], s[6:7], 2
	s_mul_i32 s22, s8, s8
	s_add_u32 s6, s2, s6
	s_mul_i32 s14, s22, s10
	s_addc_u32 s7, s3, s7
	v_cmp_gt_i64_e32 vcc, s[8:9], v[2:3]
	s_and_saveexec_b64 s[2:3], vcc
	s_cbranch_execz .LBB140_4
; %bb.3:
	v_mul_lo_u32 v1, v2, s16
	s_add_i32 s12, s15, s14
	v_add_u32_e32 v1, s12, v1
	global_store_dword v14, v1, s[6:7] offset:4
.LBB140_4:
	s_or_b64 exec, exec, s[2:3]
	v_or_b32_e32 v4, 32, v2
	v_mov_b32_e32 v5, v3
	v_cmp_gt_i64_e64 s[2:3], s[8:9], v[4:5]
	s_and_saveexec_b64 s[12:13], s[2:3]
	s_cbranch_execz .LBB140_6
; %bb.5:
	s_add_u32 s6, s6, 4
	s_addc_u32 s7, s7, 0
	v_mul_lo_u32 v1, v4, s16
	s_add_i32 s15, s15, s14
	v_add_u32_e32 v1, s15, v1
	global_store_dword v14, v1, s[6:7] offset:128
.LBB140_6:
	s_or_b64 exec, exec, s[12:13]
	s_cmp_lt_i32 s0, s1
	s_cbranch_scc0 .LBB140_17
; %bb.7:
	s_load_dwordx2 s[24:25], s[4:5], 0x30
	s_load_dwordx2 s[12:13], s[4:5], 0x48
	s_load_dword s0, s[4:5], 0x0
	s_load_dwordx2 s[14:15], s[4:5], 0x20
	s_load_dwordx2 s[16:17], s[4:5], 0x58
	v_and_b32_e32 v0, 31, v0
	v_mov_b32_e32 v1, 0
	s_waitcnt lgkmcnt(0)
	s_cmp_eq_u32 s0, 0
	v_mul_lo_u32 v6, v2, s11
	v_or_b32_e32 v2, 32, v0
	v_mov_b32_e32 v3, v1
	s_cselect_b64 s[0:1], -1, 0
	v_cmp_gt_i64_e64 s[4:5], s[8:9], v[0:1]
	v_cmp_gt_i64_e64 s[6:7], s[8:9], v[2:3]
	v_mul_lo_u32 v3, v4, s11
	s_ashr_i32 s11, s10, 31
	s_and_b64 s[18:19], vcc, s[4:5]
	s_and_b64 s[20:21], vcc, s[6:7]
	s_and_b64 s[4:5], s[2:3], s[4:5]
	s_and_b64 s[2:3], s[2:3], s[6:7]
	s_lshl_b64 s[6:7], s[10:11], 3
	s_add_u32 s6, s24, s6
	s_mul_hi_u32 s24, s8, s10
	s_mul_i32 s11, s8, s11
	s_addc_u32 s7, s25, s7
	s_add_i32 s11, s24, s11
	s_mul_i32 s24, s9, s10
	s_mul_i32 s30, s8, s10
	s_add_i32 s31, s11, s24
	v_add_u32_e32 v6, s30, v6
	s_lshl_b64 s[24:25], s[30:31], 2
	v_mul_lo_u32 v7, s8, v6
	v_mov_b32_e32 v6, s25
	v_add_co_u32_e32 v10, vcc, s24, v14
	v_addc_co_u32_e32 v11, vcc, 0, v6, vcc
	s_movk_i32 s11, 0x80
	v_add_co_u32_e32 v8, vcc, s11, v10
	v_addc_co_u32_e32 v9, vcc, 0, v11, vcc
	v_lshlrev_b32_e32 v12, 2, v0
	v_mov_b32_e32 v13, v1
	v_add_u32_e32 v3, s30, v3
	v_mov_b32_e32 v4, v1
	v_mov_b32_e32 v15, v1
	v_mul_lo_u32 v1, s8, v9
	v_mul_lo_u32 v16, s9, v8
	v_mad_u64_u32 v[8:9], s[30:31], s8, v8, v[12:13]
	v_add3_u32 v9, v16, v9, v1
	v_mul_lo_u32 v1, s8, v11
	v_mul_lo_u32 v16, s9, v10
	v_mad_u64_u32 v[10:11], s[30:31], s8, v10, v[12:13]
	v_add3_u32 v11, v16, v11, v1
	v_add_co_u32_e32 v1, vcc, s24, v12
	v_addc_co_u32_e32 v6, vcc, 0, v6, vcc
	v_add_co_u32_e32 v12, vcc, s11, v1
	v_addc_co_u32_e32 v13, vcc, 0, v6, vcc
	v_mul_lo_u32 v16, s8, v13
	v_mul_lo_u32 v17, s9, v12
	v_mad_u64_u32 v[12:13], s[24:25], s8, v12, v[14:15]
	v_add3_u32 v13, v17, v13, v16
	v_mul_lo_u32 v6, s8, v6
	v_mul_lo_u32 v16, s9, v1
	v_mad_u64_u32 v[14:15], s[24:25], s8, v1, v[14:15]
	v_add3_u32 v15, v16, v15, v6
	v_mul_lo_u32 v3, s8, v3
	v_mov_b32_e32 v5, v0
	s_mov_b32 s29, s8
	s_lshl_b64 s[22:23], s[22:23], 2
	v_cndmask_b32_e64 v1, v15, v11, s[0:1]
	v_cndmask_b32_e64 v6, v14, v10, s[0:1]
	s_branch .LBB140_9
.LBB140_8:                              ;   in Loop: Header=BB140_9 Depth=1
	s_or_b64 exec, exec, s[24:25]
	s_add_i32 s10, s10, 1
	s_add_u32 s6, s6, 8
	s_addc_u32 s7, s7, 0
	s_add_u32 s14, s14, s22
	v_mov_b32_e32 v16, s29
	s_addc_u32 s15, s15, s23
	v_add_co_u32_e32 v4, vcc, 0, v4
	s_cmp_ge_i32 s10, s28
	v_addc_co_u32_e32 v5, vcc, v5, v16, vcc
	s_cbranch_scc1 .LBB140_17
.LBB140_9:                              ; =>This Inner Loop Header: Depth=1
	s_load_dwordx2 s[24:25], s[6:7], 0x0
	s_waitcnt lgkmcnt(0)
	s_sub_u32 s24, s24, s27
	s_subb_u32 s25, s25, 0
	s_mul_i32 s30, s24, s9
	s_mul_hi_u32 s31, s24, s8
	s_add_i32 s30, s31, s30
	s_mul_i32 s25, s25, s8
	s_add_i32 s25, s30, s25
	s_mul_i32 s24, s24, s8
	s_add_u32 s30, s24, s26
	s_addc_u32 s31, s25, 0
	s_and_saveexec_b64 s[24:25], s[18:19]
	s_cbranch_execnz .LBB140_13
; %bb.10:                               ;   in Loop: Header=BB140_9 Depth=1
	s_or_b64 exec, exec, s[24:25]
	s_and_saveexec_b64 s[24:25], s[20:21]
	s_cbranch_execnz .LBB140_14
.LBB140_11:                             ;   in Loop: Header=BB140_9 Depth=1
	s_or_b64 exec, exec, s[24:25]
	s_and_saveexec_b64 s[24:25], s[4:5]
	s_cbranch_execnz .LBB140_15
.LBB140_12:                             ;   in Loop: Header=BB140_9 Depth=1
	s_or_b64 exec, exec, s[24:25]
	s_and_saveexec_b64 s[24:25], s[2:3]
	s_cbranch_execz .LBB140_8
	s_branch .LBB140_16
.LBB140_13:                             ;   in Loop: Header=BB140_9 Depth=1
	v_mov_b32_e32 v17, s15
	v_add_co_u32_e32 v16, vcc, s14, v6
	v_addc_co_u32_e32 v17, vcc, v17, v1, vcc
	global_load_dword v22, v[16:17], off
	v_mov_b32_e32 v17, s31
	v_add_co_u32_e32 v16, vcc, s30, v0
	v_addc_co_u32_e32 v17, vcc, 0, v17, vcc
	v_add_co_u32_e32 v18, vcc, 0, v4
	v_addc_co_u32_e32 v19, vcc, v7, v5, vcc
	v_ashrrev_i64 v[20:21], 29, v[18:19]
	v_mov_b32_e32 v23, s17
	v_add_co_u32_e32 v20, vcc, s16, v20
	v_addc_co_u32_e32 v21, vcc, v23, v21, vcc
	global_store_dwordx2 v[20:21], v[16:17], off
	v_ashrrev_i64 v[16:17], 30, v[18:19]
	v_mov_b32_e32 v18, s13
	v_add_co_u32_e32 v16, vcc, s12, v16
	v_addc_co_u32_e32 v17, vcc, v18, v17, vcc
	s_waitcnt vmcnt(1)
	global_store_dword v[16:17], v22, off
	s_or_b64 exec, exec, s[24:25]
	s_and_saveexec_b64 s[24:25], s[20:21]
	s_cbranch_execz .LBB140_11
.LBB140_14:                             ;   in Loop: Header=BB140_9 Depth=1
	v_mov_b32_e32 v16, s15
	v_add_co_u32_e32 v17, vcc, s14, v10
	v_addc_co_u32_e32 v18, vcc, v16, v11, vcc
	v_add_co_u32_e32 v19, vcc, s11, v17
	v_addc_co_u32_e32 v17, vcc, 0, v18, vcc
	;; [unrolled: 2-line block ×3, first 2 shown]
	v_cndmask_b32_e64 v17, v16, v17, s[0:1]
	v_cndmask_b32_e64 v16, v18, v19, s[0:1]
	global_load_dword v22, v[16:17], off
	v_mov_b32_e32 v17, s31
	v_add_co_u32_e32 v16, vcc, s30, v2
	v_addc_co_u32_e32 v17, vcc, 0, v17, vcc
	v_add_co_u32_e32 v18, vcc, 0, v4
	v_addc_co_u32_e32 v19, vcc, v7, v5, vcc
	;; [unrolled: 2-line block ×3, first 2 shown]
	v_ashrrev_i64 v[20:21], 29, v[18:19]
	v_mov_b32_e32 v23, s17
	v_add_co_u32_e32 v20, vcc, s16, v20
	v_addc_co_u32_e32 v21, vcc, v23, v21, vcc
	global_store_dwordx2 v[20:21], v[16:17], off
	v_ashrrev_i64 v[16:17], 30, v[18:19]
	v_mov_b32_e32 v18, s13
	v_add_co_u32_e32 v16, vcc, s12, v16
	v_addc_co_u32_e32 v17, vcc, v18, v17, vcc
	s_waitcnt vmcnt(1)
	global_store_dword v[16:17], v22, off
	s_or_b64 exec, exec, s[24:25]
	s_and_saveexec_b64 s[24:25], s[4:5]
	s_cbranch_execz .LBB140_12
.LBB140_15:                             ;   in Loop: Header=BB140_9 Depth=1
	v_mov_b32_e32 v16, s15
	v_add_co_u32_e32 v18, vcc, s14, v8
	v_addc_co_u32_e32 v17, vcc, v16, v9, vcc
	v_add_co_u32_e32 v19, vcc, s14, v14
	v_addc_co_u32_e32 v16, vcc, v16, v15, vcc
	;; [unrolled: 2-line block ×3, first 2 shown]
	v_cndmask_b32_e64 v17, v16, v17, s[0:1]
	v_cndmask_b32_e64 v16, v19, v18, s[0:1]
	global_load_dword v22, v[16:17], off
	v_mov_b32_e32 v17, s31
	v_add_co_u32_e32 v16, vcc, s30, v0
	v_addc_co_u32_e32 v17, vcc, 0, v17, vcc
	v_add_co_u32_e32 v18, vcc, 0, v4
	v_addc_co_u32_e32 v19, vcc, v3, v5, vcc
	v_ashrrev_i64 v[20:21], 29, v[18:19]
	v_mov_b32_e32 v23, s17
	v_add_co_u32_e32 v20, vcc, s16, v20
	v_addc_co_u32_e32 v21, vcc, v23, v21, vcc
	global_store_dwordx2 v[20:21], v[16:17], off
	v_ashrrev_i64 v[16:17], 30, v[18:19]
	v_mov_b32_e32 v18, s13
	v_add_co_u32_e32 v16, vcc, s12, v16
	v_addc_co_u32_e32 v17, vcc, v18, v17, vcc
	s_waitcnt vmcnt(1)
	global_store_dword v[16:17], v22, off
	s_or_b64 exec, exec, s[24:25]
	s_and_saveexec_b64 s[24:25], s[2:3]
	s_cbranch_execz .LBB140_8
.LBB140_16:                             ;   in Loop: Header=BB140_9 Depth=1
	v_cndmask_b32_e64 v16, v12, v8, s[0:1]
	v_cndmask_b32_e64 v17, v13, v9, s[0:1]
	v_mov_b32_e32 v18, s15
	v_add_co_u32_e32 v16, vcc, s14, v16
	v_addc_co_u32_e32 v17, vcc, v18, v17, vcc
	global_load_dword v22, v[16:17], off offset:128
	v_mov_b32_e32 v17, s31
	v_add_co_u32_e32 v16, vcc, s30, v2
	v_addc_co_u32_e32 v17, vcc, 0, v17, vcc
	v_add_co_u32_e32 v18, vcc, 0, v4
	v_addc_co_u32_e32 v19, vcc, v3, v5, vcc
	;; [unrolled: 2-line block ×3, first 2 shown]
	v_ashrrev_i64 v[20:21], 29, v[18:19]
	v_mov_b32_e32 v23, s17
	v_add_co_u32_e32 v20, vcc, s16, v20
	v_addc_co_u32_e32 v21, vcc, v23, v21, vcc
	global_store_dwordx2 v[20:21], v[16:17], off
	v_ashrrev_i64 v[16:17], 30, v[18:19]
	v_mov_b32_e32 v18, s13
	v_add_co_u32_e32 v16, vcc, s12, v16
	v_addc_co_u32_e32 v17, vcc, v18, v17, vcc
	s_waitcnt vmcnt(1)
	global_store_dword v[16:17], v22, off
	s_branch .LBB140_8
.LBB140_17:
	s_endpgm
	.section	.rodata,"a",@progbits
	.p2align	6, 0x0
	.amdhsa_kernel _ZN9rocsparseL35bsr2csr_block_per_row_33_256_kernelILj1024ELj64ELj32EfilEEv20rocsparse_direction_T4_S2_21rocsparse_index_base_PKT2_PKT3_PKS2_S2_S3_PS4_PS7_PS2_
		.amdhsa_group_segment_fixed_size 0
		.amdhsa_private_segment_fixed_size 0
		.amdhsa_kernarg_size 96
		.amdhsa_user_sgpr_count 6
		.amdhsa_user_sgpr_private_segment_buffer 1
		.amdhsa_user_sgpr_dispatch_ptr 0
		.amdhsa_user_sgpr_queue_ptr 0
		.amdhsa_user_sgpr_kernarg_segment_ptr 1
		.amdhsa_user_sgpr_dispatch_id 0
		.amdhsa_user_sgpr_flat_scratch_init 0
		.amdhsa_user_sgpr_kernarg_preload_length 0
		.amdhsa_user_sgpr_kernarg_preload_offset 0
		.amdhsa_user_sgpr_private_segment_size 0
		.amdhsa_uses_dynamic_stack 0
		.amdhsa_system_sgpr_private_segment_wavefront_offset 0
		.amdhsa_system_sgpr_workgroup_id_x 1
		.amdhsa_system_sgpr_workgroup_id_y 0
		.amdhsa_system_sgpr_workgroup_id_z 0
		.amdhsa_system_sgpr_workgroup_info 0
		.amdhsa_system_vgpr_workitem_id 0
		.amdhsa_next_free_vgpr 24
		.amdhsa_next_free_sgpr 32
		.amdhsa_accum_offset 24
		.amdhsa_reserve_vcc 1
		.amdhsa_reserve_flat_scratch 0
		.amdhsa_float_round_mode_32 0
		.amdhsa_float_round_mode_16_64 0
		.amdhsa_float_denorm_mode_32 3
		.amdhsa_float_denorm_mode_16_64 3
		.amdhsa_dx10_clamp 1
		.amdhsa_ieee_mode 1
		.amdhsa_fp16_overflow 0
		.amdhsa_tg_split 0
		.amdhsa_exception_fp_ieee_invalid_op 0
		.amdhsa_exception_fp_denorm_src 0
		.amdhsa_exception_fp_ieee_div_zero 0
		.amdhsa_exception_fp_ieee_overflow 0
		.amdhsa_exception_fp_ieee_underflow 0
		.amdhsa_exception_fp_ieee_inexact 0
		.amdhsa_exception_int_div_zero 0
	.end_amdhsa_kernel
	.section	.text._ZN9rocsparseL35bsr2csr_block_per_row_33_256_kernelILj1024ELj64ELj32EfilEEv20rocsparse_direction_T4_S2_21rocsparse_index_base_PKT2_PKT3_PKS2_S2_S3_PS4_PS7_PS2_,"axG",@progbits,_ZN9rocsparseL35bsr2csr_block_per_row_33_256_kernelILj1024ELj64ELj32EfilEEv20rocsparse_direction_T4_S2_21rocsparse_index_base_PKT2_PKT3_PKS2_S2_S3_PS4_PS7_PS2_,comdat
.Lfunc_end140:
	.size	_ZN9rocsparseL35bsr2csr_block_per_row_33_256_kernelILj1024ELj64ELj32EfilEEv20rocsparse_direction_T4_S2_21rocsparse_index_base_PKT2_PKT3_PKS2_S2_S3_PS4_PS7_PS2_, .Lfunc_end140-_ZN9rocsparseL35bsr2csr_block_per_row_33_256_kernelILj1024ELj64ELj32EfilEEv20rocsparse_direction_T4_S2_21rocsparse_index_base_PKT2_PKT3_PKS2_S2_S3_PS4_PS7_PS2_
                                        ; -- End function
	.section	.AMDGPU.csdata,"",@progbits
; Kernel info:
; codeLenInByte = 1388
; NumSgprs: 36
; NumVgprs: 24
; NumAgprs: 0
; TotalNumVgprs: 24
; ScratchSize: 0
; MemoryBound: 0
; FloatMode: 240
; IeeeMode: 1
; LDSByteSize: 0 bytes/workgroup (compile time only)
; SGPRBlocks: 4
; VGPRBlocks: 2
; NumSGPRsForWavesPerEU: 36
; NumVGPRsForWavesPerEU: 24
; AccumOffset: 24
; Occupancy: 8
; WaveLimiterHint : 1
; COMPUTE_PGM_RSRC2:SCRATCH_EN: 0
; COMPUTE_PGM_RSRC2:USER_SGPR: 6
; COMPUTE_PGM_RSRC2:TRAP_HANDLER: 0
; COMPUTE_PGM_RSRC2:TGID_X_EN: 1
; COMPUTE_PGM_RSRC2:TGID_Y_EN: 0
; COMPUTE_PGM_RSRC2:TGID_Z_EN: 0
; COMPUTE_PGM_RSRC2:TIDIG_COMP_CNT: 0
; COMPUTE_PGM_RSRC3_GFX90A:ACCUM_OFFSET: 5
; COMPUTE_PGM_RSRC3_GFX90A:TG_SPLIT: 0
	.section	.text._ZN9rocsparseL35bsr2csr_block_per_row_33_256_kernelILj1024ELj128ELj32EfilEEv20rocsparse_direction_T4_S2_21rocsparse_index_base_PKT2_PKT3_PKS2_S2_S3_PS4_PS7_PS2_,"axG",@progbits,_ZN9rocsparseL35bsr2csr_block_per_row_33_256_kernelILj1024ELj128ELj32EfilEEv20rocsparse_direction_T4_S2_21rocsparse_index_base_PKT2_PKT3_PKS2_S2_S3_PS4_PS7_PS2_,comdat
	.globl	_ZN9rocsparseL35bsr2csr_block_per_row_33_256_kernelILj1024ELj128ELj32EfilEEv20rocsparse_direction_T4_S2_21rocsparse_index_base_PKT2_PKT3_PKS2_S2_S3_PS4_PS7_PS2_ ; -- Begin function _ZN9rocsparseL35bsr2csr_block_per_row_33_256_kernelILj1024ELj128ELj32EfilEEv20rocsparse_direction_T4_S2_21rocsparse_index_base_PKT2_PKT3_PKS2_S2_S3_PS4_PS7_PS2_
	.p2align	8
	.type	_ZN9rocsparseL35bsr2csr_block_per_row_33_256_kernelILj1024ELj128ELj32EfilEEv20rocsparse_direction_T4_S2_21rocsparse_index_base_PKT2_PKT3_PKS2_S2_S3_PS4_PS7_PS2_,@function
_ZN9rocsparseL35bsr2csr_block_per_row_33_256_kernelILj1024ELj128ELj32EfilEEv20rocsparse_direction_T4_S2_21rocsparse_index_base_PKT2_PKT3_PKS2_S2_S3_PS4_PS7_PS2_: ; @_ZN9rocsparseL35bsr2csr_block_per_row_33_256_kernelILj1024ELj128ELj32EfilEEv20rocsparse_direction_T4_S2_21rocsparse_index_base_PKT2_PKT3_PKS2_S2_S3_PS4_PS7_PS2_
; %bb.0:
	s_load_dwordx2 s[0:1], s[4:5], 0x28
	s_load_dword s33, s[4:5], 0x40
	s_load_dwordx2 s[2:3], s[4:5], 0x50
	s_mov_b32 s7, 0
	s_lshl_b64 s[8:9], s[6:7], 2
	s_waitcnt lgkmcnt(0)
	s_add_u32 s0, s0, s8
	s_addc_u32 s1, s1, s9
	s_load_dwordx2 s[0:1], s[0:1], 0x0
	v_or_b32_e32 v1, s6, v0
	v_cmp_eq_u32_e32 vcc, 0, v1
	s_and_saveexec_b64 s[8:9], vcc
	s_cbranch_execz .LBB141_2
; %bb.1:
	v_mov_b32_e32 v1, 0
	v_mov_b32_e32 v2, s33
	global_store_dword v1, v2, s[2:3]
.LBB141_2:
	s_or_b64 exec, exec, s[8:9]
	s_load_dword s52, s[4:5], 0x18
	s_load_dwordx2 s[16:17], s[4:5], 0x38
	v_mov_b32_e32 v9, 0
	v_lshrrev_b32_e32 v8, 5, v0
	v_lshlrev_b32_e32 v30, 2, v8
	s_waitcnt lgkmcnt(0)
	s_sub_i32 s18, s0, s52
	s_mul_i32 s7, s16, s17
	s_mul_hi_u32 s8, s16, s16
	s_sub_i32 s53, s1, s52
	s_add_i32 s8, s8, s7
	s_add_i32 s49, s8, s7
	s_sub_i32 s19, s53, s18
	s_mul_i32 s7, s6, s17
	s_mul_hi_u32 s8, s6, s16
	s_mul_i32 s20, s19, s16
	s_add_i32 s7, s8, s7
	s_mul_i32 s6, s6, s16
	s_add_i32 s15, s20, s33
	s_lshl_b64 s[6:7], s[6:7], 2
	s_mul_i32 s48, s16, s16
	s_add_u32 s2, s2, s6
	s_mul_i32 s14, s48, s18
	s_addc_u32 s3, s3, s7
	v_cmp_gt_i64_e32 vcc, s[16:17], v[8:9]
	s_and_saveexec_b64 s[6:7], vcc
	s_cbranch_execz .LBB141_4
; %bb.3:
	v_mul_lo_u32 v1, v8, s20
	s_add_i32 s8, s15, s14
	v_add_u32_e32 v1, s8, v1
	global_store_dword v30, v1, s[2:3] offset:4
.LBB141_4:
	s_or_b64 exec, exec, s[6:7]
	s_add_u32 s10, s2, 4
	v_or_b32_e32 v12, 32, v8
	v_mov_b32_e32 v13, v9
	s_addc_u32 s11, s3, 0
	v_cmp_gt_i64_e64 s[2:3], s[16:17], v[12:13]
	s_and_saveexec_b64 s[6:7], s[2:3]
	s_cbranch_execz .LBB141_6
; %bb.5:
	v_mul_lo_u32 v1, v12, s20
	s_add_i32 s8, s15, s14
	v_add_u32_e32 v1, s8, v1
	global_store_dword v30, v1, s[10:11] offset:128
.LBB141_6:
	s_or_b64 exec, exec, s[6:7]
	v_or_b32_e32 v10, 64, v8
	v_mov_b32_e32 v11, v9
	v_cmp_gt_i64_e64 s[6:7], s[16:17], v[10:11]
	s_and_saveexec_b64 s[8:9], s[6:7]
	s_cbranch_execz .LBB141_8
; %bb.7:
	v_mul_lo_u32 v1, v10, s20
	s_add_i32 s12, s15, s14
	v_add_u32_e32 v1, s12, v1
	global_store_dword v30, v1, s[10:11] offset:256
.LBB141_8:
	s_or_b64 exec, exec, s[8:9]
	v_or_b32_e32 v2, 0x60, v8
	v_mov_b32_e32 v3, v9
	v_cmp_gt_i64_e64 s[8:9], s[16:17], v[2:3]
	s_and_saveexec_b64 s[12:13], s[8:9]
	s_cbranch_execz .LBB141_10
; %bb.9:
	v_mul_lo_u32 v1, v2, s20
	s_add_i32 s15, s15, s14
	v_add_u32_e32 v1, s15, v1
	global_store_dword v30, v1, s[10:11] offset:384
.LBB141_10:
	s_or_b64 exec, exec, s[12:13]
	s_cmp_lt_i32 s0, s1
	s_cbranch_scc0 .LBB141_45
; %bb.11:
	s_load_dwordx2 s[50:51], s[4:5], 0x30
	s_load_dwordx2 s[20:21], s[4:5], 0x48
	s_load_dword s0, s[4:5], 0x0
	s_load_dwordx2 s[22:23], s[4:5], 0x20
	s_load_dwordx2 s[24:25], s[4:5], 0x58
	v_and_b32_e32 v0, 31, v0
	v_mov_b32_e32 v1, 0
	v_or_b32_e32 v4, 64, v0
	v_mov_b32_e32 v5, v1
	s_waitcnt lgkmcnt(0)
	s_cmp_eq_u32 s0, 0
	v_or_b32_e32 v2, 32, v0
	v_mov_b32_e32 v3, v1
	v_cmp_gt_i64_e64 s[12:13], s[16:17], v[4:5]
	v_or_b32_e32 v6, 0x60, v0
	v_mov_b32_e32 v7, v1
	v_or_b32_e32 v5, 0x60, v8
	s_cselect_b64 s[0:1], -1, 0
	v_mul_lo_u32 v11, v8, s19
	v_cmp_gt_i64_e64 s[4:5], s[16:17], v[0:1]
	v_cmp_gt_i64_e64 s[10:11], s[16:17], v[2:3]
	;; [unrolled: 1-line block ×3, first 2 shown]
	v_mul_lo_u32 v5, v5, s19
	v_mul_lo_u32 v7, v10, s19
	;; [unrolled: 1-line block ×3, first 2 shown]
	s_ashr_i32 s19, s18, 31
	s_and_b64 s[26:27], vcc, s[4:5]
	s_and_b64 s[28:29], vcc, s[10:11]
	;; [unrolled: 1-line block ×4, first 2 shown]
	s_and_b64 s[36:37], s[2:3], s[4:5]
	s_and_b64 s[38:39], s[2:3], s[10:11]
	s_and_b64 s[40:41], s[2:3], s[12:13]
	s_and_b64 s[2:3], s[2:3], s[14:15]
	s_and_b64 s[42:43], s[6:7], s[4:5]
	s_and_b64 s[44:45], s[6:7], s[10:11]
	s_and_b64 s[46:47], s[6:7], s[12:13]
	s_and_b64 s[6:7], s[6:7], s[14:15]
	s_and_b64 s[4:5], s[8:9], s[4:5]
	s_and_b64 s[10:11], s[8:9], s[10:11]
	s_and_b64 s[12:13], s[8:9], s[12:13]
	s_and_b64 s[8:9], s[8:9], s[14:15]
	s_lshl_b64 s[14:15], s[18:19], 3
	s_mul_i32 s56, s16, s18
	s_add_u32 s14, s50, s14
	s_mul_hi_u32 s50, s16, s18
	s_mul_i32 s19, s16, s19
	v_add_u32_e32 v5, s56, v5
	s_addc_u32 s15, s51, s15
	s_add_i32 s19, s50, s19
	s_mul_i32 s50, s17, s18
	v_mul_lo_u32 v5, s16, v5
	v_mov_b32_e32 v13, 0x60
	v_add_co_u32_e64 v8, vcc, 0, 0
	s_add_i32 s57, s19, s50
	v_addc_co_u32_e32 v5, vcc, v5, v13, vcc
	s_lshl_b64 s[50:51], s[56:57], 2
	v_mov_b32_e32 v15, s51
	v_add_co_u32_e32 v22, vcc, s50, v30
	v_addc_co_u32_e32 v23, vcc, 0, v15, vcc
	s_movk_i32 s19, 0x180
	v_add_co_u32_e32 v16, vcc, s19, v22
	v_addc_co_u32_e32 v17, vcc, 0, v23, vcc
	v_lshlrev_b32_e32 v24, 2, v0
	v_mov_b32_e32 v25, v1
	v_add_u32_e32 v7, s56, v7
	v_mov_b32_e32 v10, v1
	v_add_u32_e32 v9, s56, v9
	;; [unrolled: 2-line block ×3, first 2 shown]
	v_mov_b32_e32 v14, v1
	v_mov_b32_e32 v31, v1
	v_mul_lo_u32 v1, s16, v17
	v_mul_lo_u32 v18, s17, v16
	v_mad_u64_u32 v[16:17], s[56:57], s16, v16, v[24:25]
	s_movk_i32 s55, 0x100
	v_add3_u32 v17, v18, v17, v1
	v_add_co_u32_e32 v1, vcc, s55, v22
	v_addc_co_u32_e32 v18, vcc, 0, v23, vcc
	v_mul_lo_u32 v20, s16, v18
	v_mad_u64_u32 v[18:19], s[56:57], s16, v1, v[24:25]
	s_movk_i32 s56, 0x80
	v_mul_lo_u32 v21, s17, v1
	v_add_co_u32_e32 v1, vcc, s56, v22
	v_add3_u32 v19, v21, v19, v20
	v_addc_co_u32_e32 v20, vcc, 0, v23, vcc
	v_mul_lo_u32 v26, s16, v20
	v_mul_lo_u32 v27, s17, v1
	v_mad_u64_u32 v[20:21], s[58:59], s16, v1, v[24:25]
	v_add3_u32 v21, v27, v21, v26
	v_mul_lo_u32 v1, s16, v23
	v_mul_lo_u32 v26, s17, v22
	v_mad_u64_u32 v[22:23], s[58:59], s16, v22, v[24:25]
	v_add3_u32 v23, v26, v23, v1
	v_add_co_u32_e32 v1, vcc, s50, v24
	v_addc_co_u32_e32 v15, vcc, 0, v15, vcc
	v_add_co_u32_e32 v24, vcc, s19, v1
	v_addc_co_u32_e32 v25, vcc, 0, v15, vcc
	v_mul_lo_u32 v26, s16, v25
	v_mul_lo_u32 v27, s17, v24
	v_mad_u64_u32 v[24:25], s[50:51], s16, v24, v[30:31]
	v_add3_u32 v25, v27, v25, v26
	v_add_co_u32_e32 v26, vcc, s55, v1
	v_addc_co_u32_e32 v27, vcc, 0, v15, vcc
	v_mul_lo_u32 v28, s16, v27
	v_mul_lo_u32 v29, s17, v26
	v_mad_u64_u32 v[26:27], s[50:51], s16, v26, v[30:31]
	v_add3_u32 v27, v29, v27, v28
	;; [unrolled: 6-line block ×3, first 2 shown]
	v_mul_lo_u32 v15, s16, v15
	v_mul_lo_u32 v32, s17, v1
	v_mad_u64_u32 v[30:31], s[50:51], s16, v1, v[30:31]
	v_mov_b32_e32 v3, v0
	s_mov_b32 s54, s16
	v_mul_lo_u32 v7, s16, v7
	v_mul_lo_u32 v9, s16, v9
	;; [unrolled: 1-line block ×3, first 2 shown]
	s_lshl_b64 s[48:49], s[48:49], 2
	v_add3_u32 v31, v32, v31, v15
	v_mov_b32_e32 v1, 0xffffffa0
	v_not_b32_e32 v15, 63
	v_not_b32_e32 v32, 31
	s_branch .LBB141_13
.LBB141_12:                             ;   in Loop: Header=BB141_13 Depth=1
	s_or_b64 exec, exec, s[50:51]
	v_mov_b32_e32 v33, s54
	v_add_co_u32_e32 v8, vcc, 0, v8
	v_addc_co_u32_e32 v5, vcc, v5, v33, vcc
	s_add_i32 s18, s18, 1
	v_add_co_u32_e32 v10, vcc, 0, v10
	v_addc_co_u32_e32 v7, vcc, v7, v33, vcc
	s_add_u32 s14, s14, 8
	v_add_co_u32_e32 v12, vcc, 0, v12
	s_addc_u32 s15, s15, 0
	v_addc_co_u32_e32 v9, vcc, v9, v33, vcc
	s_add_u32 s22, s22, s48
	s_addc_u32 s23, s23, s49
	v_add_co_u32_e32 v14, vcc, 0, v14
	s_cmp_ge_i32 s18, s53
	v_addc_co_u32_e32 v11, vcc, v11, v33, vcc
	s_cbranch_scc1 .LBB141_45
.LBB141_13:                             ; =>This Inner Loop Header: Depth=1
	s_load_dwordx2 s[50:51], s[14:15], 0x0
	s_waitcnt lgkmcnt(0)
	s_sub_u32 s50, s50, s52
	s_subb_u32 s51, s51, 0
	s_mul_i32 s57, s50, s17
	s_mul_hi_u32 s58, s50, s16
	s_add_i32 s57, s58, s57
	s_mul_i32 s51, s51, s16
	s_add_i32 s51, s57, s51
	s_mul_i32 s50, s50, s16
	s_add_u32 s57, s50, s33
	s_addc_u32 s58, s51, 0
	s_and_saveexec_b64 s[50:51], s[26:27]
	s_cbranch_execnz .LBB141_29
; %bb.14:                               ;   in Loop: Header=BB141_13 Depth=1
	s_or_b64 exec, exec, s[50:51]
	s_and_saveexec_b64 s[50:51], s[28:29]
	s_cbranch_execnz .LBB141_30
.LBB141_15:                             ;   in Loop: Header=BB141_13 Depth=1
	s_or_b64 exec, exec, s[50:51]
	s_and_saveexec_b64 s[50:51], s[30:31]
	s_cbranch_execnz .LBB141_31
.LBB141_16:                             ;   in Loop: Header=BB141_13 Depth=1
	s_or_b64 exec, exec, s[50:51]
	s_and_saveexec_b64 s[50:51], s[34:35]
	s_cbranch_execnz .LBB141_32
.LBB141_17:                             ;   in Loop: Header=BB141_13 Depth=1
	s_or_b64 exec, exec, s[50:51]
	s_and_saveexec_b64 s[50:51], s[36:37]
	s_cbranch_execnz .LBB141_33
.LBB141_18:                             ;   in Loop: Header=BB141_13 Depth=1
	s_or_b64 exec, exec, s[50:51]
	s_and_saveexec_b64 s[50:51], s[38:39]
	s_cbranch_execnz .LBB141_34
.LBB141_19:                             ;   in Loop: Header=BB141_13 Depth=1
	s_or_b64 exec, exec, s[50:51]
	s_and_saveexec_b64 s[50:51], s[40:41]
	s_cbranch_execnz .LBB141_35
.LBB141_20:                             ;   in Loop: Header=BB141_13 Depth=1
	s_or_b64 exec, exec, s[50:51]
	s_and_saveexec_b64 s[50:51], s[2:3]
	s_cbranch_execnz .LBB141_36
.LBB141_21:                             ;   in Loop: Header=BB141_13 Depth=1
	s_or_b64 exec, exec, s[50:51]
	s_and_saveexec_b64 s[50:51], s[42:43]
	s_cbranch_execnz .LBB141_37
.LBB141_22:                             ;   in Loop: Header=BB141_13 Depth=1
	s_or_b64 exec, exec, s[50:51]
	s_and_saveexec_b64 s[50:51], s[44:45]
	s_cbranch_execnz .LBB141_38
.LBB141_23:                             ;   in Loop: Header=BB141_13 Depth=1
	s_or_b64 exec, exec, s[50:51]
	s_and_saveexec_b64 s[50:51], s[46:47]
	s_cbranch_execnz .LBB141_39
.LBB141_24:                             ;   in Loop: Header=BB141_13 Depth=1
	s_or_b64 exec, exec, s[50:51]
	s_and_saveexec_b64 s[50:51], s[6:7]
	s_cbranch_execnz .LBB141_40
.LBB141_25:                             ;   in Loop: Header=BB141_13 Depth=1
	s_or_b64 exec, exec, s[50:51]
	s_and_saveexec_b64 s[50:51], s[4:5]
	s_cbranch_execnz .LBB141_41
.LBB141_26:                             ;   in Loop: Header=BB141_13 Depth=1
	s_or_b64 exec, exec, s[50:51]
	s_and_saveexec_b64 s[50:51], s[10:11]
	s_cbranch_execnz .LBB141_42
.LBB141_27:                             ;   in Loop: Header=BB141_13 Depth=1
	s_or_b64 exec, exec, s[50:51]
	s_and_saveexec_b64 s[50:51], s[12:13]
	s_cbranch_execnz .LBB141_43
.LBB141_28:                             ;   in Loop: Header=BB141_13 Depth=1
	s_or_b64 exec, exec, s[50:51]
	s_and_saveexec_b64 s[50:51], s[8:9]
	s_cbranch_execz .LBB141_12
	s_branch .LBB141_44
.LBB141_29:                             ;   in Loop: Header=BB141_13 Depth=1
	v_cndmask_b32_e64 v34, v30, v22, s[0:1]
	v_cndmask_b32_e64 v33, v31, v23, s[0:1]
	v_mov_b32_e32 v35, s23
	v_add_co_u32_e32 v34, vcc, s22, v34
	v_addc_co_u32_e32 v35, vcc, v35, v33, vcc
	global_load_dword v33, v[34:35], off
	v_mov_b32_e32 v35, s58
	v_add_co_u32_e32 v34, vcc, s57, v0
	v_addc_co_u32_e32 v35, vcc, 0, v35, vcc
	v_add_co_u32_e32 v36, vcc, 0, v14
	v_addc_co_u32_e32 v37, vcc, v3, v11, vcc
	v_ashrrev_i64 v[38:39], 29, v[36:37]
	v_mov_b32_e32 v40, s25
	v_add_co_u32_e32 v38, vcc, s24, v38
	v_addc_co_u32_e32 v39, vcc, v40, v39, vcc
	global_store_dwordx2 v[38:39], v[34:35], off
	v_ashrrev_i64 v[34:35], 30, v[36:37]
	v_mov_b32_e32 v36, s21
	v_add_co_u32_e32 v34, vcc, s20, v34
	v_addc_co_u32_e32 v35, vcc, v36, v35, vcc
	s_waitcnt vmcnt(1)
	global_store_dword v[34:35], v33, off
	s_or_b64 exec, exec, s[50:51]
	s_and_saveexec_b64 s[50:51], s[28:29]
	s_cbranch_execz .LBB141_15
.LBB141_30:                             ;   in Loop: Header=BB141_13 Depth=1
	v_mov_b32_e32 v33, s23
	v_add_co_u32_e32 v34, vcc, s22, v22
	v_addc_co_u32_e32 v35, vcc, v33, v23, vcc
	v_add_co_u32_e32 v34, vcc, s56, v34
	v_addc_co_u32_e32 v35, vcc, 0, v35, vcc
	;; [unrolled: 2-line block ×3, first 2 shown]
	v_cndmask_b32_e64 v35, v33, v35, s[0:1]
	v_cndmask_b32_e64 v34, v36, v34, s[0:1]
	global_load_dword v33, v[34:35], off
	v_mov_b32_e32 v35, s58
	v_add_co_u32_e32 v34, vcc, s57, v2
	v_addc_co_u32_e32 v35, vcc, 0, v35, vcc
	v_add_co_u32_e32 v36, vcc, 0, v14
	v_addc_co_u32_e32 v37, vcc, v3, v11, vcc
	;; [unrolled: 2-line block ×3, first 2 shown]
	v_ashrrev_i64 v[38:39], 29, v[36:37]
	v_mov_b32_e32 v40, s25
	v_add_co_u32_e32 v38, vcc, s24, v38
	v_addc_co_u32_e32 v39, vcc, v40, v39, vcc
	global_store_dwordx2 v[38:39], v[34:35], off
	v_ashrrev_i64 v[34:35], 30, v[36:37]
	v_mov_b32_e32 v36, s21
	v_add_co_u32_e32 v34, vcc, s20, v34
	v_addc_co_u32_e32 v35, vcc, v36, v35, vcc
	s_waitcnt vmcnt(1)
	global_store_dword v[34:35], v33, off
	s_or_b64 exec, exec, s[50:51]
	s_and_saveexec_b64 s[50:51], s[30:31]
	s_cbranch_execz .LBB141_16
.LBB141_31:                             ;   in Loop: Header=BB141_13 Depth=1
	v_mov_b32_e32 v33, s23
	v_add_co_u32_e32 v34, vcc, s22, v22
	v_addc_co_u32_e32 v35, vcc, v33, v23, vcc
	v_add_co_u32_e32 v34, vcc, s55, v34
	v_addc_co_u32_e32 v35, vcc, 0, v35, vcc
	;; [unrolled: 2-line block ×3, first 2 shown]
	v_cndmask_b32_e64 v35, v33, v35, s[0:1]
	v_cndmask_b32_e64 v34, v36, v34, s[0:1]
	global_load_dword v33, v[34:35], off
	v_mov_b32_e32 v35, s58
	v_add_co_u32_e32 v34, vcc, s57, v4
	v_addc_co_u32_e32 v35, vcc, 0, v35, vcc
	v_add_co_u32_e32 v36, vcc, 0, v14
	v_addc_co_u32_e32 v37, vcc, v3, v11, vcc
	;; [unrolled: 2-line block ×3, first 2 shown]
	v_ashrrev_i64 v[38:39], 29, v[36:37]
	v_mov_b32_e32 v40, s25
	v_add_co_u32_e32 v38, vcc, s24, v38
	v_addc_co_u32_e32 v39, vcc, v40, v39, vcc
	global_store_dwordx2 v[38:39], v[34:35], off
	v_ashrrev_i64 v[34:35], 30, v[36:37]
	v_mov_b32_e32 v36, s21
	v_add_co_u32_e32 v34, vcc, s20, v34
	v_addc_co_u32_e32 v35, vcc, v36, v35, vcc
	s_waitcnt vmcnt(1)
	global_store_dword v[34:35], v33, off
	s_or_b64 exec, exec, s[50:51]
	s_and_saveexec_b64 s[50:51], s[34:35]
	s_cbranch_execz .LBB141_17
.LBB141_32:                             ;   in Loop: Header=BB141_13 Depth=1
	v_mov_b32_e32 v33, s23
	v_add_co_u32_e32 v34, vcc, s22, v22
	v_addc_co_u32_e32 v35, vcc, v33, v23, vcc
	v_add_co_u32_e32 v34, vcc, s19, v34
	v_addc_co_u32_e32 v35, vcc, 0, v35, vcc
	;; [unrolled: 2-line block ×3, first 2 shown]
	v_cndmask_b32_e64 v35, v33, v35, s[0:1]
	v_cndmask_b32_e64 v34, v36, v34, s[0:1]
	global_load_dword v33, v[34:35], off
	v_mov_b32_e32 v35, s58
	v_add_co_u32_e32 v34, vcc, s57, v6
	v_addc_co_u32_e32 v35, vcc, 0, v35, vcc
	v_add_co_u32_e32 v36, vcc, 0, v14
	v_addc_co_u32_e32 v37, vcc, v3, v11, vcc
	;; [unrolled: 2-line block ×3, first 2 shown]
	v_ashrrev_i64 v[38:39], 29, v[36:37]
	v_mov_b32_e32 v40, s25
	v_add_co_u32_e32 v38, vcc, s24, v38
	v_addc_co_u32_e32 v39, vcc, v40, v39, vcc
	global_store_dwordx2 v[38:39], v[34:35], off
	v_ashrrev_i64 v[34:35], 30, v[36:37]
	v_mov_b32_e32 v36, s21
	v_add_co_u32_e32 v34, vcc, s20, v34
	v_addc_co_u32_e32 v35, vcc, v36, v35, vcc
	s_waitcnt vmcnt(1)
	global_store_dword v[34:35], v33, off
	s_or_b64 exec, exec, s[50:51]
	s_and_saveexec_b64 s[50:51], s[36:37]
	s_cbranch_execz .LBB141_18
.LBB141_33:                             ;   in Loop: Header=BB141_13 Depth=1
	v_mov_b32_e32 v33, s23
	v_add_co_u32_e32 v34, vcc, s22, v20
	v_addc_co_u32_e32 v35, vcc, v33, v21, vcc
	v_add_co_u32_e32 v36, vcc, s22, v30
	v_addc_co_u32_e32 v33, vcc, v33, v31, vcc
	;; [unrolled: 2-line block ×3, first 2 shown]
	v_cndmask_b32_e64 v35, v33, v35, s[0:1]
	v_cndmask_b32_e64 v34, v36, v34, s[0:1]
	global_load_dword v33, v[34:35], off
	v_mov_b32_e32 v35, s58
	v_add_co_u32_e32 v34, vcc, s57, v0
	v_addc_co_u32_e32 v35, vcc, 0, v35, vcc
	v_add_co_u32_e32 v36, vcc, 0, v12
	v_addc_co_u32_e32 v37, vcc, v3, v9, vcc
	v_ashrrev_i64 v[38:39], 29, v[36:37]
	v_mov_b32_e32 v40, s25
	v_add_co_u32_e32 v38, vcc, s24, v38
	v_addc_co_u32_e32 v39, vcc, v40, v39, vcc
	global_store_dwordx2 v[38:39], v[34:35], off
	v_ashrrev_i64 v[34:35], 30, v[36:37]
	v_mov_b32_e32 v36, s21
	v_add_co_u32_e32 v34, vcc, s20, v34
	v_addc_co_u32_e32 v35, vcc, v36, v35, vcc
	s_waitcnt vmcnt(1)
	global_store_dword v[34:35], v33, off
	s_or_b64 exec, exec, s[50:51]
	s_and_saveexec_b64 s[50:51], s[38:39]
	s_cbranch_execz .LBB141_19
.LBB141_34:                             ;   in Loop: Header=BB141_13 Depth=1
	v_cndmask_b32_e64 v34, v28, v20, s[0:1]
	v_cndmask_b32_e64 v33, v29, v21, s[0:1]
	v_mov_b32_e32 v35, s23
	v_add_co_u32_e32 v34, vcc, s22, v34
	v_addc_co_u32_e32 v35, vcc, v35, v33, vcc
	global_load_dword v33, v[34:35], off offset:128
	v_mov_b32_e32 v35, s58
	v_add_co_u32_e32 v34, vcc, s57, v2
	v_addc_co_u32_e32 v35, vcc, 0, v35, vcc
	v_add_co_u32_e32 v36, vcc, 0, v12
	v_addc_co_u32_e32 v37, vcc, v3, v9, vcc
	;; [unrolled: 2-line block ×3, first 2 shown]
	v_ashrrev_i64 v[38:39], 29, v[36:37]
	v_mov_b32_e32 v40, s25
	v_add_co_u32_e32 v38, vcc, s24, v38
	v_addc_co_u32_e32 v39, vcc, v40, v39, vcc
	global_store_dwordx2 v[38:39], v[34:35], off
	v_ashrrev_i64 v[34:35], 30, v[36:37]
	v_mov_b32_e32 v36, s21
	v_add_co_u32_e32 v34, vcc, s20, v34
	v_addc_co_u32_e32 v35, vcc, v36, v35, vcc
	s_waitcnt vmcnt(1)
	global_store_dword v[34:35], v33, off
	s_or_b64 exec, exec, s[50:51]
	s_and_saveexec_b64 s[50:51], s[40:41]
	s_cbranch_execz .LBB141_20
.LBB141_35:                             ;   in Loop: Header=BB141_13 Depth=1
	v_mov_b32_e32 v33, s23
	v_add_co_u32_e32 v34, vcc, s22, v20
	v_addc_co_u32_e32 v35, vcc, v33, v21, vcc
	v_add_co_u32_e32 v34, vcc, s55, v34
	v_addc_co_u32_e32 v35, vcc, 0, v35, vcc
	;; [unrolled: 2-line block ×4, first 2 shown]
	v_cndmask_b32_e64 v35, v33, v35, s[0:1]
	v_cndmask_b32_e64 v34, v36, v34, s[0:1]
	global_load_dword v33, v[34:35], off
	v_mov_b32_e32 v35, s58
	v_add_co_u32_e32 v34, vcc, s57, v4
	v_addc_co_u32_e32 v35, vcc, 0, v35, vcc
	v_add_co_u32_e32 v36, vcc, 0, v12
	v_addc_co_u32_e32 v37, vcc, v3, v9, vcc
	;; [unrolled: 2-line block ×3, first 2 shown]
	v_ashrrev_i64 v[38:39], 29, v[36:37]
	v_mov_b32_e32 v40, s25
	v_add_co_u32_e32 v38, vcc, s24, v38
	v_addc_co_u32_e32 v39, vcc, v40, v39, vcc
	global_store_dwordx2 v[38:39], v[34:35], off
	v_ashrrev_i64 v[34:35], 30, v[36:37]
	v_mov_b32_e32 v36, s21
	v_add_co_u32_e32 v34, vcc, s20, v34
	v_addc_co_u32_e32 v35, vcc, v36, v35, vcc
	s_waitcnt vmcnt(1)
	global_store_dword v[34:35], v33, off
	s_or_b64 exec, exec, s[50:51]
	s_and_saveexec_b64 s[50:51], s[2:3]
	s_cbranch_execz .LBB141_21
.LBB141_36:                             ;   in Loop: Header=BB141_13 Depth=1
	v_mov_b32_e32 v33, s23
	v_add_co_u32_e32 v34, vcc, s22, v20
	v_addc_co_u32_e32 v35, vcc, v33, v21, vcc
	v_add_co_u32_e32 v34, vcc, s19, v34
	v_addc_co_u32_e32 v35, vcc, 0, v35, vcc
	v_add_co_u32_e32 v36, vcc, s22, v24
	v_addc_co_u32_e32 v33, vcc, v33, v25, vcc
	v_add_co_u32_e32 v36, vcc, 0x80, v36
	v_addc_co_u32_e32 v33, vcc, 0, v33, vcc
	v_cndmask_b32_e64 v35, v33, v35, s[0:1]
	v_cndmask_b32_e64 v34, v36, v34, s[0:1]
	global_load_dword v33, v[34:35], off
	v_mov_b32_e32 v35, s58
	v_add_co_u32_e32 v34, vcc, s57, v6
	v_addc_co_u32_e32 v35, vcc, 0, v35, vcc
	v_add_co_u32_e32 v36, vcc, 0, v12
	v_addc_co_u32_e32 v37, vcc, v3, v9, vcc
	;; [unrolled: 2-line block ×3, first 2 shown]
	v_ashrrev_i64 v[38:39], 29, v[36:37]
	v_mov_b32_e32 v40, s25
	v_add_co_u32_e32 v38, vcc, s24, v38
	v_addc_co_u32_e32 v39, vcc, v40, v39, vcc
	global_store_dwordx2 v[38:39], v[34:35], off
	v_ashrrev_i64 v[34:35], 30, v[36:37]
	v_mov_b32_e32 v36, s21
	v_add_co_u32_e32 v34, vcc, s20, v34
	v_addc_co_u32_e32 v35, vcc, v36, v35, vcc
	s_waitcnt vmcnt(1)
	global_store_dword v[34:35], v33, off
	s_or_b64 exec, exec, s[50:51]
	s_and_saveexec_b64 s[50:51], s[42:43]
	s_cbranch_execz .LBB141_22
.LBB141_37:                             ;   in Loop: Header=BB141_13 Depth=1
	v_mov_b32_e32 v33, s23
	v_add_co_u32_e32 v34, vcc, s22, v18
	v_addc_co_u32_e32 v35, vcc, v33, v19, vcc
	v_add_co_u32_e32 v36, vcc, s22, v30
	v_addc_co_u32_e32 v33, vcc, v33, v31, vcc
	;; [unrolled: 2-line block ×3, first 2 shown]
	v_cndmask_b32_e64 v35, v33, v35, s[0:1]
	v_cndmask_b32_e64 v34, v36, v34, s[0:1]
	global_load_dword v33, v[34:35], off
	v_mov_b32_e32 v35, s58
	v_add_co_u32_e32 v34, vcc, s57, v0
	v_addc_co_u32_e32 v35, vcc, 0, v35, vcc
	v_add_co_u32_e32 v36, vcc, 0, v10
	v_addc_co_u32_e32 v37, vcc, v3, v7, vcc
	v_ashrrev_i64 v[38:39], 29, v[36:37]
	v_mov_b32_e32 v40, s25
	v_add_co_u32_e32 v38, vcc, s24, v38
	v_addc_co_u32_e32 v39, vcc, v40, v39, vcc
	global_store_dwordx2 v[38:39], v[34:35], off
	v_ashrrev_i64 v[34:35], 30, v[36:37]
	v_mov_b32_e32 v36, s21
	v_add_co_u32_e32 v34, vcc, s20, v34
	v_addc_co_u32_e32 v35, vcc, v36, v35, vcc
	s_waitcnt vmcnt(1)
	global_store_dword v[34:35], v33, off
	s_or_b64 exec, exec, s[50:51]
	s_and_saveexec_b64 s[50:51], s[44:45]
	s_cbranch_execz .LBB141_23
.LBB141_38:                             ;   in Loop: Header=BB141_13 Depth=1
	v_mov_b32_e32 v33, s23
	v_add_co_u32_e32 v34, vcc, s22, v18
	v_addc_co_u32_e32 v35, vcc, v33, v19, vcc
	v_add_co_u32_e32 v34, vcc, s56, v34
	v_addc_co_u32_e32 v35, vcc, 0, v35, vcc
	;; [unrolled: 2-line block ×4, first 2 shown]
	v_cndmask_b32_e64 v35, v33, v35, s[0:1]
	v_cndmask_b32_e64 v34, v36, v34, s[0:1]
	global_load_dword v33, v[34:35], off
	v_mov_b32_e32 v35, s58
	v_add_co_u32_e32 v34, vcc, s57, v2
	v_addc_co_u32_e32 v35, vcc, 0, v35, vcc
	v_add_co_u32_e32 v36, vcc, 0, v10
	v_addc_co_u32_e32 v37, vcc, v3, v7, vcc
	;; [unrolled: 2-line block ×3, first 2 shown]
	v_ashrrev_i64 v[38:39], 29, v[36:37]
	v_mov_b32_e32 v40, s25
	v_add_co_u32_e32 v38, vcc, s24, v38
	v_addc_co_u32_e32 v39, vcc, v40, v39, vcc
	global_store_dwordx2 v[38:39], v[34:35], off
	v_ashrrev_i64 v[34:35], 30, v[36:37]
	v_mov_b32_e32 v36, s21
	v_add_co_u32_e32 v34, vcc, s20, v34
	v_addc_co_u32_e32 v35, vcc, v36, v35, vcc
	s_waitcnt vmcnt(1)
	global_store_dword v[34:35], v33, off
	s_or_b64 exec, exec, s[50:51]
	s_and_saveexec_b64 s[50:51], s[46:47]
	s_cbranch_execz .LBB141_24
.LBB141_39:                             ;   in Loop: Header=BB141_13 Depth=1
	v_cndmask_b32_e64 v34, v26, v18, s[0:1]
	v_cndmask_b32_e64 v33, v27, v19, s[0:1]
	v_mov_b32_e32 v35, s23
	v_add_co_u32_e32 v34, vcc, s22, v34
	v_addc_co_u32_e32 v35, vcc, v35, v33, vcc
	global_load_dword v33, v[34:35], off offset:256
	v_mov_b32_e32 v35, s58
	v_add_co_u32_e32 v34, vcc, s57, v4
	v_addc_co_u32_e32 v35, vcc, 0, v35, vcc
	v_add_co_u32_e32 v36, vcc, 0, v10
	v_addc_co_u32_e32 v37, vcc, v3, v7, vcc
	;; [unrolled: 2-line block ×3, first 2 shown]
	v_ashrrev_i64 v[38:39], 29, v[36:37]
	v_mov_b32_e32 v40, s25
	v_add_co_u32_e32 v38, vcc, s24, v38
	v_addc_co_u32_e32 v39, vcc, v40, v39, vcc
	global_store_dwordx2 v[38:39], v[34:35], off
	v_ashrrev_i64 v[34:35], 30, v[36:37]
	v_mov_b32_e32 v36, s21
	v_add_co_u32_e32 v34, vcc, s20, v34
	v_addc_co_u32_e32 v35, vcc, v36, v35, vcc
	s_waitcnt vmcnt(1)
	global_store_dword v[34:35], v33, off
	s_or_b64 exec, exec, s[50:51]
	s_and_saveexec_b64 s[50:51], s[6:7]
	s_cbranch_execz .LBB141_25
.LBB141_40:                             ;   in Loop: Header=BB141_13 Depth=1
	v_mov_b32_e32 v33, s23
	v_add_co_u32_e32 v34, vcc, s22, v18
	v_addc_co_u32_e32 v35, vcc, v33, v19, vcc
	v_add_co_u32_e32 v34, vcc, s19, v34
	v_addc_co_u32_e32 v35, vcc, 0, v35, vcc
	v_add_co_u32_e32 v36, vcc, s22, v24
	v_addc_co_u32_e32 v33, vcc, v33, v25, vcc
	v_add_co_u32_e32 v36, vcc, 0x100, v36
	v_addc_co_u32_e32 v33, vcc, 0, v33, vcc
	v_cndmask_b32_e64 v35, v33, v35, s[0:1]
	v_cndmask_b32_e64 v34, v36, v34, s[0:1]
	global_load_dword v33, v[34:35], off
	v_mov_b32_e32 v35, s58
	v_add_co_u32_e32 v34, vcc, s57, v6
	v_addc_co_u32_e32 v35, vcc, 0, v35, vcc
	v_add_co_u32_e32 v36, vcc, 0, v10
	v_addc_co_u32_e32 v37, vcc, v3, v7, vcc
	;; [unrolled: 2-line block ×3, first 2 shown]
	v_ashrrev_i64 v[38:39], 29, v[36:37]
	v_mov_b32_e32 v40, s25
	v_add_co_u32_e32 v38, vcc, s24, v38
	v_addc_co_u32_e32 v39, vcc, v40, v39, vcc
	global_store_dwordx2 v[38:39], v[34:35], off
	v_ashrrev_i64 v[34:35], 30, v[36:37]
	v_mov_b32_e32 v36, s21
	v_add_co_u32_e32 v34, vcc, s20, v34
	v_addc_co_u32_e32 v35, vcc, v36, v35, vcc
	s_waitcnt vmcnt(1)
	global_store_dword v[34:35], v33, off
	s_or_b64 exec, exec, s[50:51]
	s_and_saveexec_b64 s[50:51], s[4:5]
	s_cbranch_execz .LBB141_26
.LBB141_41:                             ;   in Loop: Header=BB141_13 Depth=1
	v_mov_b32_e32 v33, s23
	v_add_co_u32_e32 v34, vcc, s22, v16
	v_addc_co_u32_e32 v35, vcc, v33, v17, vcc
	v_add_co_u32_e32 v36, vcc, s22, v30
	v_addc_co_u32_e32 v33, vcc, v33, v31, vcc
	v_add_co_u32_e32 v36, vcc, 0x180, v36
	v_addc_co_u32_e32 v33, vcc, 0, v33, vcc
	v_cndmask_b32_e64 v35, v33, v35, s[0:1]
	v_cndmask_b32_e64 v34, v36, v34, s[0:1]
	global_load_dword v33, v[34:35], off
	v_mov_b32_e32 v35, s58
	v_add_co_u32_e32 v34, vcc, s57, v0
	v_addc_co_u32_e32 v35, vcc, 0, v35, vcc
	v_add_co_u32_e32 v36, vcc, 0, v8
	v_addc_co_u32_e32 v37, vcc, v3, v5, vcc
	;; [unrolled: 2-line block ×3, first 2 shown]
	v_ashrrev_i64 v[38:39], 29, v[36:37]
	v_mov_b32_e32 v40, s25
	v_add_co_u32_e32 v38, vcc, s24, v38
	v_addc_co_u32_e32 v39, vcc, v40, v39, vcc
	global_store_dwordx2 v[38:39], v[34:35], off
	v_ashrrev_i64 v[34:35], 30, v[36:37]
	v_mov_b32_e32 v36, s21
	v_add_co_u32_e32 v34, vcc, s20, v34
	v_addc_co_u32_e32 v35, vcc, v36, v35, vcc
	s_waitcnt vmcnt(1)
	global_store_dword v[34:35], v33, off
	s_or_b64 exec, exec, s[50:51]
	s_and_saveexec_b64 s[50:51], s[10:11]
	s_cbranch_execz .LBB141_27
.LBB141_42:                             ;   in Loop: Header=BB141_13 Depth=1
	v_mov_b32_e32 v33, s23
	v_add_co_u32_e32 v34, vcc, s22, v16
	v_addc_co_u32_e32 v35, vcc, v33, v17, vcc
	v_add_co_u32_e32 v34, vcc, s56, v34
	v_addc_co_u32_e32 v35, vcc, 0, v35, vcc
	;; [unrolled: 2-line block ×4, first 2 shown]
	v_cndmask_b32_e64 v35, v33, v35, s[0:1]
	v_cndmask_b32_e64 v34, v36, v34, s[0:1]
	global_load_dword v33, v[34:35], off
	v_mov_b32_e32 v35, s58
	v_add_co_u32_e32 v34, vcc, s57, v2
	v_addc_co_u32_e32 v35, vcc, 0, v35, vcc
	v_add_co_u32_e32 v36, vcc, 0, v8
	v_addc_co_u32_e32 v37, vcc, v3, v5, vcc
	;; [unrolled: 2-line block ×3, first 2 shown]
	v_ashrrev_i64 v[38:39], 29, v[36:37]
	v_mov_b32_e32 v40, s25
	v_add_co_u32_e32 v38, vcc, s24, v38
	v_addc_co_u32_e32 v39, vcc, v40, v39, vcc
	global_store_dwordx2 v[38:39], v[34:35], off
	v_ashrrev_i64 v[34:35], 30, v[36:37]
	v_mov_b32_e32 v36, s21
	v_add_co_u32_e32 v34, vcc, s20, v34
	v_addc_co_u32_e32 v35, vcc, v36, v35, vcc
	s_waitcnt vmcnt(1)
	global_store_dword v[34:35], v33, off
	s_or_b64 exec, exec, s[50:51]
	s_and_saveexec_b64 s[50:51], s[12:13]
	s_cbranch_execz .LBB141_28
.LBB141_43:                             ;   in Loop: Header=BB141_13 Depth=1
	v_mov_b32_e32 v33, s23
	v_add_co_u32_e32 v34, vcc, s22, v16
	v_addc_co_u32_e32 v35, vcc, v33, v17, vcc
	v_add_co_u32_e32 v34, vcc, s55, v34
	v_addc_co_u32_e32 v35, vcc, 0, v35, vcc
	;; [unrolled: 2-line block ×4, first 2 shown]
	v_cndmask_b32_e64 v35, v33, v35, s[0:1]
	v_cndmask_b32_e64 v34, v36, v34, s[0:1]
	global_load_dword v33, v[34:35], off
	v_mov_b32_e32 v35, s58
	v_add_co_u32_e32 v34, vcc, s57, v4
	v_addc_co_u32_e32 v35, vcc, 0, v35, vcc
	v_add_co_u32_e32 v36, vcc, 0, v8
	v_addc_co_u32_e32 v37, vcc, v3, v5, vcc
	;; [unrolled: 2-line block ×3, first 2 shown]
	v_ashrrev_i64 v[38:39], 29, v[36:37]
	v_mov_b32_e32 v40, s25
	v_add_co_u32_e32 v38, vcc, s24, v38
	v_addc_co_u32_e32 v39, vcc, v40, v39, vcc
	global_store_dwordx2 v[38:39], v[34:35], off
	v_ashrrev_i64 v[34:35], 30, v[36:37]
	v_mov_b32_e32 v36, s21
	v_add_co_u32_e32 v34, vcc, s20, v34
	v_addc_co_u32_e32 v35, vcc, v36, v35, vcc
	s_waitcnt vmcnt(1)
	global_store_dword v[34:35], v33, off
	s_or_b64 exec, exec, s[50:51]
	s_and_saveexec_b64 s[50:51], s[8:9]
	s_cbranch_execz .LBB141_12
.LBB141_44:                             ;   in Loop: Header=BB141_13 Depth=1
	v_cndmask_b32_e64 v34, v24, v16, s[0:1]
	v_cndmask_b32_e64 v33, v25, v17, s[0:1]
	v_mov_b32_e32 v35, s23
	v_add_co_u32_e32 v34, vcc, s22, v34
	v_addc_co_u32_e32 v35, vcc, v35, v33, vcc
	global_load_dword v33, v[34:35], off offset:384
	v_mov_b32_e32 v35, s58
	v_add_co_u32_e32 v34, vcc, s57, v6
	v_addc_co_u32_e32 v35, vcc, 0, v35, vcc
	v_add_co_u32_e32 v36, vcc, 0, v8
	v_addc_co_u32_e32 v37, vcc, v3, v5, vcc
	v_ashrrev_i64 v[38:39], 29, v[36:37]
	v_mov_b32_e32 v40, s25
	v_add_co_u32_e32 v38, vcc, s24, v38
	v_addc_co_u32_e32 v39, vcc, v40, v39, vcc
	global_store_dwordx2 v[38:39], v[34:35], off
	v_ashrrev_i64 v[34:35], 30, v[36:37]
	v_mov_b32_e32 v36, s21
	v_add_co_u32_e32 v34, vcc, s20, v34
	v_addc_co_u32_e32 v35, vcc, v36, v35, vcc
	s_waitcnt vmcnt(1)
	global_store_dword v[34:35], v33, off
	s_branch .LBB141_12
.LBB141_45:
	s_endpgm
	.section	.rodata,"a",@progbits
	.p2align	6, 0x0
	.amdhsa_kernel _ZN9rocsparseL35bsr2csr_block_per_row_33_256_kernelILj1024ELj128ELj32EfilEEv20rocsparse_direction_T4_S2_21rocsparse_index_base_PKT2_PKT3_PKS2_S2_S3_PS4_PS7_PS2_
		.amdhsa_group_segment_fixed_size 0
		.amdhsa_private_segment_fixed_size 0
		.amdhsa_kernarg_size 96
		.amdhsa_user_sgpr_count 6
		.amdhsa_user_sgpr_private_segment_buffer 1
		.amdhsa_user_sgpr_dispatch_ptr 0
		.amdhsa_user_sgpr_queue_ptr 0
		.amdhsa_user_sgpr_kernarg_segment_ptr 1
		.amdhsa_user_sgpr_dispatch_id 0
		.amdhsa_user_sgpr_flat_scratch_init 0
		.amdhsa_user_sgpr_kernarg_preload_length 0
		.amdhsa_user_sgpr_kernarg_preload_offset 0
		.amdhsa_user_sgpr_private_segment_size 0
		.amdhsa_uses_dynamic_stack 0
		.amdhsa_system_sgpr_private_segment_wavefront_offset 0
		.amdhsa_system_sgpr_workgroup_id_x 1
		.amdhsa_system_sgpr_workgroup_id_y 0
		.amdhsa_system_sgpr_workgroup_id_z 0
		.amdhsa_system_sgpr_workgroup_info 0
		.amdhsa_system_vgpr_workitem_id 0
		.amdhsa_next_free_vgpr 41
		.amdhsa_next_free_sgpr 60
		.amdhsa_accum_offset 44
		.amdhsa_reserve_vcc 1
		.amdhsa_reserve_flat_scratch 0
		.amdhsa_float_round_mode_32 0
		.amdhsa_float_round_mode_16_64 0
		.amdhsa_float_denorm_mode_32 3
		.amdhsa_float_denorm_mode_16_64 3
		.amdhsa_dx10_clamp 1
		.amdhsa_ieee_mode 1
		.amdhsa_fp16_overflow 0
		.amdhsa_tg_split 0
		.amdhsa_exception_fp_ieee_invalid_op 0
		.amdhsa_exception_fp_denorm_src 0
		.amdhsa_exception_fp_ieee_div_zero 0
		.amdhsa_exception_fp_ieee_overflow 0
		.amdhsa_exception_fp_ieee_underflow 0
		.amdhsa_exception_fp_ieee_inexact 0
		.amdhsa_exception_int_div_zero 0
	.end_amdhsa_kernel
	.section	.text._ZN9rocsparseL35bsr2csr_block_per_row_33_256_kernelILj1024ELj128ELj32EfilEEv20rocsparse_direction_T4_S2_21rocsparse_index_base_PKT2_PKT3_PKS2_S2_S3_PS4_PS7_PS2_,"axG",@progbits,_ZN9rocsparseL35bsr2csr_block_per_row_33_256_kernelILj1024ELj128ELj32EfilEEv20rocsparse_direction_T4_S2_21rocsparse_index_base_PKT2_PKT3_PKS2_S2_S3_PS4_PS7_PS2_,comdat
.Lfunc_end141:
	.size	_ZN9rocsparseL35bsr2csr_block_per_row_33_256_kernelILj1024ELj128ELj32EfilEEv20rocsparse_direction_T4_S2_21rocsparse_index_base_PKT2_PKT3_PKS2_S2_S3_PS4_PS7_PS2_, .Lfunc_end141-_ZN9rocsparseL35bsr2csr_block_per_row_33_256_kernelILj1024ELj128ELj32EfilEEv20rocsparse_direction_T4_S2_21rocsparse_index_base_PKT2_PKT3_PKS2_S2_S3_PS4_PS7_PS2_
                                        ; -- End function
	.section	.AMDGPU.csdata,"",@progbits
; Kernel info:
; codeLenInByte = 3864
; NumSgprs: 64
; NumVgprs: 41
; NumAgprs: 0
; TotalNumVgprs: 41
; ScratchSize: 0
; MemoryBound: 0
; FloatMode: 240
; IeeeMode: 1
; LDSByteSize: 0 bytes/workgroup (compile time only)
; SGPRBlocks: 7
; VGPRBlocks: 5
; NumSGPRsForWavesPerEU: 64
; NumVGPRsForWavesPerEU: 41
; AccumOffset: 44
; Occupancy: 8
; WaveLimiterHint : 1
; COMPUTE_PGM_RSRC2:SCRATCH_EN: 0
; COMPUTE_PGM_RSRC2:USER_SGPR: 6
; COMPUTE_PGM_RSRC2:TRAP_HANDLER: 0
; COMPUTE_PGM_RSRC2:TGID_X_EN: 1
; COMPUTE_PGM_RSRC2:TGID_Y_EN: 0
; COMPUTE_PGM_RSRC2:TGID_Z_EN: 0
; COMPUTE_PGM_RSRC2:TIDIG_COMP_CNT: 0
; COMPUTE_PGM_RSRC3_GFX90A:ACCUM_OFFSET: 10
; COMPUTE_PGM_RSRC3_GFX90A:TG_SPLIT: 0
	.section	.text._ZN9rocsparseL35bsr2csr_block_per_row_33_256_kernelILj1024ELj256ELj32EfilEEv20rocsparse_direction_T4_S2_21rocsparse_index_base_PKT2_PKT3_PKS2_S2_S3_PS4_PS7_PS2_,"axG",@progbits,_ZN9rocsparseL35bsr2csr_block_per_row_33_256_kernelILj1024ELj256ELj32EfilEEv20rocsparse_direction_T4_S2_21rocsparse_index_base_PKT2_PKT3_PKS2_S2_S3_PS4_PS7_PS2_,comdat
	.globl	_ZN9rocsparseL35bsr2csr_block_per_row_33_256_kernelILj1024ELj256ELj32EfilEEv20rocsparse_direction_T4_S2_21rocsparse_index_base_PKT2_PKT3_PKS2_S2_S3_PS4_PS7_PS2_ ; -- Begin function _ZN9rocsparseL35bsr2csr_block_per_row_33_256_kernelILj1024ELj256ELj32EfilEEv20rocsparse_direction_T4_S2_21rocsparse_index_base_PKT2_PKT3_PKS2_S2_S3_PS4_PS7_PS2_
	.p2align	8
	.type	_ZN9rocsparseL35bsr2csr_block_per_row_33_256_kernelILj1024ELj256ELj32EfilEEv20rocsparse_direction_T4_S2_21rocsparse_index_base_PKT2_PKT3_PKS2_S2_S3_PS4_PS7_PS2_,@function
_ZN9rocsparseL35bsr2csr_block_per_row_33_256_kernelILj1024ELj256ELj32EfilEEv20rocsparse_direction_T4_S2_21rocsparse_index_base_PKT2_PKT3_PKS2_S2_S3_PS4_PS7_PS2_: ; @_ZN9rocsparseL35bsr2csr_block_per_row_33_256_kernelILj1024ELj256ELj32EfilEEv20rocsparse_direction_T4_S2_21rocsparse_index_base_PKT2_PKT3_PKS2_S2_S3_PS4_PS7_PS2_
; %bb.0:
	s_load_dwordx2 s[0:1], s[4:5], 0x28
	s_load_dword s12, s[4:5], 0x40
	s_load_dwordx2 s[2:3], s[4:5], 0x50
	s_mov_b32 s7, 0
	s_lshl_b64 s[8:9], s[6:7], 2
	s_waitcnt lgkmcnt(0)
	s_add_u32 s0, s0, s8
	s_addc_u32 s1, s1, s9
	s_load_dwordx2 s[0:1], s[0:1], 0x0
	v_or_b32_e32 v1, s6, v0
	v_cmp_eq_u32_e32 vcc, 0, v1
	s_and_saveexec_b64 s[8:9], vcc
	s_cbranch_execz .LBB142_2
; %bb.1:
	v_mov_b32_e32 v1, 0
	v_mov_b32_e32 v2, s12
	global_store_dword v1, v2, s[2:3]
.LBB142_2:
	s_or_b64 exec, exec, s[8:9]
	s_load_dword s7, s[4:5], 0x18
	s_load_dwordx2 s[36:37], s[4:5], 0x38
                                        ; implicit-def: $vgpr84 : SGPR spill to VGPR lane
	v_mov_b32_e32 v17, 0
	v_lshrrev_b32_e32 v16, 5, v0
	v_lshlrev_b32_e32 v62, 2, v16
	s_waitcnt lgkmcnt(0)
	s_sub_i32 s38, s0, s7
	v_writelane_b32 v84, s7, 0
	s_sub_i32 s9, s1, s7
	s_mul_i32 s7, s36, s37
	s_mul_hi_u32 s8, s36, s36
	s_add_i32 s8, s8, s7
	s_add_i32 s89, s8, s7
	s_sub_i32 s33, s9, s38
	s_mul_i32 s7, s6, s37
	s_mul_hi_u32 s8, s6, s36
	s_mul_i32 s24, s33, s36
	s_add_i32 s7, s8, s7
	s_mul_i32 s6, s6, s36
	s_add_i32 s23, s24, s12
	s_lshl_b64 s[6:7], s[6:7], 2
	s_mul_i32 s88, s36, s36
	s_add_u32 s2, s2, s6
	s_mul_i32 s22, s88, s38
	v_writelane_b32 v84, s9, 1
	s_addc_u32 s3, s3, s7
	v_cmp_gt_i64_e32 vcc, s[36:37], v[16:17]
	v_writelane_b32 v84, s12, 2
	s_and_saveexec_b64 s[6:7], vcc
	s_cbranch_execz .LBB142_4
; %bb.3:
	v_mul_lo_u32 v1, v16, s24
	s_add_i32 s8, s23, s22
	v_add_u32_e32 v1, s8, v1
	global_store_dword v62, v1, s[2:3] offset:4
.LBB142_4:
	s_or_b64 exec, exec, s[6:7]
	s_add_u32 s18, s2, 4
	v_or_b32_e32 v18, 32, v16
	v_mov_b32_e32 v19, v17
	s_addc_u32 s19, s3, 0
	v_cmp_gt_i64_e64 s[2:3], s[36:37], v[18:19]
	s_and_saveexec_b64 s[6:7], s[2:3]
	s_cbranch_execz .LBB142_6
; %bb.5:
	v_mul_lo_u32 v1, v18, s24
	s_add_i32 s8, s23, s22
	v_add_u32_e32 v1, s8, v1
	global_store_dword v62, v1, s[18:19] offset:128
.LBB142_6:
	s_or_b64 exec, exec, s[6:7]
	v_or_b32_e32 v20, 64, v16
	v_mov_b32_e32 v21, v17
	v_cmp_gt_i64_e64 s[6:7], s[36:37], v[20:21]
	s_and_saveexec_b64 s[8:9], s[6:7]
	s_cbranch_execz .LBB142_8
; %bb.7:
	v_mul_lo_u32 v1, v20, s24
	s_add_i32 s10, s23, s22
	v_add_u32_e32 v1, s10, v1
	global_store_dword v62, v1, s[18:19] offset:256
.LBB142_8:
	s_or_b64 exec, exec, s[8:9]
	v_or_b32_e32 v2, 0x60, v16
	v_mov_b32_e32 v3, v17
	;; [unrolled: 12-line block ×6, first 2 shown]
	v_cmp_gt_i64_e64 s[16:17], s[36:37], v[2:3]
	s_and_saveexec_b64 s[20:21], s[16:17]
	s_cbranch_execz .LBB142_18
; %bb.17:
	v_mul_lo_u32 v1, v2, s24
	s_add_i32 s23, s23, s22
	v_add_u32_e32 v1, s23, v1
	global_store_dword v62, v1, s[18:19] offset:896
.LBB142_18:
	s_or_b64 exec, exec, s[20:21]
	s_cmp_lt_i32 s0, s1
	s_cbranch_scc0 .LBB142_149
; %bb.19:
	s_load_dword s0, s[4:5], 0x0
	v_and_b32_e32 v0, 31, v0
	v_mov_b32_e32 v1, 0
	v_cmp_gt_i64_e64 s[18:19], s[36:37], v[0:1]
	v_or_b32_e32 v2, 32, v0
	s_waitcnt lgkmcnt(0)
	s_cmp_eq_u32 s0, 0
	s_cselect_b64 s[0:1], -1, 0
	v_mov_b32_e32 v3, v1
	s_and_b64 s[44:45], vcc, s[18:19]
	v_cmp_gt_i64_e64 s[20:21], s[36:37], v[2:3]
	v_writelane_b32 v84, s44, 3
	v_or_b32_e32 v4, 64, v0
	v_mov_b32_e32 v5, v1
	v_writelane_b32 v84, s45, 4
	s_and_b64 s[44:45], vcc, s[20:21]
	v_cmp_gt_i64_e64 s[22:23], s[36:37], v[4:5]
	v_writelane_b32 v84, s44, 5
	v_or_b32_e32 v6, 0x60, v0
	v_mov_b32_e32 v7, v1
	v_writelane_b32 v84, s45, 6
	;; [unrolled: 6-line block ×6, first 2 shown]
	s_and_b64 s[44:45], vcc, s[30:31]
	v_cmp_gt_i64_e64 s[34:35], s[36:37], v[14:15]
	v_writelane_b32 v84, s44, 15
	v_writelane_b32 v84, s45, 16
	s_and_b64 s[44:45], vcc, s[34:35]
	v_writelane_b32 v84, s44, 17
	v_writelane_b32 v84, s45, 18
	s_and_b64 s[44:45], s[2:3], s[18:19]
	v_writelane_b32 v84, s44, 19
	v_writelane_b32 v84, s45, 20
	s_and_b64 s[44:45], s[2:3], s[20:21]
	;; [unrolled: 3-line block ×23, first 2 shown]
	s_and_b64 s[8:9], s[8:9], s[34:35]
	s_and_b64 s[50:51], s[10:11], s[18:19]
	;; [unrolled: 1-line block ×33, first 2 shown]
	s_load_dwordx2 s[34:35], s[4:5], 0x30
	s_ashr_i32 s39, s38, 31
	s_lshl_b64 s[44:45], s[38:39], 3
	v_or_b32_e32 v5, 0xe0, v16
	v_or_b32_e32 v7, 0xc0, v16
	;; [unrolled: 1-line block ×5, first 2 shown]
	s_waitcnt lgkmcnt(0)
	s_add_u32 s34, s34, s44
	v_mul_lo_u32 v3, v16, s33
	v_mul_lo_u32 v5, v5, s33
	;; [unrolled: 1-line block ×8, first 2 shown]
	s_mul_hi_u32 s33, s36, s38
	s_mul_i32 s39, s36, s39
	s_addc_u32 s35, s35, s45
	s_add_i32 s33, s33, s39
	s_mul_i32 s39, s37, s38
	s_add_i32 s45, s33, s39
	s_mul_i32 s44, s36, s38
	s_lshl_b64 s[46:47], s[44:45], 2
	v_add_u32_e32 v19, s44, v3
	v_mov_b32_e32 v3, s47
	v_add_co_u32_e32 v21, vcc, s46, v62
	v_addc_co_u32_e32 v23, vcc, 0, v3, vcc
	s_movk_i32 s39, 0x380
	v_add_co_u32_e32 v25, vcc, s39, v21
	v_addc_co_u32_e32 v27, vcc, 0, v23, vcc
	s_movk_i32 s33, 0x300
	;; [unrolled: 3-line block ×6, first 2 shown]
	v_add_co_u32_e32 v42, vcc, s95, v21
	v_add_u32_e32 v5, s44, v5
	v_add_u32_e32 v7, s44, v7
	;; [unrolled: 1-line block ×7, first 2 shown]
	v_addc_co_u32_e32 v43, vcc, 0, v23, vcc
	s_movk_i32 s44, 0x80
	v_add_co_u32_e32 v44, vcc, s44, v21
	v_addc_co_u32_e32 v45, vcc, 0, v23, vcc
	v_lshlrev_b32_e32 v46, 2, v0
	v_add_co_u32_e32 v48, vcc, s46, v46
	v_addc_co_u32_e32 v49, vcc, 0, v3, vcc
	v_add_co_u32_e32 v50, vcc, s44, v48
	v_addc_co_u32_e32 v51, vcc, 0, v49, vcc
	;; [unrolled: 2-line block ×3, first 2 shown]
	v_add_co_u32_e32 v54, vcc, s94, v48
	v_mov_b32_e32 v47, v1
	v_addc_co_u32_e32 v55, vcc, 0, v49, vcc
	v_mov_b32_e32 v16, v1
	v_mov_b32_e32 v18, v1
	;; [unrolled: 1-line block ×9, first 2 shown]
	v_mul_lo_u32 v1, s36, v27
	v_mul_lo_u32 v27, s37, v25
	v_mad_u64_u32 v[32:33], s[46:47], s36, v25, v[46:47]
	v_add_co_u32_e32 v56, vcc, s93, v48
	v_add3_u32 v33, v27, v33, v1
	v_mul_lo_u32 v1, s36, v31
	v_mul_lo_u32 v25, s37, v29
	v_mad_u64_u32 v[34:35], s[46:47], s36, v29, v[46:47]
	v_addc_co_u32_e32 v57, vcc, 0, v49, vcc
	v_add3_u32 v35, v25, v35, v1
	v_mul_lo_u32 v1, s36, v37
	v_mul_lo_u32 v25, s37, v36
	v_mad_u64_u32 v[36:37], s[46:47], s36, v36, v[46:47]
	v_add_co_u32_e32 v58, vcc, s92, v48
	v_add3_u32 v37, v25, v37, v1
	v_mul_lo_u32 v1, s36, v39
	v_mul_lo_u32 v25, s37, v38
	v_mad_u64_u32 v[38:39], s[46:47], s36, v38, v[46:47]
	v_addc_co_u32_e32 v59, vcc, 0, v49, vcc
	v_add3_u32 v39, v25, v39, v1
	;; [unrolled: 10-line block ×4, first 2 shown]
	v_mul_lo_u32 v1, s36, v49
	v_mul_lo_u32 v21, s37, v48
	v_mad_u64_u32 v[48:49], s[46:47], s36, v48, v[62:63]
	v_add3_u32 v49, v21, v49, v1
	v_mul_lo_u32 v1, s36, v51
	v_mul_lo_u32 v21, s37, v50
	v_mad_u64_u32 v[50:51], s[46:47], s36, v50, v[62:63]
	v_add3_u32 v51, v21, v51, v1
	;; [unrolled: 4-line block ×3, first 2 shown]
	v_mul_lo_u32 v1, s36, v55
	v_mul_lo_u32 v21, s37, v54
	v_mad_u64_u32 v[54:55], s[46:47], s36, v54, v[62:63]
	s_load_dwordx2 s[40:41], s[4:5], 0x48
	s_load_dwordx2 s[42:43], s[4:5], 0x20
	v_add3_u32 v55, v21, v55, v1
	s_load_dwordx2 s[4:5], s[4:5], 0x58
	v_mul_lo_u32 v1, s36, v57
	v_mul_lo_u32 v21, s37, v56
	v_mad_u64_u32 v[56:57], s[46:47], s36, v56, v[62:63]
	v_add3_u32 v57, v21, v57, v1
	v_mul_lo_u32 v1, s36, v59
	v_mul_lo_u32 v21, s37, v58
	v_mad_u64_u32 v[58:59], s[46:47], s36, v58, v[62:63]
	v_add3_u32 v59, v21, v59, v1
	;; [unrolled: 4-line block ×3, first 2 shown]
	v_mul_lo_u32 v1, s36, v65
	v_mul_lo_u32 v21, s37, v64
	v_mad_u64_u32 v[62:63], s[46:47], s36, v64, v[62:63]
	v_mov_b32_e32 v3, v0
	v_mul_lo_u32 v5, s36, v5
	v_mul_lo_u32 v7, s36, v7
	;; [unrolled: 1-line block ×8, first 2 shown]
	s_lshl_b64 s[88:89], s[88:89], 2
	v_add3_u32 v63, v21, v63, v1
	v_mov_b32_e32 v1, 0x60
	v_mov_b32_e32 v21, 0x80
	;; [unrolled: 1-line block ×5, first 2 shown]
	s_mov_b32 s45, s36
	s_branch .LBB142_21
.LBB142_20:                             ;   in Loop: Header=BB142_21 Depth=1
	s_or_b64 exec, exec, s[90:91]
	v_mov_b32_e32 v29, s45
	v_add_co_u32_e32 v16, vcc, 0, v16
	v_addc_co_u32_e32 v5, vcc, v5, v29, vcc
	v_add_co_u32_e32 v18, vcc, 0, v18
	v_addc_co_u32_e32 v7, vcc, v7, v29, vcc
	v_add_co_u32_e32 v20, vcc, 0, v20
	v_addc_co_u32_e32 v9, vcc, v9, v29, vcc
	v_add_co_u32_e32 v22, vcc, 0, v22
	v_addc_co_u32_e32 v11, vcc, v11, v29, vcc
	v_add_co_u32_e32 v24, vcc, 0, v24
	v_addc_co_u32_e32 v13, vcc, v13, v29, vcc
	s_add_i32 s38, s38, 1
	v_add_co_u32_e32 v26, vcc, 0, v26
	v_addc_co_u32_e32 v15, vcc, v15, v29, vcc
	s_add_u32 s34, s34, 8
	v_add_co_u32_e32 v28, vcc, 0, v28
	s_addc_u32 s35, s35, 0
	v_addc_co_u32_e32 v17, vcc, v17, v29, vcc
	s_add_u32 s42, s42, s88
	s_addc_u32 s43, s43, s89
	v_readlane_b32 s46, v84, 1
	v_add_co_u32_e32 v30, vcc, 0, v30
	s_cmp_ge_i32 s38, s46
	v_addc_co_u32_e32 v19, vcc, v19, v29, vcc
	s_cbranch_scc1 .LBB142_149
.LBB142_21:                             ; =>This Inner Loop Header: Depth=1
	s_load_dwordx2 s[46:47], s[34:35], 0x0
	v_readlane_b32 s90, v84, 0
	s_waitcnt lgkmcnt(0)
	s_sub_u32 s46, s46, s90
	s_subb_u32 s47, s47, 0
	s_mul_i32 s90, s46, s37
	s_mul_hi_u32 s91, s46, s36
	s_add_i32 s90, s91, s90
	s_mul_i32 s47, s47, s36
	s_mul_i32 s46, s46, s36
	s_add_i32 s90, s90, s47
	v_readlane_b32 s47, v84, 2
	s_add_u32 s46, s46, s47
	s_addc_u32 s47, s90, 0
	v_mov_b32_e32 v29, s47
	v_add_co_u32_e32 v68, vcc, s46, v0
	v_addc_co_u32_e32 v69, vcc, 0, v29, vcc
	s_mov_b64 s[90:91], exec
	v_readlane_b32 vcc_lo, v84, 3
	v_readlane_b32 vcc_hi, v84, 4
	s_and_b64 vcc, s[90:91], vcc
	s_mov_b64 exec, vcc
	s_cbranch_execz .LBB142_23
; %bb.22:                               ;   in Loop: Header=BB142_21 Depth=1
	v_cndmask_b32_e64 v31, v48, v46, s[0:1]
	v_cndmask_b32_e64 v29, v49, v47, s[0:1]
	v_mov_b32_e32 v65, s43
	v_add_co_u32_e32 v64, vcc, s42, v31
	v_addc_co_u32_e32 v65, vcc, v65, v29, vcc
	global_load_dword v29, v[64:65], off
	v_add_co_u32_e32 v64, vcc, 0, v30
	v_addc_co_u32_e32 v65, vcc, v3, v19, vcc
	v_ashrrev_i64 v[66:67], 29, v[64:65]
	v_mov_b32_e32 v31, s5
	v_add_co_u32_e32 v66, vcc, s4, v66
	v_addc_co_u32_e32 v67, vcc, v31, v67, vcc
	v_ashrrev_i64 v[64:65], 30, v[64:65]
	v_mov_b32_e32 v31, s41
	v_add_co_u32_e32 v64, vcc, s40, v64
	v_addc_co_u32_e32 v65, vcc, v31, v65, vcc
	global_store_dwordx2 v[66:67], v[68:69], off
	s_waitcnt vmcnt(1)
	global_store_dword v[64:65], v29, off
.LBB142_23:                             ;   in Loop: Header=BB142_21 Depth=1
	s_or_b64 exec, exec, s[90:91]
	v_mov_b32_e32 v29, s47
	v_add_co_u32_e32 v64, vcc, s46, v2
	v_addc_co_u32_e32 v65, vcc, 0, v29, vcc
	s_mov_b64 s[90:91], exec
	v_readlane_b32 vcc_lo, v84, 5
	v_readlane_b32 vcc_hi, v84, 6
	s_and_b64 vcc, s[90:91], vcc
	s_mov_b64 exec, vcc
	s_cbranch_execz .LBB142_25
; %bb.24:                               ;   in Loop: Header=BB142_21 Depth=1
	v_mov_b32_e32 v29, s43
	v_add_co_u32_e32 v31, vcc, s42, v46
	v_addc_co_u32_e32 v66, vcc, v29, v47, vcc
	v_add_co_u32_e32 v31, vcc, s44, v31
	v_addc_co_u32_e32 v66, vcc, 0, v66, vcc
	v_add_co_u32_e32 v70, vcc, s42, v50
	v_addc_co_u32_e32 v29, vcc, v29, v51, vcc
	v_cndmask_b32_e64 v67, v29, v66, s[0:1]
	v_cndmask_b32_e64 v66, v70, v31, s[0:1]
	global_load_dword v29, v[66:67], off
	v_add_co_u32_e32 v31, vcc, 0, v30
	v_addc_co_u32_e32 v67, vcc, v3, v19, vcc
	v_add_co_u32_e32 v66, vcc, 0, v31
	v_addc_co_u32_e32 v67, vcc, 32, v67, vcc
	v_ashrrev_i64 v[70:71], 29, v[66:67]
	v_mov_b32_e32 v31, s5
	v_add_co_u32_e32 v70, vcc, s4, v70
	v_addc_co_u32_e32 v71, vcc, v31, v71, vcc
	v_ashrrev_i64 v[66:67], 30, v[66:67]
	v_mov_b32_e32 v31, s41
	v_add_co_u32_e32 v66, vcc, s40, v66
	v_addc_co_u32_e32 v67, vcc, v31, v67, vcc
	global_store_dwordx2 v[70:71], v[64:65], off
	s_waitcnt vmcnt(1)
	global_store_dword v[66:67], v29, off
.LBB142_25:                             ;   in Loop: Header=BB142_21 Depth=1
	s_or_b64 exec, exec, s[90:91]
	v_mov_b32_e32 v29, s47
	v_add_co_u32_e32 v66, vcc, s46, v4
	v_addc_co_u32_e32 v67, vcc, 0, v29, vcc
	s_mov_b64 s[90:91], exec
	v_readlane_b32 vcc_lo, v84, 7
	v_readlane_b32 vcc_hi, v84, 8
	s_and_b64 vcc, s[90:91], vcc
	s_mov_b64 exec, vcc
	s_cbranch_execz .LBB142_27
; %bb.26:                               ;   in Loop: Header=BB142_21 Depth=1
	v_mov_b32_e32 v29, s43
	v_add_co_u32_e32 v31, vcc, s42, v46
	v_addc_co_u32_e32 v70, vcc, v29, v47, vcc
	v_add_co_u32_e32 v31, vcc, s95, v31
	v_addc_co_u32_e32 v70, vcc, 0, v70, vcc
	v_add_co_u32_e32 v72, vcc, s42, v52
	v_addc_co_u32_e32 v29, vcc, v29, v53, vcc
	v_cndmask_b32_e64 v71, v29, v70, s[0:1]
	v_cndmask_b32_e64 v70, v72, v31, s[0:1]
	global_load_dword v29, v[70:71], off
	v_add_co_u32_e32 v31, vcc, 0, v30
	v_addc_co_u32_e32 v71, vcc, v3, v19, vcc
	v_add_co_u32_e32 v70, vcc, 0, v31
	v_addc_co_u32_e32 v71, vcc, 64, v71, vcc
	v_ashrrev_i64 v[72:73], 29, v[70:71]
	v_mov_b32_e32 v31, s5
	v_add_co_u32_e32 v72, vcc, s4, v72
	v_addc_co_u32_e32 v73, vcc, v31, v73, vcc
	v_ashrrev_i64 v[70:71], 30, v[70:71]
	v_mov_b32_e32 v31, s41
	v_add_co_u32_e32 v70, vcc, s40, v70
	v_addc_co_u32_e32 v71, vcc, v31, v71, vcc
	global_store_dwordx2 v[72:73], v[66:67], off
	s_waitcnt vmcnt(1)
	global_store_dword v[70:71], v29, off
.LBB142_27:                             ;   in Loop: Header=BB142_21 Depth=1
	;; [unrolled: 37-line block ×6, first 2 shown]
	s_or_b64 exec, exec, s[90:91]
	v_mov_b32_e32 v29, s47
	v_add_co_u32_e32 v78, vcc, s46, v14
	v_addc_co_u32_e32 v79, vcc, 0, v29, vcc
	s_mov_b64 s[90:91], exec
	v_readlane_b32 s46, v84, 17
	v_readlane_b32 s47, v84, 18
	s_and_b64 s[46:47], s[90:91], s[46:47]
	s_mov_b64 exec, s[46:47]
	s_cbranch_execz .LBB142_37
; %bb.36:                               ;   in Loop: Header=BB142_21 Depth=1
	v_mov_b32_e32 v29, s43
	v_add_co_u32_e32 v31, vcc, s42, v46
	v_addc_co_u32_e32 v80, vcc, v29, v47, vcc
	v_add_co_u32_e32 v31, vcc, s39, v31
	v_addc_co_u32_e32 v80, vcc, 0, v80, vcc
	;; [unrolled: 2-line block ×3, first 2 shown]
	v_cndmask_b32_e64 v81, v29, v80, s[0:1]
	v_cndmask_b32_e64 v80, v82, v31, s[0:1]
	global_load_dword v29, v[80:81], off
	v_add_co_u32_e32 v31, vcc, 0, v30
	v_addc_co_u32_e32 v81, vcc, v3, v19, vcc
	v_add_co_u32_e32 v80, vcc, 0, v31
	v_addc_co_u32_e32 v81, vcc, v81, v27, vcc
	v_ashrrev_i64 v[82:83], 29, v[80:81]
	v_mov_b32_e32 v31, s5
	v_add_co_u32_e32 v82, vcc, s4, v82
	v_addc_co_u32_e32 v83, vcc, v31, v83, vcc
	v_ashrrev_i64 v[80:81], 30, v[80:81]
	v_mov_b32_e32 v31, s41
	v_add_co_u32_e32 v80, vcc, s40, v80
	v_addc_co_u32_e32 v81, vcc, v31, v81, vcc
	global_store_dwordx2 v[82:83], v[78:79], off
	s_waitcnt vmcnt(1)
	global_store_dword v[80:81], v29, off
.LBB142_37:                             ;   in Loop: Header=BB142_21 Depth=1
	s_or_b64 exec, exec, s[90:91]
	s_mov_b64 s[90:91], exec
	v_readlane_b32 s46, v84, 19
	v_readlane_b32 s47, v84, 20
	s_and_b64 s[46:47], s[90:91], s[46:47]
	s_mov_b64 exec, s[46:47]
	s_cbranch_execz .LBB142_39
; %bb.38:                               ;   in Loop: Header=BB142_21 Depth=1
	v_mov_b32_e32 v29, s43
	v_add_co_u32_e32 v31, vcc, s42, v44
	v_addc_co_u32_e32 v80, vcc, v29, v45, vcc
	v_add_co_u32_e32 v81, vcc, s42, v48
	v_addc_co_u32_e32 v29, vcc, v29, v49, vcc
	;; [unrolled: 2-line block ×3, first 2 shown]
	v_cndmask_b32_e64 v81, v29, v80, s[0:1]
	v_cndmask_b32_e64 v80, v82, v31, s[0:1]
	global_load_dword v29, v[80:81], off
	v_add_co_u32_e32 v80, vcc, 0, v28
	v_addc_co_u32_e32 v81, vcc, v3, v17, vcc
	v_ashrrev_i64 v[82:83], 29, v[80:81]
	v_mov_b32_e32 v31, s5
	v_add_co_u32_e32 v82, vcc, s4, v82
	v_addc_co_u32_e32 v83, vcc, v31, v83, vcc
	v_ashrrev_i64 v[80:81], 30, v[80:81]
	v_mov_b32_e32 v31, s41
	v_add_co_u32_e32 v80, vcc, s40, v80
	v_addc_co_u32_e32 v81, vcc, v31, v81, vcc
	global_store_dwordx2 v[82:83], v[68:69], off
	s_waitcnt vmcnt(1)
	global_store_dword v[80:81], v29, off
.LBB142_39:                             ;   in Loop: Header=BB142_21 Depth=1
	s_or_b64 exec, exec, s[90:91]
	s_mov_b64 s[90:91], exec
	v_readlane_b32 s46, v84, 21
	v_readlane_b32 s47, v84, 22
	s_and_b64 s[46:47], s[90:91], s[46:47]
	s_mov_b64 exec, s[46:47]
	s_cbranch_execz .LBB142_41
; %bb.40:                               ;   in Loop: Header=BB142_21 Depth=1
	v_cndmask_b32_e64 v31, v50, v44, s[0:1]
	v_cndmask_b32_e64 v29, v51, v45, s[0:1]
	v_mov_b32_e32 v81, s43
	v_add_co_u32_e32 v80, vcc, s42, v31
	v_addc_co_u32_e32 v81, vcc, v81, v29, vcc
	global_load_dword v29, v[80:81], off offset:128
	v_add_co_u32_e32 v31, vcc, 0, v28
	v_addc_co_u32_e32 v81, vcc, v3, v17, vcc
	v_add_co_u32_e32 v80, vcc, 0, v31
	v_addc_co_u32_e32 v81, vcc, 32, v81, vcc
	v_ashrrev_i64 v[82:83], 29, v[80:81]
	v_mov_b32_e32 v31, s5
	v_add_co_u32_e32 v82, vcc, s4, v82
	v_addc_co_u32_e32 v83, vcc, v31, v83, vcc
	v_ashrrev_i64 v[80:81], 30, v[80:81]
	v_mov_b32_e32 v31, s41
	v_add_co_u32_e32 v80, vcc, s40, v80
	v_addc_co_u32_e32 v81, vcc, v31, v81, vcc
	global_store_dwordx2 v[82:83], v[64:65], off
	s_waitcnt vmcnt(1)
	global_store_dword v[80:81], v29, off
.LBB142_41:                             ;   in Loop: Header=BB142_21 Depth=1
	s_or_b64 exec, exec, s[90:91]
	s_mov_b64 s[90:91], exec
	v_readlane_b32 s46, v84, 23
	v_readlane_b32 s47, v84, 24
	s_and_b64 s[46:47], s[90:91], s[46:47]
	s_mov_b64 exec, s[46:47]
	s_cbranch_execz .LBB142_43
; %bb.42:                               ;   in Loop: Header=BB142_21 Depth=1
	v_mov_b32_e32 v29, s43
	v_add_co_u32_e32 v31, vcc, s42, v44
	v_addc_co_u32_e32 v80, vcc, v29, v45, vcc
	v_add_co_u32_e32 v31, vcc, s95, v31
	v_addc_co_u32_e32 v80, vcc, 0, v80, vcc
	v_add_co_u32_e32 v81, vcc, s42, v52
	v_addc_co_u32_e32 v29, vcc, v29, v53, vcc
	v_add_co_u32_e32 v82, vcc, 0x80, v81
	v_addc_co_u32_e32 v29, vcc, 0, v29, vcc
	v_cndmask_b32_e64 v81, v29, v80, s[0:1]
	v_cndmask_b32_e64 v80, v82, v31, s[0:1]
	global_load_dword v29, v[80:81], off
	v_add_co_u32_e32 v31, vcc, 0, v28
	v_addc_co_u32_e32 v81, vcc, v3, v17, vcc
	v_add_co_u32_e32 v80, vcc, 0, v31
	v_addc_co_u32_e32 v81, vcc, 64, v81, vcc
	v_ashrrev_i64 v[82:83], 29, v[80:81]
	v_mov_b32_e32 v31, s5
	v_add_co_u32_e32 v82, vcc, s4, v82
	v_addc_co_u32_e32 v83, vcc, v31, v83, vcc
	v_ashrrev_i64 v[80:81], 30, v[80:81]
	v_mov_b32_e32 v31, s41
	v_add_co_u32_e32 v80, vcc, s40, v80
	v_addc_co_u32_e32 v81, vcc, v31, v81, vcc
	global_store_dwordx2 v[82:83], v[66:67], off
	s_waitcnt vmcnt(1)
	global_store_dword v[80:81], v29, off
.LBB142_43:                             ;   in Loop: Header=BB142_21 Depth=1
	s_or_b64 exec, exec, s[90:91]
	s_mov_b64 s[90:91], exec
	v_readlane_b32 s46, v84, 25
	v_readlane_b32 s47, v84, 26
	s_and_b64 s[46:47], s[90:91], s[46:47]
	s_mov_b64 exec, s[46:47]
	s_cbranch_execz .LBB142_45
; %bb.44:                               ;   in Loop: Header=BB142_21 Depth=1
	v_mov_b32_e32 v29, s43
	v_add_co_u32_e32 v31, vcc, s42, v44
	v_addc_co_u32_e32 v80, vcc, v29, v45, vcc
	v_add_co_u32_e32 v31, vcc, s94, v31
	v_addc_co_u32_e32 v80, vcc, 0, v80, vcc
	v_add_co_u32_e32 v81, vcc, s42, v54
	v_addc_co_u32_e32 v29, vcc, v29, v55, vcc
	v_add_co_u32_e32 v82, vcc, 0x80, v81
	v_addc_co_u32_e32 v29, vcc, 0, v29, vcc
	v_cndmask_b32_e64 v81, v29, v80, s[0:1]
	v_cndmask_b32_e64 v80, v82, v31, s[0:1]
	global_load_dword v29, v[80:81], off
	v_add_co_u32_e32 v31, vcc, 0, v28
	v_addc_co_u32_e32 v81, vcc, v3, v17, vcc
	v_add_co_u32_e32 v80, vcc, 0, v31
	v_addc_co_u32_e32 v81, vcc, v81, v1, vcc
	v_ashrrev_i64 v[82:83], 29, v[80:81]
	v_mov_b32_e32 v31, s5
	v_add_co_u32_e32 v82, vcc, s4, v82
	v_addc_co_u32_e32 v83, vcc, v31, v83, vcc
	v_ashrrev_i64 v[80:81], 30, v[80:81]
	v_mov_b32_e32 v31, s41
	v_add_co_u32_e32 v80, vcc, s40, v80
	v_addc_co_u32_e32 v81, vcc, v31, v81, vcc
	global_store_dwordx2 v[82:83], v[70:71], off
	s_waitcnt vmcnt(1)
	global_store_dword v[80:81], v29, off
.LBB142_45:                             ;   in Loop: Header=BB142_21 Depth=1
	;; [unrolled: 36-line block ×6, first 2 shown]
	s_or_b64 exec, exec, s[90:91]
	s_mov_b64 s[90:91], exec
	v_readlane_b32 s46, v84, 35
	v_readlane_b32 s47, v84, 36
	s_and_b64 s[46:47], s[90:91], s[46:47]
	s_mov_b64 exec, s[46:47]
	s_cbranch_execz .LBB142_55
; %bb.54:                               ;   in Loop: Header=BB142_21 Depth=1
	v_mov_b32_e32 v29, s43
	v_add_co_u32_e32 v31, vcc, s42, v42
	v_addc_co_u32_e32 v80, vcc, v29, v43, vcc
	v_add_co_u32_e32 v81, vcc, s42, v48
	v_addc_co_u32_e32 v29, vcc, v29, v49, vcc
	;; [unrolled: 2-line block ×3, first 2 shown]
	v_cndmask_b32_e64 v81, v29, v80, s[0:1]
	v_cndmask_b32_e64 v80, v82, v31, s[0:1]
	global_load_dword v29, v[80:81], off
	v_add_co_u32_e32 v80, vcc, 0, v26
	v_addc_co_u32_e32 v81, vcc, v3, v15, vcc
	v_ashrrev_i64 v[82:83], 29, v[80:81]
	v_mov_b32_e32 v31, s5
	v_add_co_u32_e32 v82, vcc, s4, v82
	v_addc_co_u32_e32 v83, vcc, v31, v83, vcc
	v_ashrrev_i64 v[80:81], 30, v[80:81]
	v_mov_b32_e32 v31, s41
	v_add_co_u32_e32 v80, vcc, s40, v80
	v_addc_co_u32_e32 v81, vcc, v31, v81, vcc
	global_store_dwordx2 v[82:83], v[68:69], off
	s_waitcnt vmcnt(1)
	global_store_dword v[80:81], v29, off
.LBB142_55:                             ;   in Loop: Header=BB142_21 Depth=1
	s_or_b64 exec, exec, s[90:91]
	s_mov_b64 s[90:91], exec
	v_readlane_b32 s46, v84, 37
	v_readlane_b32 s47, v84, 38
	s_and_b64 s[46:47], s[90:91], s[46:47]
	s_mov_b64 exec, s[46:47]
	s_cbranch_execz .LBB142_57
; %bb.56:                               ;   in Loop: Header=BB142_21 Depth=1
	v_mov_b32_e32 v29, s43
	v_add_co_u32_e32 v31, vcc, s42, v42
	v_addc_co_u32_e32 v80, vcc, v29, v43, vcc
	v_add_co_u32_e32 v31, vcc, s44, v31
	v_addc_co_u32_e32 v80, vcc, 0, v80, vcc
	;; [unrolled: 2-line block ×4, first 2 shown]
	v_cndmask_b32_e64 v81, v29, v80, s[0:1]
	v_cndmask_b32_e64 v80, v82, v31, s[0:1]
	global_load_dword v29, v[80:81], off
	v_add_co_u32_e32 v31, vcc, 0, v26
	v_addc_co_u32_e32 v81, vcc, v3, v15, vcc
	v_add_co_u32_e32 v80, vcc, 0, v31
	v_addc_co_u32_e32 v81, vcc, 32, v81, vcc
	v_ashrrev_i64 v[82:83], 29, v[80:81]
	v_mov_b32_e32 v31, s5
	v_add_co_u32_e32 v82, vcc, s4, v82
	v_addc_co_u32_e32 v83, vcc, v31, v83, vcc
	v_ashrrev_i64 v[80:81], 30, v[80:81]
	v_mov_b32_e32 v31, s41
	v_add_co_u32_e32 v80, vcc, s40, v80
	v_addc_co_u32_e32 v81, vcc, v31, v81, vcc
	global_store_dwordx2 v[82:83], v[64:65], off
	s_waitcnt vmcnt(1)
	global_store_dword v[80:81], v29, off
.LBB142_57:                             ;   in Loop: Header=BB142_21 Depth=1
	s_or_b64 exec, exec, s[90:91]
	s_mov_b64 s[90:91], exec
	v_readlane_b32 s46, v84, 39
	v_readlane_b32 s47, v84, 40
	s_and_b64 s[46:47], s[90:91], s[46:47]
	s_mov_b64 exec, s[46:47]
	s_cbranch_execz .LBB142_59
; %bb.58:                               ;   in Loop: Header=BB142_21 Depth=1
	v_cndmask_b32_e64 v31, v52, v42, s[0:1]
	v_cndmask_b32_e64 v29, v53, v43, s[0:1]
	v_mov_b32_e32 v81, s43
	v_add_co_u32_e32 v80, vcc, s42, v31
	v_addc_co_u32_e32 v81, vcc, v81, v29, vcc
	global_load_dword v29, v[80:81], off offset:256
	v_add_co_u32_e32 v31, vcc, 0, v26
	v_addc_co_u32_e32 v81, vcc, v3, v15, vcc
	v_add_co_u32_e32 v80, vcc, 0, v31
	v_addc_co_u32_e32 v81, vcc, 64, v81, vcc
	v_ashrrev_i64 v[82:83], 29, v[80:81]
	v_mov_b32_e32 v31, s5
	v_add_co_u32_e32 v82, vcc, s4, v82
	v_addc_co_u32_e32 v83, vcc, v31, v83, vcc
	v_ashrrev_i64 v[80:81], 30, v[80:81]
	v_mov_b32_e32 v31, s41
	v_add_co_u32_e32 v80, vcc, s40, v80
	v_addc_co_u32_e32 v81, vcc, v31, v81, vcc
	global_store_dwordx2 v[82:83], v[66:67], off
	s_waitcnt vmcnt(1)
	global_store_dword v[80:81], v29, off
.LBB142_59:                             ;   in Loop: Header=BB142_21 Depth=1
	s_or_b64 exec, exec, s[90:91]
	s_mov_b64 s[90:91], exec
	v_readlane_b32 s46, v84, 41
	v_readlane_b32 s47, v84, 42
	s_and_b64 s[46:47], s[90:91], s[46:47]
	s_mov_b64 exec, s[46:47]
	s_cbranch_execz .LBB142_61
; %bb.60:                               ;   in Loop: Header=BB142_21 Depth=1
	v_mov_b32_e32 v29, s43
	v_add_co_u32_e32 v31, vcc, s42, v42
	v_addc_co_u32_e32 v80, vcc, v29, v43, vcc
	v_add_co_u32_e32 v31, vcc, s94, v31
	v_addc_co_u32_e32 v80, vcc, 0, v80, vcc
	v_add_co_u32_e32 v81, vcc, s42, v54
	v_addc_co_u32_e32 v29, vcc, v29, v55, vcc
	v_add_co_u32_e32 v82, vcc, 0x100, v81
	v_addc_co_u32_e32 v29, vcc, 0, v29, vcc
	v_cndmask_b32_e64 v81, v29, v80, s[0:1]
	v_cndmask_b32_e64 v80, v82, v31, s[0:1]
	global_load_dword v29, v[80:81], off
	v_add_co_u32_e32 v31, vcc, 0, v26
	v_addc_co_u32_e32 v81, vcc, v3, v15, vcc
	v_add_co_u32_e32 v80, vcc, 0, v31
	v_addc_co_u32_e32 v81, vcc, v81, v1, vcc
	v_ashrrev_i64 v[82:83], 29, v[80:81]
	v_mov_b32_e32 v31, s5
	v_add_co_u32_e32 v82, vcc, s4, v82
	v_addc_co_u32_e32 v83, vcc, v31, v83, vcc
	v_ashrrev_i64 v[80:81], 30, v[80:81]
	v_mov_b32_e32 v31, s41
	v_add_co_u32_e32 v80, vcc, s40, v80
	v_addc_co_u32_e32 v81, vcc, v31, v81, vcc
	global_store_dwordx2 v[82:83], v[70:71], off
	s_waitcnt vmcnt(1)
	global_store_dword v[80:81], v29, off
.LBB142_61:                             ;   in Loop: Header=BB142_21 Depth=1
	s_or_b64 exec, exec, s[90:91]
	s_mov_b64 s[90:91], exec
	v_readlane_b32 s46, v84, 43
	v_readlane_b32 s47, v84, 44
	s_and_b64 s[46:47], s[90:91], s[46:47]
	s_mov_b64 exec, s[46:47]
	s_cbranch_execz .LBB142_63
; %bb.62:                               ;   in Loop: Header=BB142_21 Depth=1
	v_mov_b32_e32 v29, s43
	v_add_co_u32_e32 v31, vcc, s42, v42
	v_addc_co_u32_e32 v80, vcc, v29, v43, vcc
	v_add_co_u32_e32 v31, vcc, s93, v31
	v_addc_co_u32_e32 v80, vcc, 0, v80, vcc
	v_add_co_u32_e32 v81, vcc, s42, v56
	v_addc_co_u32_e32 v29, vcc, v29, v57, vcc
	v_add_co_u32_e32 v82, vcc, 0x100, v81
	v_addc_co_u32_e32 v29, vcc, 0, v29, vcc
	v_cndmask_b32_e64 v81, v29, v80, s[0:1]
	v_cndmask_b32_e64 v80, v82, v31, s[0:1]
	global_load_dword v29, v[80:81], off
	v_add_co_u32_e32 v31, vcc, 0, v26
	v_addc_co_u32_e32 v81, vcc, v3, v15, vcc
	v_add_co_u32_e32 v80, vcc, 0, v31
	v_addc_co_u32_e32 v81, vcc, v81, v21, vcc
	v_ashrrev_i64 v[82:83], 29, v[80:81]
	v_mov_b32_e32 v31, s5
	v_add_co_u32_e32 v82, vcc, s4, v82
	v_addc_co_u32_e32 v83, vcc, v31, v83, vcc
	v_ashrrev_i64 v[80:81], 30, v[80:81]
	v_mov_b32_e32 v31, s41
	v_add_co_u32_e32 v80, vcc, s40, v80
	v_addc_co_u32_e32 v81, vcc, v31, v81, vcc
	global_store_dwordx2 v[82:83], v[72:73], off
	s_waitcnt vmcnt(1)
	global_store_dword v[80:81], v29, off
.LBB142_63:                             ;   in Loop: Header=BB142_21 Depth=1
	;; [unrolled: 36-line block ×5, first 2 shown]
	s_or_b64 exec, exec, s[90:91]
	s_mov_b64 s[90:91], exec
	v_readlane_b32 s46, v84, 51
	v_readlane_b32 s47, v84, 52
	s_and_b64 s[46:47], s[90:91], s[46:47]
	s_mov_b64 exec, s[46:47]
	s_cbranch_execz .LBB142_71
; %bb.70:                               ;   in Loop: Header=BB142_21 Depth=1
	v_mov_b32_e32 v29, s43
	v_add_co_u32_e32 v31, vcc, s42, v40
	v_addc_co_u32_e32 v80, vcc, v29, v41, vcc
	v_add_co_u32_e32 v81, vcc, s42, v48
	v_addc_co_u32_e32 v29, vcc, v29, v49, vcc
	v_add_co_u32_e32 v82, vcc, 0x180, v81
	v_addc_co_u32_e32 v29, vcc, 0, v29, vcc
	v_cndmask_b32_e64 v81, v29, v80, s[0:1]
	v_cndmask_b32_e64 v80, v82, v31, s[0:1]
	global_load_dword v29, v[80:81], off
	v_add_co_u32_e32 v80, vcc, 0, v24
	v_addc_co_u32_e32 v81, vcc, v3, v13, vcc
	v_ashrrev_i64 v[82:83], 29, v[80:81]
	v_mov_b32_e32 v31, s5
	v_add_co_u32_e32 v82, vcc, s4, v82
	v_addc_co_u32_e32 v83, vcc, v31, v83, vcc
	v_ashrrev_i64 v[80:81], 30, v[80:81]
	v_mov_b32_e32 v31, s41
	v_add_co_u32_e32 v80, vcc, s40, v80
	v_addc_co_u32_e32 v81, vcc, v31, v81, vcc
	global_store_dwordx2 v[82:83], v[68:69], off
	s_waitcnt vmcnt(1)
	global_store_dword v[80:81], v29, off
.LBB142_71:                             ;   in Loop: Header=BB142_21 Depth=1
	s_or_b64 exec, exec, s[90:91]
	s_mov_b64 s[90:91], exec
	v_readlane_b32 s46, v84, 53
	v_readlane_b32 s47, v84, 54
	s_and_b64 s[46:47], s[90:91], s[46:47]
	s_mov_b64 exec, s[46:47]
	s_cbranch_execz .LBB142_73
; %bb.72:                               ;   in Loop: Header=BB142_21 Depth=1
	v_mov_b32_e32 v29, s43
	v_add_co_u32_e32 v31, vcc, s42, v40
	v_addc_co_u32_e32 v80, vcc, v29, v41, vcc
	v_add_co_u32_e32 v31, vcc, s44, v31
	v_addc_co_u32_e32 v80, vcc, 0, v80, vcc
	;; [unrolled: 2-line block ×4, first 2 shown]
	v_cndmask_b32_e64 v81, v29, v80, s[0:1]
	v_cndmask_b32_e64 v80, v82, v31, s[0:1]
	global_load_dword v29, v[80:81], off
	v_add_co_u32_e32 v31, vcc, 0, v24
	v_addc_co_u32_e32 v81, vcc, v3, v13, vcc
	v_add_co_u32_e32 v80, vcc, 0, v31
	v_addc_co_u32_e32 v81, vcc, 32, v81, vcc
	v_ashrrev_i64 v[82:83], 29, v[80:81]
	v_mov_b32_e32 v31, s5
	v_add_co_u32_e32 v82, vcc, s4, v82
	v_addc_co_u32_e32 v83, vcc, v31, v83, vcc
	v_ashrrev_i64 v[80:81], 30, v[80:81]
	v_mov_b32_e32 v31, s41
	v_add_co_u32_e32 v80, vcc, s40, v80
	v_addc_co_u32_e32 v81, vcc, v31, v81, vcc
	global_store_dwordx2 v[82:83], v[64:65], off
	s_waitcnt vmcnt(1)
	global_store_dword v[80:81], v29, off
.LBB142_73:                             ;   in Loop: Header=BB142_21 Depth=1
	s_or_b64 exec, exec, s[90:91]
	s_mov_b64 s[90:91], exec
	v_readlane_b32 s46, v84, 55
	v_readlane_b32 s47, v84, 56
	s_and_b64 s[46:47], s[90:91], s[46:47]
	s_mov_b64 exec, s[46:47]
	s_cbranch_execz .LBB142_75
; %bb.74:                               ;   in Loop: Header=BB142_21 Depth=1
	v_mov_b32_e32 v29, s43
	v_add_co_u32_e32 v31, vcc, s42, v40
	v_addc_co_u32_e32 v80, vcc, v29, v41, vcc
	v_add_co_u32_e32 v31, vcc, s95, v31
	v_addc_co_u32_e32 v80, vcc, 0, v80, vcc
	;; [unrolled: 2-line block ×4, first 2 shown]
	v_cndmask_b32_e64 v81, v29, v80, s[0:1]
	v_cndmask_b32_e64 v80, v82, v31, s[0:1]
	global_load_dword v29, v[80:81], off
	v_add_co_u32_e32 v31, vcc, 0, v24
	v_addc_co_u32_e32 v81, vcc, v3, v13, vcc
	v_add_co_u32_e32 v80, vcc, 0, v31
	v_addc_co_u32_e32 v81, vcc, 64, v81, vcc
	v_ashrrev_i64 v[82:83], 29, v[80:81]
	v_mov_b32_e32 v31, s5
	v_add_co_u32_e32 v82, vcc, s4, v82
	v_addc_co_u32_e32 v83, vcc, v31, v83, vcc
	v_ashrrev_i64 v[80:81], 30, v[80:81]
	v_mov_b32_e32 v31, s41
	v_add_co_u32_e32 v80, vcc, s40, v80
	v_addc_co_u32_e32 v81, vcc, v31, v81, vcc
	global_store_dwordx2 v[82:83], v[66:67], off
	s_waitcnt vmcnt(1)
	global_store_dword v[80:81], v29, off
.LBB142_75:                             ;   in Loop: Header=BB142_21 Depth=1
	s_or_b64 exec, exec, s[90:91]
	s_mov_b64 s[90:91], exec
	v_readlane_b32 s46, v84, 57
	v_readlane_b32 s47, v84, 58
	s_and_b64 s[46:47], s[90:91], s[46:47]
	s_mov_b64 exec, s[46:47]
	s_cbranch_execz .LBB142_77
; %bb.76:                               ;   in Loop: Header=BB142_21 Depth=1
	v_cndmask_b32_e64 v31, v54, v40, s[0:1]
	v_cndmask_b32_e64 v29, v55, v41, s[0:1]
	v_mov_b32_e32 v81, s43
	v_add_co_u32_e32 v80, vcc, s42, v31
	v_addc_co_u32_e32 v81, vcc, v81, v29, vcc
	global_load_dword v29, v[80:81], off offset:384
	v_add_co_u32_e32 v31, vcc, 0, v24
	v_addc_co_u32_e32 v81, vcc, v3, v13, vcc
	v_add_co_u32_e32 v80, vcc, 0, v31
	v_addc_co_u32_e32 v81, vcc, v81, v1, vcc
	v_ashrrev_i64 v[82:83], 29, v[80:81]
	v_mov_b32_e32 v31, s5
	v_add_co_u32_e32 v82, vcc, s4, v82
	v_addc_co_u32_e32 v83, vcc, v31, v83, vcc
	v_ashrrev_i64 v[80:81], 30, v[80:81]
	v_mov_b32_e32 v31, s41
	v_add_co_u32_e32 v80, vcc, s40, v80
	v_addc_co_u32_e32 v81, vcc, v31, v81, vcc
	global_store_dwordx2 v[82:83], v[70:71], off
	s_waitcnt vmcnt(1)
	global_store_dword v[80:81], v29, off
.LBB142_77:                             ;   in Loop: Header=BB142_21 Depth=1
	s_or_b64 exec, exec, s[90:91]
	s_mov_b64 s[90:91], exec
	v_readlane_b32 s46, v84, 59
	v_readlane_b32 s47, v84, 60
	s_and_b64 s[46:47], s[90:91], s[46:47]
	s_mov_b64 exec, s[46:47]
	s_cbranch_execz .LBB142_79
; %bb.78:                               ;   in Loop: Header=BB142_21 Depth=1
	v_mov_b32_e32 v29, s43
	v_add_co_u32_e32 v31, vcc, s42, v40
	v_addc_co_u32_e32 v80, vcc, v29, v41, vcc
	v_add_co_u32_e32 v31, vcc, s93, v31
	v_addc_co_u32_e32 v80, vcc, 0, v80, vcc
	v_add_co_u32_e32 v81, vcc, s42, v56
	v_addc_co_u32_e32 v29, vcc, v29, v57, vcc
	v_add_co_u32_e32 v82, vcc, 0x180, v81
	v_addc_co_u32_e32 v29, vcc, 0, v29, vcc
	v_cndmask_b32_e64 v81, v29, v80, s[0:1]
	v_cndmask_b32_e64 v80, v82, v31, s[0:1]
	global_load_dword v29, v[80:81], off
	v_add_co_u32_e32 v31, vcc, 0, v24
	v_addc_co_u32_e32 v81, vcc, v3, v13, vcc
	v_add_co_u32_e32 v80, vcc, 0, v31
	v_addc_co_u32_e32 v81, vcc, v81, v21, vcc
	v_ashrrev_i64 v[82:83], 29, v[80:81]
	v_mov_b32_e32 v31, s5
	v_add_co_u32_e32 v82, vcc, s4, v82
	v_addc_co_u32_e32 v83, vcc, v31, v83, vcc
	v_ashrrev_i64 v[80:81], 30, v[80:81]
	v_mov_b32_e32 v31, s41
	v_add_co_u32_e32 v80, vcc, s40, v80
	v_addc_co_u32_e32 v81, vcc, v31, v81, vcc
	global_store_dwordx2 v[82:83], v[72:73], off
	s_waitcnt vmcnt(1)
	global_store_dword v[80:81], v29, off
.LBB142_79:                             ;   in Loop: Header=BB142_21 Depth=1
	s_or_b64 exec, exec, s[90:91]
	s_mov_b64 s[90:91], exec
	v_readlane_b32 s46, v84, 61
	v_readlane_b32 s47, v84, 62
	s_and_b64 s[46:47], s[90:91], s[46:47]
	s_mov_b64 exec, s[46:47]
	s_cbranch_execnz .LBB142_114
; %bb.80:                               ;   in Loop: Header=BB142_21 Depth=1
	s_or_b64 exec, exec, s[90:91]
	s_and_saveexec_b64 s[90:91], s[48:49]
	s_cbranch_execnz .LBB142_115
.LBB142_81:                             ;   in Loop: Header=BB142_21 Depth=1
	s_or_b64 exec, exec, s[90:91]
	s_and_saveexec_b64 s[90:91], s[8:9]
	s_cbranch_execnz .LBB142_116
.LBB142_82:                             ;   in Loop: Header=BB142_21 Depth=1
	s_or_b64 exec, exec, s[90:91]
	s_and_saveexec_b64 s[90:91], s[50:51]
	s_cbranch_execnz .LBB142_117
.LBB142_83:                             ;   in Loop: Header=BB142_21 Depth=1
	s_or_b64 exec, exec, s[90:91]
	s_and_saveexec_b64 s[90:91], s[52:53]
	s_cbranch_execnz .LBB142_118
.LBB142_84:                             ;   in Loop: Header=BB142_21 Depth=1
	s_or_b64 exec, exec, s[90:91]
	s_and_saveexec_b64 s[90:91], s[54:55]
	s_cbranch_execnz .LBB142_119
.LBB142_85:                             ;   in Loop: Header=BB142_21 Depth=1
	s_or_b64 exec, exec, s[90:91]
	s_and_saveexec_b64 s[90:91], s[56:57]
	s_cbranch_execnz .LBB142_120
.LBB142_86:                             ;   in Loop: Header=BB142_21 Depth=1
	s_or_b64 exec, exec, s[90:91]
	s_and_saveexec_b64 s[90:91], s[58:59]
	s_cbranch_execnz .LBB142_121
.LBB142_87:                             ;   in Loop: Header=BB142_21 Depth=1
	s_or_b64 exec, exec, s[90:91]
	s_and_saveexec_b64 s[90:91], s[60:61]
	s_cbranch_execnz .LBB142_122
.LBB142_88:                             ;   in Loop: Header=BB142_21 Depth=1
	s_or_b64 exec, exec, s[90:91]
	s_and_saveexec_b64 s[90:91], s[62:63]
	s_cbranch_execnz .LBB142_123
.LBB142_89:                             ;   in Loop: Header=BB142_21 Depth=1
	s_or_b64 exec, exec, s[90:91]
	s_and_saveexec_b64 s[90:91], s[10:11]
	s_cbranch_execnz .LBB142_124
.LBB142_90:                             ;   in Loop: Header=BB142_21 Depth=1
	s_or_b64 exec, exec, s[90:91]
	s_and_saveexec_b64 s[90:91], s[64:65]
	s_cbranch_execnz .LBB142_125
.LBB142_91:                             ;   in Loop: Header=BB142_21 Depth=1
	s_or_b64 exec, exec, s[90:91]
	s_and_saveexec_b64 s[90:91], s[66:67]
	s_cbranch_execnz .LBB142_126
.LBB142_92:                             ;   in Loop: Header=BB142_21 Depth=1
	s_or_b64 exec, exec, s[90:91]
	s_and_saveexec_b64 s[90:91], s[68:69]
	s_cbranch_execnz .LBB142_127
.LBB142_93:                             ;   in Loop: Header=BB142_21 Depth=1
	s_or_b64 exec, exec, s[90:91]
	s_and_saveexec_b64 s[90:91], s[70:71]
	s_cbranch_execnz .LBB142_128
.LBB142_94:                             ;   in Loop: Header=BB142_21 Depth=1
	s_or_b64 exec, exec, s[90:91]
	s_and_saveexec_b64 s[90:91], s[72:73]
	s_cbranch_execnz .LBB142_129
.LBB142_95:                             ;   in Loop: Header=BB142_21 Depth=1
	s_or_b64 exec, exec, s[90:91]
	s_and_saveexec_b64 s[90:91], s[2:3]
	s_cbranch_execnz .LBB142_130
.LBB142_96:                             ;   in Loop: Header=BB142_21 Depth=1
	s_or_b64 exec, exec, s[90:91]
	s_and_saveexec_b64 s[90:91], s[74:75]
	s_cbranch_execnz .LBB142_131
.LBB142_97:                             ;   in Loop: Header=BB142_21 Depth=1
	s_or_b64 exec, exec, s[90:91]
	s_and_saveexec_b64 s[90:91], s[12:13]
	s_cbranch_execnz .LBB142_132
.LBB142_98:                             ;   in Loop: Header=BB142_21 Depth=1
	s_or_b64 exec, exec, s[90:91]
	s_and_saveexec_b64 s[90:91], s[76:77]
	s_cbranch_execnz .LBB142_133
.LBB142_99:                             ;   in Loop: Header=BB142_21 Depth=1
	s_or_b64 exec, exec, s[90:91]
	s_and_saveexec_b64 s[90:91], s[78:79]
	s_cbranch_execnz .LBB142_134
.LBB142_100:                            ;   in Loop: Header=BB142_21 Depth=1
	s_or_b64 exec, exec, s[90:91]
	s_and_saveexec_b64 s[90:91], s[80:81]
	s_cbranch_execnz .LBB142_135
.LBB142_101:                            ;   in Loop: Header=BB142_21 Depth=1
	s_or_b64 exec, exec, s[90:91]
	s_and_saveexec_b64 s[90:91], s[82:83]
	s_cbranch_execnz .LBB142_136
.LBB142_102:                            ;   in Loop: Header=BB142_21 Depth=1
	s_or_b64 exec, exec, s[90:91]
	s_and_saveexec_b64 s[90:91], s[84:85]
	s_cbranch_execnz .LBB142_137
.LBB142_103:                            ;   in Loop: Header=BB142_21 Depth=1
	s_or_b64 exec, exec, s[90:91]
	s_and_saveexec_b64 s[90:91], s[86:87]
	s_cbranch_execnz .LBB142_138
.LBB142_104:                            ;   in Loop: Header=BB142_21 Depth=1
	s_or_b64 exec, exec, s[90:91]
	s_and_saveexec_b64 s[90:91], s[6:7]
	s_cbranch_execnz .LBB142_139
.LBB142_105:                            ;   in Loop: Header=BB142_21 Depth=1
	s_or_b64 exec, exec, s[90:91]
	s_and_saveexec_b64 s[90:91], s[14:15]
	s_cbranch_execnz .LBB142_140
.LBB142_106:                            ;   in Loop: Header=BB142_21 Depth=1
	s_or_b64 exec, exec, s[90:91]
	s_and_saveexec_b64 s[90:91], s[18:19]
	s_cbranch_execnz .LBB142_141
.LBB142_107:                            ;   in Loop: Header=BB142_21 Depth=1
	s_or_b64 exec, exec, s[90:91]
	s_and_saveexec_b64 s[90:91], s[20:21]
	s_cbranch_execnz .LBB142_142
.LBB142_108:                            ;   in Loop: Header=BB142_21 Depth=1
	s_or_b64 exec, exec, s[90:91]
	s_and_saveexec_b64 s[90:91], s[22:23]
	s_cbranch_execnz .LBB142_143
.LBB142_109:                            ;   in Loop: Header=BB142_21 Depth=1
	s_or_b64 exec, exec, s[90:91]
	s_and_saveexec_b64 s[90:91], s[24:25]
	s_cbranch_execnz .LBB142_144
.LBB142_110:                            ;   in Loop: Header=BB142_21 Depth=1
	s_or_b64 exec, exec, s[90:91]
	s_and_saveexec_b64 s[90:91], s[26:27]
	s_cbranch_execnz .LBB142_145
.LBB142_111:                            ;   in Loop: Header=BB142_21 Depth=1
	s_or_b64 exec, exec, s[90:91]
	s_and_saveexec_b64 s[90:91], s[28:29]
	s_cbranch_execnz .LBB142_146
.LBB142_112:                            ;   in Loop: Header=BB142_21 Depth=1
	s_or_b64 exec, exec, s[90:91]
	s_and_saveexec_b64 s[90:91], s[30:31]
	s_cbranch_execnz .LBB142_147
.LBB142_113:                            ;   in Loop: Header=BB142_21 Depth=1
	s_or_b64 exec, exec, s[90:91]
	s_and_saveexec_b64 s[90:91], s[16:17]
	s_cbranch_execz .LBB142_20
	s_branch .LBB142_148
.LBB142_114:                            ;   in Loop: Header=BB142_21 Depth=1
	v_mov_b32_e32 v29, s43
	v_add_co_u32_e32 v31, vcc, s42, v40
	v_addc_co_u32_e32 v80, vcc, v29, v41, vcc
	v_add_co_u32_e32 v31, vcc, s92, v31
	v_addc_co_u32_e32 v80, vcc, 0, v80, vcc
	;; [unrolled: 2-line block ×4, first 2 shown]
	v_cndmask_b32_e64 v81, v29, v80, s[0:1]
	v_cndmask_b32_e64 v80, v82, v31, s[0:1]
	global_load_dword v29, v[80:81], off
	v_add_co_u32_e32 v31, vcc, 0, v24
	v_addc_co_u32_e32 v81, vcc, v3, v13, vcc
	v_add_co_u32_e32 v80, vcc, 0, v31
	v_addc_co_u32_e32 v81, vcc, v81, v23, vcc
	v_ashrrev_i64 v[82:83], 29, v[80:81]
	v_mov_b32_e32 v31, s5
	v_add_co_u32_e32 v82, vcc, s4, v82
	v_addc_co_u32_e32 v83, vcc, v31, v83, vcc
	v_ashrrev_i64 v[80:81], 30, v[80:81]
	v_mov_b32_e32 v31, s41
	v_add_co_u32_e32 v80, vcc, s40, v80
	v_addc_co_u32_e32 v81, vcc, v31, v81, vcc
	global_store_dwordx2 v[82:83], v[74:75], off
	s_waitcnt vmcnt(1)
	global_store_dword v[80:81], v29, off
	s_or_b64 exec, exec, s[90:91]
	s_and_saveexec_b64 s[90:91], s[48:49]
	s_cbranch_execz .LBB142_81
.LBB142_115:                            ;   in Loop: Header=BB142_21 Depth=1
	v_mov_b32_e32 v29, s43
	v_add_co_u32_e32 v31, vcc, s42, v40
	v_addc_co_u32_e32 v80, vcc, v29, v41, vcc
	v_add_co_u32_e32 v31, vcc, s33, v31
	v_addc_co_u32_e32 v80, vcc, 0, v80, vcc
	;; [unrolled: 2-line block ×4, first 2 shown]
	v_cndmask_b32_e64 v81, v29, v80, s[0:1]
	v_cndmask_b32_e64 v80, v82, v31, s[0:1]
	global_load_dword v29, v[80:81], off
	v_add_co_u32_e32 v31, vcc, 0, v24
	v_addc_co_u32_e32 v81, vcc, v3, v13, vcc
	v_add_co_u32_e32 v80, vcc, 0, v31
	v_addc_co_u32_e32 v81, vcc, v81, v25, vcc
	v_ashrrev_i64 v[82:83], 29, v[80:81]
	v_mov_b32_e32 v31, s5
	v_add_co_u32_e32 v82, vcc, s4, v82
	v_addc_co_u32_e32 v83, vcc, v31, v83, vcc
	v_ashrrev_i64 v[80:81], 30, v[80:81]
	v_mov_b32_e32 v31, s41
	v_add_co_u32_e32 v80, vcc, s40, v80
	v_addc_co_u32_e32 v81, vcc, v31, v81, vcc
	global_store_dwordx2 v[82:83], v[76:77], off
	s_waitcnt vmcnt(1)
	global_store_dword v[80:81], v29, off
	s_or_b64 exec, exec, s[90:91]
	s_and_saveexec_b64 s[90:91], s[8:9]
	s_cbranch_execz .LBB142_82
.LBB142_116:                            ;   in Loop: Header=BB142_21 Depth=1
	v_mov_b32_e32 v29, s43
	v_add_co_u32_e32 v31, vcc, s42, v40
	v_addc_co_u32_e32 v80, vcc, v29, v41, vcc
	v_add_co_u32_e32 v31, vcc, s39, v31
	v_addc_co_u32_e32 v80, vcc, 0, v80, vcc
	;; [unrolled: 2-line block ×4, first 2 shown]
	v_cndmask_b32_e64 v81, v29, v80, s[0:1]
	v_cndmask_b32_e64 v80, v82, v31, s[0:1]
	global_load_dword v29, v[80:81], off
	v_add_co_u32_e32 v31, vcc, 0, v24
	v_addc_co_u32_e32 v81, vcc, v3, v13, vcc
	v_add_co_u32_e32 v80, vcc, 0, v31
	v_addc_co_u32_e32 v81, vcc, v81, v27, vcc
	v_ashrrev_i64 v[82:83], 29, v[80:81]
	v_mov_b32_e32 v31, s5
	v_add_co_u32_e32 v82, vcc, s4, v82
	v_addc_co_u32_e32 v83, vcc, v31, v83, vcc
	v_ashrrev_i64 v[80:81], 30, v[80:81]
	v_mov_b32_e32 v31, s41
	v_add_co_u32_e32 v80, vcc, s40, v80
	v_addc_co_u32_e32 v81, vcc, v31, v81, vcc
	global_store_dwordx2 v[82:83], v[78:79], off
	s_waitcnt vmcnt(1)
	global_store_dword v[80:81], v29, off
	s_or_b64 exec, exec, s[90:91]
	s_and_saveexec_b64 s[90:91], s[50:51]
	s_cbranch_execz .LBB142_83
.LBB142_117:                            ;   in Loop: Header=BB142_21 Depth=1
	v_mov_b32_e32 v29, s43
	v_add_co_u32_e32 v31, vcc, s42, v38
	v_addc_co_u32_e32 v80, vcc, v29, v39, vcc
	v_add_co_u32_e32 v81, vcc, s42, v48
	v_addc_co_u32_e32 v29, vcc, v29, v49, vcc
	v_add_co_u32_e32 v82, vcc, 0x200, v81
	v_addc_co_u32_e32 v29, vcc, 0, v29, vcc
	v_cndmask_b32_e64 v81, v29, v80, s[0:1]
	v_cndmask_b32_e64 v80, v82, v31, s[0:1]
	global_load_dword v29, v[80:81], off
	v_add_co_u32_e32 v80, vcc, 0, v22
	v_addc_co_u32_e32 v81, vcc, v3, v11, vcc
	v_ashrrev_i64 v[82:83], 29, v[80:81]
	v_mov_b32_e32 v31, s5
	v_add_co_u32_e32 v82, vcc, s4, v82
	v_addc_co_u32_e32 v83, vcc, v31, v83, vcc
	v_ashrrev_i64 v[80:81], 30, v[80:81]
	v_mov_b32_e32 v31, s41
	v_add_co_u32_e32 v80, vcc, s40, v80
	v_addc_co_u32_e32 v81, vcc, v31, v81, vcc
	global_store_dwordx2 v[82:83], v[68:69], off
	s_waitcnt vmcnt(1)
	global_store_dword v[80:81], v29, off
	s_or_b64 exec, exec, s[90:91]
	s_and_saveexec_b64 s[90:91], s[52:53]
	s_cbranch_execz .LBB142_84
.LBB142_118:                            ;   in Loop: Header=BB142_21 Depth=1
	v_mov_b32_e32 v29, s43
	v_add_co_u32_e32 v31, vcc, s42, v38
	v_addc_co_u32_e32 v80, vcc, v29, v39, vcc
	v_add_co_u32_e32 v31, vcc, s44, v31
	v_addc_co_u32_e32 v80, vcc, 0, v80, vcc
	;; [unrolled: 2-line block ×4, first 2 shown]
	v_cndmask_b32_e64 v81, v29, v80, s[0:1]
	v_cndmask_b32_e64 v80, v82, v31, s[0:1]
	global_load_dword v29, v[80:81], off
	v_add_co_u32_e32 v31, vcc, 0, v22
	v_addc_co_u32_e32 v81, vcc, v3, v11, vcc
	v_add_co_u32_e32 v80, vcc, 0, v31
	v_addc_co_u32_e32 v81, vcc, 32, v81, vcc
	v_ashrrev_i64 v[82:83], 29, v[80:81]
	v_mov_b32_e32 v31, s5
	v_add_co_u32_e32 v82, vcc, s4, v82
	v_addc_co_u32_e32 v83, vcc, v31, v83, vcc
	v_ashrrev_i64 v[80:81], 30, v[80:81]
	v_mov_b32_e32 v31, s41
	v_add_co_u32_e32 v80, vcc, s40, v80
	v_addc_co_u32_e32 v81, vcc, v31, v81, vcc
	global_store_dwordx2 v[82:83], v[64:65], off
	s_waitcnt vmcnt(1)
	global_store_dword v[80:81], v29, off
	s_or_b64 exec, exec, s[90:91]
	s_and_saveexec_b64 s[90:91], s[54:55]
	s_cbranch_execz .LBB142_85
.LBB142_119:                            ;   in Loop: Header=BB142_21 Depth=1
	v_mov_b32_e32 v29, s43
	v_add_co_u32_e32 v31, vcc, s42, v38
	v_addc_co_u32_e32 v80, vcc, v29, v39, vcc
	v_add_co_u32_e32 v31, vcc, s95, v31
	v_addc_co_u32_e32 v80, vcc, 0, v80, vcc
	;; [unrolled: 2-line block ×4, first 2 shown]
	v_cndmask_b32_e64 v81, v29, v80, s[0:1]
	v_cndmask_b32_e64 v80, v82, v31, s[0:1]
	global_load_dword v29, v[80:81], off
	v_add_co_u32_e32 v31, vcc, 0, v22
	v_addc_co_u32_e32 v81, vcc, v3, v11, vcc
	v_add_co_u32_e32 v80, vcc, 0, v31
	v_addc_co_u32_e32 v81, vcc, 64, v81, vcc
	v_ashrrev_i64 v[82:83], 29, v[80:81]
	v_mov_b32_e32 v31, s5
	v_add_co_u32_e32 v82, vcc, s4, v82
	v_addc_co_u32_e32 v83, vcc, v31, v83, vcc
	v_ashrrev_i64 v[80:81], 30, v[80:81]
	v_mov_b32_e32 v31, s41
	v_add_co_u32_e32 v80, vcc, s40, v80
	v_addc_co_u32_e32 v81, vcc, v31, v81, vcc
	global_store_dwordx2 v[82:83], v[66:67], off
	s_waitcnt vmcnt(1)
	global_store_dword v[80:81], v29, off
	s_or_b64 exec, exec, s[90:91]
	s_and_saveexec_b64 s[90:91], s[56:57]
	s_cbranch_execz .LBB142_86
.LBB142_120:                            ;   in Loop: Header=BB142_21 Depth=1
	v_mov_b32_e32 v29, s43
	v_add_co_u32_e32 v31, vcc, s42, v38
	v_addc_co_u32_e32 v80, vcc, v29, v39, vcc
	v_add_co_u32_e32 v31, vcc, s94, v31
	v_addc_co_u32_e32 v80, vcc, 0, v80, vcc
	;; [unrolled: 2-line block ×4, first 2 shown]
	v_cndmask_b32_e64 v81, v29, v80, s[0:1]
	v_cndmask_b32_e64 v80, v82, v31, s[0:1]
	global_load_dword v29, v[80:81], off
	v_add_co_u32_e32 v31, vcc, 0, v22
	v_addc_co_u32_e32 v81, vcc, v3, v11, vcc
	v_add_co_u32_e32 v80, vcc, 0, v31
	v_addc_co_u32_e32 v81, vcc, v81, v1, vcc
	v_ashrrev_i64 v[82:83], 29, v[80:81]
	v_mov_b32_e32 v31, s5
	v_add_co_u32_e32 v82, vcc, s4, v82
	v_addc_co_u32_e32 v83, vcc, v31, v83, vcc
	v_ashrrev_i64 v[80:81], 30, v[80:81]
	v_mov_b32_e32 v31, s41
	v_add_co_u32_e32 v80, vcc, s40, v80
	v_addc_co_u32_e32 v81, vcc, v31, v81, vcc
	global_store_dwordx2 v[82:83], v[70:71], off
	s_waitcnt vmcnt(1)
	global_store_dword v[80:81], v29, off
	s_or_b64 exec, exec, s[90:91]
	s_and_saveexec_b64 s[90:91], s[58:59]
	s_cbranch_execz .LBB142_87
.LBB142_121:                            ;   in Loop: Header=BB142_21 Depth=1
	v_cndmask_b32_e64 v31, v56, v38, s[0:1]
	v_cndmask_b32_e64 v29, v57, v39, s[0:1]
	v_mov_b32_e32 v81, s43
	v_add_co_u32_e32 v80, vcc, s42, v31
	v_addc_co_u32_e32 v81, vcc, v81, v29, vcc
	global_load_dword v29, v[80:81], off offset:512
	v_add_co_u32_e32 v31, vcc, 0, v22
	v_addc_co_u32_e32 v81, vcc, v3, v11, vcc
	v_add_co_u32_e32 v80, vcc, 0, v31
	v_addc_co_u32_e32 v81, vcc, v81, v21, vcc
	v_ashrrev_i64 v[82:83], 29, v[80:81]
	v_mov_b32_e32 v31, s5
	v_add_co_u32_e32 v82, vcc, s4, v82
	v_addc_co_u32_e32 v83, vcc, v31, v83, vcc
	v_ashrrev_i64 v[80:81], 30, v[80:81]
	v_mov_b32_e32 v31, s41
	v_add_co_u32_e32 v80, vcc, s40, v80
	v_addc_co_u32_e32 v81, vcc, v31, v81, vcc
	global_store_dwordx2 v[82:83], v[72:73], off
	s_waitcnt vmcnt(1)
	global_store_dword v[80:81], v29, off
	s_or_b64 exec, exec, s[90:91]
	s_and_saveexec_b64 s[90:91], s[60:61]
	s_cbranch_execz .LBB142_88
.LBB142_122:                            ;   in Loop: Header=BB142_21 Depth=1
	v_mov_b32_e32 v29, s43
	v_add_co_u32_e32 v31, vcc, s42, v38
	v_addc_co_u32_e32 v80, vcc, v29, v39, vcc
	v_add_co_u32_e32 v31, vcc, s92, v31
	v_addc_co_u32_e32 v80, vcc, 0, v80, vcc
	;; [unrolled: 2-line block ×4, first 2 shown]
	v_cndmask_b32_e64 v81, v29, v80, s[0:1]
	v_cndmask_b32_e64 v80, v82, v31, s[0:1]
	global_load_dword v29, v[80:81], off
	v_add_co_u32_e32 v31, vcc, 0, v22
	v_addc_co_u32_e32 v81, vcc, v3, v11, vcc
	v_add_co_u32_e32 v80, vcc, 0, v31
	v_addc_co_u32_e32 v81, vcc, v81, v23, vcc
	v_ashrrev_i64 v[82:83], 29, v[80:81]
	v_mov_b32_e32 v31, s5
	v_add_co_u32_e32 v82, vcc, s4, v82
	v_addc_co_u32_e32 v83, vcc, v31, v83, vcc
	v_ashrrev_i64 v[80:81], 30, v[80:81]
	v_mov_b32_e32 v31, s41
	v_add_co_u32_e32 v80, vcc, s40, v80
	v_addc_co_u32_e32 v81, vcc, v31, v81, vcc
	global_store_dwordx2 v[82:83], v[74:75], off
	s_waitcnt vmcnt(1)
	global_store_dword v[80:81], v29, off
	s_or_b64 exec, exec, s[90:91]
	s_and_saveexec_b64 s[90:91], s[62:63]
	s_cbranch_execz .LBB142_89
.LBB142_123:                            ;   in Loop: Header=BB142_21 Depth=1
	v_mov_b32_e32 v29, s43
	v_add_co_u32_e32 v31, vcc, s42, v38
	v_addc_co_u32_e32 v80, vcc, v29, v39, vcc
	v_add_co_u32_e32 v31, vcc, s33, v31
	v_addc_co_u32_e32 v80, vcc, 0, v80, vcc
	;; [unrolled: 2-line block ×4, first 2 shown]
	v_cndmask_b32_e64 v81, v29, v80, s[0:1]
	v_cndmask_b32_e64 v80, v82, v31, s[0:1]
	global_load_dword v29, v[80:81], off
	v_add_co_u32_e32 v31, vcc, 0, v22
	v_addc_co_u32_e32 v81, vcc, v3, v11, vcc
	v_add_co_u32_e32 v80, vcc, 0, v31
	v_addc_co_u32_e32 v81, vcc, v81, v25, vcc
	v_ashrrev_i64 v[82:83], 29, v[80:81]
	v_mov_b32_e32 v31, s5
	v_add_co_u32_e32 v82, vcc, s4, v82
	v_addc_co_u32_e32 v83, vcc, v31, v83, vcc
	v_ashrrev_i64 v[80:81], 30, v[80:81]
	v_mov_b32_e32 v31, s41
	v_add_co_u32_e32 v80, vcc, s40, v80
	v_addc_co_u32_e32 v81, vcc, v31, v81, vcc
	global_store_dwordx2 v[82:83], v[76:77], off
	s_waitcnt vmcnt(1)
	global_store_dword v[80:81], v29, off
	s_or_b64 exec, exec, s[90:91]
	s_and_saveexec_b64 s[90:91], s[10:11]
	s_cbranch_execz .LBB142_90
.LBB142_124:                            ;   in Loop: Header=BB142_21 Depth=1
	v_mov_b32_e32 v29, s43
	v_add_co_u32_e32 v31, vcc, s42, v38
	v_addc_co_u32_e32 v80, vcc, v29, v39, vcc
	v_add_co_u32_e32 v31, vcc, s39, v31
	v_addc_co_u32_e32 v80, vcc, 0, v80, vcc
	;; [unrolled: 2-line block ×4, first 2 shown]
	v_cndmask_b32_e64 v81, v29, v80, s[0:1]
	v_cndmask_b32_e64 v80, v82, v31, s[0:1]
	global_load_dword v29, v[80:81], off
	v_add_co_u32_e32 v31, vcc, 0, v22
	v_addc_co_u32_e32 v81, vcc, v3, v11, vcc
	v_add_co_u32_e32 v80, vcc, 0, v31
	v_addc_co_u32_e32 v81, vcc, v81, v27, vcc
	v_ashrrev_i64 v[82:83], 29, v[80:81]
	v_mov_b32_e32 v31, s5
	v_add_co_u32_e32 v82, vcc, s4, v82
	v_addc_co_u32_e32 v83, vcc, v31, v83, vcc
	v_ashrrev_i64 v[80:81], 30, v[80:81]
	v_mov_b32_e32 v31, s41
	v_add_co_u32_e32 v80, vcc, s40, v80
	v_addc_co_u32_e32 v81, vcc, v31, v81, vcc
	global_store_dwordx2 v[82:83], v[78:79], off
	s_waitcnt vmcnt(1)
	global_store_dword v[80:81], v29, off
	s_or_b64 exec, exec, s[90:91]
	s_and_saveexec_b64 s[90:91], s[64:65]
	s_cbranch_execz .LBB142_91
.LBB142_125:                            ;   in Loop: Header=BB142_21 Depth=1
	v_mov_b32_e32 v29, s43
	v_add_co_u32_e32 v31, vcc, s42, v36
	v_addc_co_u32_e32 v80, vcc, v29, v37, vcc
	v_add_co_u32_e32 v81, vcc, s42, v48
	v_addc_co_u32_e32 v29, vcc, v29, v49, vcc
	;; [unrolled: 2-line block ×3, first 2 shown]
	v_cndmask_b32_e64 v81, v29, v80, s[0:1]
	v_cndmask_b32_e64 v80, v82, v31, s[0:1]
	global_load_dword v29, v[80:81], off
	v_add_co_u32_e32 v80, vcc, 0, v20
	v_addc_co_u32_e32 v81, vcc, v3, v9, vcc
	v_ashrrev_i64 v[82:83], 29, v[80:81]
	v_mov_b32_e32 v31, s5
	v_add_co_u32_e32 v82, vcc, s4, v82
	v_addc_co_u32_e32 v83, vcc, v31, v83, vcc
	v_ashrrev_i64 v[80:81], 30, v[80:81]
	v_mov_b32_e32 v31, s41
	v_add_co_u32_e32 v80, vcc, s40, v80
	v_addc_co_u32_e32 v81, vcc, v31, v81, vcc
	global_store_dwordx2 v[82:83], v[68:69], off
	s_waitcnt vmcnt(1)
	global_store_dword v[80:81], v29, off
	s_or_b64 exec, exec, s[90:91]
	s_and_saveexec_b64 s[90:91], s[66:67]
	s_cbranch_execz .LBB142_92
.LBB142_126:                            ;   in Loop: Header=BB142_21 Depth=1
	v_mov_b32_e32 v29, s43
	v_add_co_u32_e32 v31, vcc, s42, v36
	v_addc_co_u32_e32 v80, vcc, v29, v37, vcc
	v_add_co_u32_e32 v31, vcc, s44, v31
	v_addc_co_u32_e32 v80, vcc, 0, v80, vcc
	;; [unrolled: 2-line block ×4, first 2 shown]
	v_cndmask_b32_e64 v81, v29, v80, s[0:1]
	v_cndmask_b32_e64 v80, v82, v31, s[0:1]
	global_load_dword v29, v[80:81], off
	v_add_co_u32_e32 v31, vcc, 0, v20
	v_addc_co_u32_e32 v81, vcc, v3, v9, vcc
	v_add_co_u32_e32 v80, vcc, 0, v31
	v_addc_co_u32_e32 v81, vcc, 32, v81, vcc
	v_ashrrev_i64 v[82:83], 29, v[80:81]
	v_mov_b32_e32 v31, s5
	v_add_co_u32_e32 v82, vcc, s4, v82
	v_addc_co_u32_e32 v83, vcc, v31, v83, vcc
	v_ashrrev_i64 v[80:81], 30, v[80:81]
	v_mov_b32_e32 v31, s41
	v_add_co_u32_e32 v80, vcc, s40, v80
	v_addc_co_u32_e32 v81, vcc, v31, v81, vcc
	global_store_dwordx2 v[82:83], v[64:65], off
	s_waitcnt vmcnt(1)
	global_store_dword v[80:81], v29, off
	s_or_b64 exec, exec, s[90:91]
	s_and_saveexec_b64 s[90:91], s[68:69]
	s_cbranch_execz .LBB142_93
.LBB142_127:                            ;   in Loop: Header=BB142_21 Depth=1
	v_mov_b32_e32 v29, s43
	v_add_co_u32_e32 v31, vcc, s42, v36
	v_addc_co_u32_e32 v80, vcc, v29, v37, vcc
	v_add_co_u32_e32 v31, vcc, s95, v31
	v_addc_co_u32_e32 v80, vcc, 0, v80, vcc
	;; [unrolled: 2-line block ×4, first 2 shown]
	v_cndmask_b32_e64 v81, v29, v80, s[0:1]
	v_cndmask_b32_e64 v80, v82, v31, s[0:1]
	global_load_dword v29, v[80:81], off
	v_add_co_u32_e32 v31, vcc, 0, v20
	v_addc_co_u32_e32 v81, vcc, v3, v9, vcc
	v_add_co_u32_e32 v80, vcc, 0, v31
	v_addc_co_u32_e32 v81, vcc, 64, v81, vcc
	v_ashrrev_i64 v[82:83], 29, v[80:81]
	v_mov_b32_e32 v31, s5
	v_add_co_u32_e32 v82, vcc, s4, v82
	v_addc_co_u32_e32 v83, vcc, v31, v83, vcc
	v_ashrrev_i64 v[80:81], 30, v[80:81]
	v_mov_b32_e32 v31, s41
	v_add_co_u32_e32 v80, vcc, s40, v80
	v_addc_co_u32_e32 v81, vcc, v31, v81, vcc
	global_store_dwordx2 v[82:83], v[66:67], off
	s_waitcnt vmcnt(1)
	global_store_dword v[80:81], v29, off
	s_or_b64 exec, exec, s[90:91]
	s_and_saveexec_b64 s[90:91], s[70:71]
	s_cbranch_execz .LBB142_94
.LBB142_128:                            ;   in Loop: Header=BB142_21 Depth=1
	v_mov_b32_e32 v29, s43
	v_add_co_u32_e32 v31, vcc, s42, v36
	v_addc_co_u32_e32 v80, vcc, v29, v37, vcc
	v_add_co_u32_e32 v31, vcc, s94, v31
	v_addc_co_u32_e32 v80, vcc, 0, v80, vcc
	;; [unrolled: 2-line block ×4, first 2 shown]
	v_cndmask_b32_e64 v81, v29, v80, s[0:1]
	v_cndmask_b32_e64 v80, v82, v31, s[0:1]
	global_load_dword v29, v[80:81], off
	v_add_co_u32_e32 v31, vcc, 0, v20
	v_addc_co_u32_e32 v81, vcc, v3, v9, vcc
	v_add_co_u32_e32 v80, vcc, 0, v31
	v_addc_co_u32_e32 v81, vcc, v81, v1, vcc
	v_ashrrev_i64 v[82:83], 29, v[80:81]
	v_mov_b32_e32 v31, s5
	v_add_co_u32_e32 v82, vcc, s4, v82
	v_addc_co_u32_e32 v83, vcc, v31, v83, vcc
	v_ashrrev_i64 v[80:81], 30, v[80:81]
	v_mov_b32_e32 v31, s41
	v_add_co_u32_e32 v80, vcc, s40, v80
	v_addc_co_u32_e32 v81, vcc, v31, v81, vcc
	global_store_dwordx2 v[82:83], v[70:71], off
	s_waitcnt vmcnt(1)
	global_store_dword v[80:81], v29, off
	s_or_b64 exec, exec, s[90:91]
	s_and_saveexec_b64 s[90:91], s[72:73]
	s_cbranch_execz .LBB142_95
.LBB142_129:                            ;   in Loop: Header=BB142_21 Depth=1
	v_mov_b32_e32 v29, s43
	v_add_co_u32_e32 v31, vcc, s42, v36
	v_addc_co_u32_e32 v80, vcc, v29, v37, vcc
	v_add_co_u32_e32 v31, vcc, s93, v31
	v_addc_co_u32_e32 v80, vcc, 0, v80, vcc
	;; [unrolled: 2-line block ×4, first 2 shown]
	v_cndmask_b32_e64 v81, v29, v80, s[0:1]
	v_cndmask_b32_e64 v80, v82, v31, s[0:1]
	global_load_dword v29, v[80:81], off
	v_add_co_u32_e32 v31, vcc, 0, v20
	v_addc_co_u32_e32 v81, vcc, v3, v9, vcc
	v_add_co_u32_e32 v80, vcc, 0, v31
	v_addc_co_u32_e32 v81, vcc, v81, v21, vcc
	v_ashrrev_i64 v[82:83], 29, v[80:81]
	v_mov_b32_e32 v31, s5
	v_add_co_u32_e32 v82, vcc, s4, v82
	v_addc_co_u32_e32 v83, vcc, v31, v83, vcc
	v_ashrrev_i64 v[80:81], 30, v[80:81]
	v_mov_b32_e32 v31, s41
	v_add_co_u32_e32 v80, vcc, s40, v80
	v_addc_co_u32_e32 v81, vcc, v31, v81, vcc
	global_store_dwordx2 v[82:83], v[72:73], off
	s_waitcnt vmcnt(1)
	global_store_dword v[80:81], v29, off
	s_or_b64 exec, exec, s[90:91]
	s_and_saveexec_b64 s[90:91], s[2:3]
	s_cbranch_execz .LBB142_96
.LBB142_130:                            ;   in Loop: Header=BB142_21 Depth=1
	v_cndmask_b32_e64 v31, v58, v36, s[0:1]
	v_cndmask_b32_e64 v29, v59, v37, s[0:1]
	v_mov_b32_e32 v81, s43
	v_add_co_u32_e32 v80, vcc, s42, v31
	v_addc_co_u32_e32 v81, vcc, v81, v29, vcc
	global_load_dword v29, v[80:81], off offset:640
	v_add_co_u32_e32 v31, vcc, 0, v20
	v_addc_co_u32_e32 v81, vcc, v3, v9, vcc
	v_add_co_u32_e32 v80, vcc, 0, v31
	v_addc_co_u32_e32 v81, vcc, v81, v23, vcc
	v_ashrrev_i64 v[82:83], 29, v[80:81]
	v_mov_b32_e32 v31, s5
	v_add_co_u32_e32 v82, vcc, s4, v82
	v_addc_co_u32_e32 v83, vcc, v31, v83, vcc
	v_ashrrev_i64 v[80:81], 30, v[80:81]
	v_mov_b32_e32 v31, s41
	v_add_co_u32_e32 v80, vcc, s40, v80
	v_addc_co_u32_e32 v81, vcc, v31, v81, vcc
	global_store_dwordx2 v[82:83], v[74:75], off
	s_waitcnt vmcnt(1)
	global_store_dword v[80:81], v29, off
	s_or_b64 exec, exec, s[90:91]
	s_and_saveexec_b64 s[90:91], s[74:75]
	s_cbranch_execz .LBB142_97
.LBB142_131:                            ;   in Loop: Header=BB142_21 Depth=1
	v_mov_b32_e32 v29, s43
	v_add_co_u32_e32 v31, vcc, s42, v36
	v_addc_co_u32_e32 v80, vcc, v29, v37, vcc
	v_add_co_u32_e32 v31, vcc, s33, v31
	v_addc_co_u32_e32 v80, vcc, 0, v80, vcc
	;; [unrolled: 2-line block ×4, first 2 shown]
	v_cndmask_b32_e64 v81, v29, v80, s[0:1]
	v_cndmask_b32_e64 v80, v82, v31, s[0:1]
	global_load_dword v29, v[80:81], off
	v_add_co_u32_e32 v31, vcc, 0, v20
	v_addc_co_u32_e32 v81, vcc, v3, v9, vcc
	v_add_co_u32_e32 v80, vcc, 0, v31
	v_addc_co_u32_e32 v81, vcc, v81, v25, vcc
	v_ashrrev_i64 v[82:83], 29, v[80:81]
	v_mov_b32_e32 v31, s5
	v_add_co_u32_e32 v82, vcc, s4, v82
	v_addc_co_u32_e32 v83, vcc, v31, v83, vcc
	v_ashrrev_i64 v[80:81], 30, v[80:81]
	v_mov_b32_e32 v31, s41
	v_add_co_u32_e32 v80, vcc, s40, v80
	v_addc_co_u32_e32 v81, vcc, v31, v81, vcc
	global_store_dwordx2 v[82:83], v[76:77], off
	s_waitcnt vmcnt(1)
	global_store_dword v[80:81], v29, off
	s_or_b64 exec, exec, s[90:91]
	s_and_saveexec_b64 s[90:91], s[12:13]
	s_cbranch_execz .LBB142_98
.LBB142_132:                            ;   in Loop: Header=BB142_21 Depth=1
	v_mov_b32_e32 v29, s43
	v_add_co_u32_e32 v31, vcc, s42, v36
	v_addc_co_u32_e32 v80, vcc, v29, v37, vcc
	v_add_co_u32_e32 v31, vcc, s39, v31
	v_addc_co_u32_e32 v80, vcc, 0, v80, vcc
	;; [unrolled: 2-line block ×4, first 2 shown]
	v_cndmask_b32_e64 v81, v29, v80, s[0:1]
	v_cndmask_b32_e64 v80, v82, v31, s[0:1]
	global_load_dword v29, v[80:81], off
	v_add_co_u32_e32 v31, vcc, 0, v20
	v_addc_co_u32_e32 v81, vcc, v3, v9, vcc
	v_add_co_u32_e32 v80, vcc, 0, v31
	v_addc_co_u32_e32 v81, vcc, v81, v27, vcc
	v_ashrrev_i64 v[82:83], 29, v[80:81]
	v_mov_b32_e32 v31, s5
	v_add_co_u32_e32 v82, vcc, s4, v82
	v_addc_co_u32_e32 v83, vcc, v31, v83, vcc
	v_ashrrev_i64 v[80:81], 30, v[80:81]
	v_mov_b32_e32 v31, s41
	v_add_co_u32_e32 v80, vcc, s40, v80
	v_addc_co_u32_e32 v81, vcc, v31, v81, vcc
	global_store_dwordx2 v[82:83], v[78:79], off
	s_waitcnt vmcnt(1)
	global_store_dword v[80:81], v29, off
	s_or_b64 exec, exec, s[90:91]
	s_and_saveexec_b64 s[90:91], s[76:77]
	s_cbranch_execz .LBB142_99
.LBB142_133:                            ;   in Loop: Header=BB142_21 Depth=1
	v_mov_b32_e32 v29, s43
	v_add_co_u32_e32 v31, vcc, s42, v34
	v_addc_co_u32_e32 v80, vcc, v29, v35, vcc
	v_add_co_u32_e32 v81, vcc, s42, v48
	v_addc_co_u32_e32 v29, vcc, v29, v49, vcc
	v_add_co_u32_e32 v82, vcc, 0x300, v81
	v_addc_co_u32_e32 v29, vcc, 0, v29, vcc
	v_cndmask_b32_e64 v81, v29, v80, s[0:1]
	v_cndmask_b32_e64 v80, v82, v31, s[0:1]
	global_load_dword v29, v[80:81], off
	v_add_co_u32_e32 v80, vcc, 0, v18
	v_addc_co_u32_e32 v81, vcc, v3, v7, vcc
	v_ashrrev_i64 v[82:83], 29, v[80:81]
	v_mov_b32_e32 v31, s5
	v_add_co_u32_e32 v82, vcc, s4, v82
	v_addc_co_u32_e32 v83, vcc, v31, v83, vcc
	v_ashrrev_i64 v[80:81], 30, v[80:81]
	v_mov_b32_e32 v31, s41
	v_add_co_u32_e32 v80, vcc, s40, v80
	v_addc_co_u32_e32 v81, vcc, v31, v81, vcc
	global_store_dwordx2 v[82:83], v[68:69], off
	s_waitcnt vmcnt(1)
	global_store_dword v[80:81], v29, off
	s_or_b64 exec, exec, s[90:91]
	s_and_saveexec_b64 s[90:91], s[78:79]
	s_cbranch_execz .LBB142_100
.LBB142_134:                            ;   in Loop: Header=BB142_21 Depth=1
	v_mov_b32_e32 v29, s43
	v_add_co_u32_e32 v31, vcc, s42, v34
	v_addc_co_u32_e32 v80, vcc, v29, v35, vcc
	v_add_co_u32_e32 v31, vcc, s44, v31
	v_addc_co_u32_e32 v80, vcc, 0, v80, vcc
	;; [unrolled: 2-line block ×4, first 2 shown]
	v_cndmask_b32_e64 v81, v29, v80, s[0:1]
	v_cndmask_b32_e64 v80, v82, v31, s[0:1]
	global_load_dword v29, v[80:81], off
	v_add_co_u32_e32 v31, vcc, 0, v18
	v_addc_co_u32_e32 v81, vcc, v3, v7, vcc
	v_add_co_u32_e32 v80, vcc, 0, v31
	v_addc_co_u32_e32 v81, vcc, 32, v81, vcc
	v_ashrrev_i64 v[82:83], 29, v[80:81]
	v_mov_b32_e32 v31, s5
	v_add_co_u32_e32 v82, vcc, s4, v82
	v_addc_co_u32_e32 v83, vcc, v31, v83, vcc
	v_ashrrev_i64 v[80:81], 30, v[80:81]
	v_mov_b32_e32 v31, s41
	v_add_co_u32_e32 v80, vcc, s40, v80
	v_addc_co_u32_e32 v81, vcc, v31, v81, vcc
	global_store_dwordx2 v[82:83], v[64:65], off
	s_waitcnt vmcnt(1)
	global_store_dword v[80:81], v29, off
	s_or_b64 exec, exec, s[90:91]
	s_and_saveexec_b64 s[90:91], s[80:81]
	s_cbranch_execz .LBB142_101
.LBB142_135:                            ;   in Loop: Header=BB142_21 Depth=1
	v_mov_b32_e32 v29, s43
	v_add_co_u32_e32 v31, vcc, s42, v34
	v_addc_co_u32_e32 v80, vcc, v29, v35, vcc
	v_add_co_u32_e32 v31, vcc, s95, v31
	v_addc_co_u32_e32 v80, vcc, 0, v80, vcc
	;; [unrolled: 2-line block ×4, first 2 shown]
	v_cndmask_b32_e64 v81, v29, v80, s[0:1]
	v_cndmask_b32_e64 v80, v82, v31, s[0:1]
	global_load_dword v29, v[80:81], off
	v_add_co_u32_e32 v31, vcc, 0, v18
	v_addc_co_u32_e32 v81, vcc, v3, v7, vcc
	v_add_co_u32_e32 v80, vcc, 0, v31
	v_addc_co_u32_e32 v81, vcc, 64, v81, vcc
	v_ashrrev_i64 v[82:83], 29, v[80:81]
	v_mov_b32_e32 v31, s5
	v_add_co_u32_e32 v82, vcc, s4, v82
	v_addc_co_u32_e32 v83, vcc, v31, v83, vcc
	v_ashrrev_i64 v[80:81], 30, v[80:81]
	v_mov_b32_e32 v31, s41
	v_add_co_u32_e32 v80, vcc, s40, v80
	v_addc_co_u32_e32 v81, vcc, v31, v81, vcc
	global_store_dwordx2 v[82:83], v[66:67], off
	s_waitcnt vmcnt(1)
	global_store_dword v[80:81], v29, off
	s_or_b64 exec, exec, s[90:91]
	s_and_saveexec_b64 s[90:91], s[82:83]
	s_cbranch_execz .LBB142_102
.LBB142_136:                            ;   in Loop: Header=BB142_21 Depth=1
	v_mov_b32_e32 v29, s43
	v_add_co_u32_e32 v31, vcc, s42, v34
	v_addc_co_u32_e32 v80, vcc, v29, v35, vcc
	v_add_co_u32_e32 v31, vcc, s94, v31
	v_addc_co_u32_e32 v80, vcc, 0, v80, vcc
	;; [unrolled: 2-line block ×4, first 2 shown]
	v_cndmask_b32_e64 v81, v29, v80, s[0:1]
	v_cndmask_b32_e64 v80, v82, v31, s[0:1]
	global_load_dword v29, v[80:81], off
	v_add_co_u32_e32 v31, vcc, 0, v18
	v_addc_co_u32_e32 v81, vcc, v3, v7, vcc
	v_add_co_u32_e32 v80, vcc, 0, v31
	v_addc_co_u32_e32 v81, vcc, v81, v1, vcc
	v_ashrrev_i64 v[82:83], 29, v[80:81]
	v_mov_b32_e32 v31, s5
	v_add_co_u32_e32 v82, vcc, s4, v82
	v_addc_co_u32_e32 v83, vcc, v31, v83, vcc
	v_ashrrev_i64 v[80:81], 30, v[80:81]
	v_mov_b32_e32 v31, s41
	v_add_co_u32_e32 v80, vcc, s40, v80
	v_addc_co_u32_e32 v81, vcc, v31, v81, vcc
	global_store_dwordx2 v[82:83], v[70:71], off
	s_waitcnt vmcnt(1)
	global_store_dword v[80:81], v29, off
	s_or_b64 exec, exec, s[90:91]
	s_and_saveexec_b64 s[90:91], s[84:85]
	s_cbranch_execz .LBB142_103
.LBB142_137:                            ;   in Loop: Header=BB142_21 Depth=1
	v_mov_b32_e32 v29, s43
	v_add_co_u32_e32 v31, vcc, s42, v34
	v_addc_co_u32_e32 v80, vcc, v29, v35, vcc
	v_add_co_u32_e32 v31, vcc, s93, v31
	v_addc_co_u32_e32 v80, vcc, 0, v80, vcc
	;; [unrolled: 2-line block ×4, first 2 shown]
	v_cndmask_b32_e64 v81, v29, v80, s[0:1]
	v_cndmask_b32_e64 v80, v82, v31, s[0:1]
	global_load_dword v29, v[80:81], off
	v_add_co_u32_e32 v31, vcc, 0, v18
	v_addc_co_u32_e32 v81, vcc, v3, v7, vcc
	v_add_co_u32_e32 v80, vcc, 0, v31
	v_addc_co_u32_e32 v81, vcc, v81, v21, vcc
	v_ashrrev_i64 v[82:83], 29, v[80:81]
	v_mov_b32_e32 v31, s5
	v_add_co_u32_e32 v82, vcc, s4, v82
	v_addc_co_u32_e32 v83, vcc, v31, v83, vcc
	v_ashrrev_i64 v[80:81], 30, v[80:81]
	v_mov_b32_e32 v31, s41
	v_add_co_u32_e32 v80, vcc, s40, v80
	v_addc_co_u32_e32 v81, vcc, v31, v81, vcc
	global_store_dwordx2 v[82:83], v[72:73], off
	s_waitcnt vmcnt(1)
	global_store_dword v[80:81], v29, off
	s_or_b64 exec, exec, s[90:91]
	s_and_saveexec_b64 s[90:91], s[86:87]
	s_cbranch_execz .LBB142_104
.LBB142_138:                            ;   in Loop: Header=BB142_21 Depth=1
	v_mov_b32_e32 v29, s43
	v_add_co_u32_e32 v31, vcc, s42, v34
	v_addc_co_u32_e32 v80, vcc, v29, v35, vcc
	v_add_co_u32_e32 v31, vcc, s92, v31
	v_addc_co_u32_e32 v80, vcc, 0, v80, vcc
	v_add_co_u32_e32 v81, vcc, s42, v58
	v_addc_co_u32_e32 v29, vcc, v29, v59, vcc
	v_add_co_u32_e32 v82, vcc, 0x300, v81
	v_addc_co_u32_e32 v29, vcc, 0, v29, vcc
	v_cndmask_b32_e64 v81, v29, v80, s[0:1]
	v_cndmask_b32_e64 v80, v82, v31, s[0:1]
	global_load_dword v29, v[80:81], off
	v_add_co_u32_e32 v31, vcc, 0, v18
	v_addc_co_u32_e32 v81, vcc, v3, v7, vcc
	v_add_co_u32_e32 v80, vcc, 0, v31
	v_addc_co_u32_e32 v81, vcc, v81, v23, vcc
	v_ashrrev_i64 v[82:83], 29, v[80:81]
	v_mov_b32_e32 v31, s5
	v_add_co_u32_e32 v82, vcc, s4, v82
	v_addc_co_u32_e32 v83, vcc, v31, v83, vcc
	v_ashrrev_i64 v[80:81], 30, v[80:81]
	v_mov_b32_e32 v31, s41
	v_add_co_u32_e32 v80, vcc, s40, v80
	v_addc_co_u32_e32 v81, vcc, v31, v81, vcc
	global_store_dwordx2 v[82:83], v[74:75], off
	s_waitcnt vmcnt(1)
	global_store_dword v[80:81], v29, off
	s_or_b64 exec, exec, s[90:91]
	s_and_saveexec_b64 s[90:91], s[6:7]
	s_cbranch_execz .LBB142_105
.LBB142_139:                            ;   in Loop: Header=BB142_21 Depth=1
	v_cndmask_b32_e64 v31, v60, v34, s[0:1]
	v_cndmask_b32_e64 v29, v61, v35, s[0:1]
	v_mov_b32_e32 v81, s43
	v_add_co_u32_e32 v80, vcc, s42, v31
	v_addc_co_u32_e32 v81, vcc, v81, v29, vcc
	global_load_dword v29, v[80:81], off offset:768
	v_add_co_u32_e32 v31, vcc, 0, v18
	v_addc_co_u32_e32 v81, vcc, v3, v7, vcc
	v_add_co_u32_e32 v80, vcc, 0, v31
	v_addc_co_u32_e32 v81, vcc, v81, v25, vcc
	v_ashrrev_i64 v[82:83], 29, v[80:81]
	v_mov_b32_e32 v31, s5
	v_add_co_u32_e32 v82, vcc, s4, v82
	v_addc_co_u32_e32 v83, vcc, v31, v83, vcc
	v_ashrrev_i64 v[80:81], 30, v[80:81]
	v_mov_b32_e32 v31, s41
	v_add_co_u32_e32 v80, vcc, s40, v80
	v_addc_co_u32_e32 v81, vcc, v31, v81, vcc
	global_store_dwordx2 v[82:83], v[76:77], off
	s_waitcnt vmcnt(1)
	global_store_dword v[80:81], v29, off
	s_or_b64 exec, exec, s[90:91]
	s_and_saveexec_b64 s[90:91], s[14:15]
	s_cbranch_execz .LBB142_106
.LBB142_140:                            ;   in Loop: Header=BB142_21 Depth=1
	v_mov_b32_e32 v29, s43
	v_add_co_u32_e32 v31, vcc, s42, v34
	v_addc_co_u32_e32 v80, vcc, v29, v35, vcc
	v_add_co_u32_e32 v31, vcc, s39, v31
	v_addc_co_u32_e32 v80, vcc, 0, v80, vcc
	;; [unrolled: 2-line block ×4, first 2 shown]
	v_cndmask_b32_e64 v81, v29, v80, s[0:1]
	v_cndmask_b32_e64 v80, v82, v31, s[0:1]
	global_load_dword v29, v[80:81], off
	v_add_co_u32_e32 v31, vcc, 0, v18
	v_addc_co_u32_e32 v81, vcc, v3, v7, vcc
	v_add_co_u32_e32 v80, vcc, 0, v31
	v_addc_co_u32_e32 v81, vcc, v81, v27, vcc
	v_ashrrev_i64 v[82:83], 29, v[80:81]
	v_mov_b32_e32 v31, s5
	v_add_co_u32_e32 v82, vcc, s4, v82
	v_addc_co_u32_e32 v83, vcc, v31, v83, vcc
	v_ashrrev_i64 v[80:81], 30, v[80:81]
	v_mov_b32_e32 v31, s41
	v_add_co_u32_e32 v80, vcc, s40, v80
	v_addc_co_u32_e32 v81, vcc, v31, v81, vcc
	global_store_dwordx2 v[82:83], v[78:79], off
	s_waitcnt vmcnt(1)
	global_store_dword v[80:81], v29, off
	s_or_b64 exec, exec, s[90:91]
	s_and_saveexec_b64 s[90:91], s[18:19]
	s_cbranch_execz .LBB142_107
.LBB142_141:                            ;   in Loop: Header=BB142_21 Depth=1
	v_mov_b32_e32 v29, s43
	v_add_co_u32_e32 v31, vcc, s42, v32
	v_addc_co_u32_e32 v80, vcc, v29, v33, vcc
	v_add_co_u32_e32 v81, vcc, s42, v48
	v_addc_co_u32_e32 v29, vcc, v29, v49, vcc
	;; [unrolled: 2-line block ×3, first 2 shown]
	v_cndmask_b32_e64 v81, v29, v80, s[0:1]
	v_cndmask_b32_e64 v80, v82, v31, s[0:1]
	global_load_dword v29, v[80:81], off
	v_add_co_u32_e32 v80, vcc, 0, v16
	v_addc_co_u32_e32 v81, vcc, v3, v5, vcc
	v_ashrrev_i64 v[82:83], 29, v[80:81]
	v_mov_b32_e32 v31, s5
	v_add_co_u32_e32 v82, vcc, s4, v82
	v_addc_co_u32_e32 v83, vcc, v31, v83, vcc
	global_store_dwordx2 v[82:83], v[68:69], off
	v_ashrrev_i64 v[68:69], 30, v[80:81]
	v_mov_b32_e32 v31, s41
	v_add_co_u32_e32 v68, vcc, s40, v68
	v_addc_co_u32_e32 v69, vcc, v31, v69, vcc
	s_waitcnt vmcnt(1)
	global_store_dword v[68:69], v29, off
	s_or_b64 exec, exec, s[90:91]
	s_and_saveexec_b64 s[90:91], s[20:21]
	s_cbranch_execz .LBB142_108
.LBB142_142:                            ;   in Loop: Header=BB142_21 Depth=1
	v_mov_b32_e32 v29, s43
	v_add_co_u32_e32 v31, vcc, s42, v32
	v_addc_co_u32_e32 v68, vcc, v29, v33, vcc
	v_add_co_u32_e32 v31, vcc, s44, v31
	v_addc_co_u32_e32 v68, vcc, 0, v68, vcc
	;; [unrolled: 2-line block ×4, first 2 shown]
	v_cndmask_b32_e64 v69, v29, v68, s[0:1]
	v_cndmask_b32_e64 v68, v80, v31, s[0:1]
	global_load_dword v29, v[68:69], off
	v_add_co_u32_e32 v31, vcc, 0, v16
	v_addc_co_u32_e32 v69, vcc, v3, v5, vcc
	v_add_co_u32_e32 v68, vcc, 0, v31
	v_addc_co_u32_e32 v69, vcc, 32, v69, vcc
	v_ashrrev_i64 v[80:81], 29, v[68:69]
	v_mov_b32_e32 v31, s5
	v_add_co_u32_e32 v80, vcc, s4, v80
	v_addc_co_u32_e32 v81, vcc, v31, v81, vcc
	global_store_dwordx2 v[80:81], v[64:65], off
	v_ashrrev_i64 v[64:65], 30, v[68:69]
	v_mov_b32_e32 v31, s41
	v_add_co_u32_e32 v64, vcc, s40, v64
	v_addc_co_u32_e32 v65, vcc, v31, v65, vcc
	s_waitcnt vmcnt(1)
	global_store_dword v[64:65], v29, off
	s_or_b64 exec, exec, s[90:91]
	s_and_saveexec_b64 s[90:91], s[22:23]
	s_cbranch_execz .LBB142_109
.LBB142_143:                            ;   in Loop: Header=BB142_21 Depth=1
	v_mov_b32_e32 v29, s43
	v_add_co_u32_e32 v31, vcc, s42, v32
	v_addc_co_u32_e32 v64, vcc, v29, v33, vcc
	v_add_co_u32_e32 v31, vcc, s95, v31
	v_addc_co_u32_e32 v64, vcc, 0, v64, vcc
	;; [unrolled: 2-line block ×4, first 2 shown]
	v_cndmask_b32_e64 v65, v29, v64, s[0:1]
	v_cndmask_b32_e64 v64, v68, v31, s[0:1]
	global_load_dword v29, v[64:65], off
	v_add_co_u32_e32 v31, vcc, 0, v16
	v_addc_co_u32_e32 v65, vcc, v3, v5, vcc
	v_add_co_u32_e32 v64, vcc, 0, v31
	v_addc_co_u32_e32 v65, vcc, 64, v65, vcc
	v_ashrrev_i64 v[68:69], 29, v[64:65]
	v_mov_b32_e32 v31, s5
	v_add_co_u32_e32 v68, vcc, s4, v68
	v_addc_co_u32_e32 v69, vcc, v31, v69, vcc
	v_ashrrev_i64 v[64:65], 30, v[64:65]
	v_mov_b32_e32 v31, s41
	v_add_co_u32_e32 v64, vcc, s40, v64
	v_addc_co_u32_e32 v65, vcc, v31, v65, vcc
	global_store_dwordx2 v[68:69], v[66:67], off
	s_waitcnt vmcnt(1)
	global_store_dword v[64:65], v29, off
	s_or_b64 exec, exec, s[90:91]
	s_and_saveexec_b64 s[90:91], s[24:25]
	s_cbranch_execz .LBB142_110
.LBB142_144:                            ;   in Loop: Header=BB142_21 Depth=1
	v_mov_b32_e32 v29, s43
	v_add_co_u32_e32 v31, vcc, s42, v32
	v_addc_co_u32_e32 v64, vcc, v29, v33, vcc
	v_add_co_u32_e32 v31, vcc, s94, v31
	v_addc_co_u32_e32 v64, vcc, 0, v64, vcc
	;; [unrolled: 2-line block ×4, first 2 shown]
	v_cndmask_b32_e64 v65, v29, v64, s[0:1]
	v_cndmask_b32_e64 v64, v66, v31, s[0:1]
	global_load_dword v29, v[64:65], off
	v_add_co_u32_e32 v31, vcc, 0, v16
	v_addc_co_u32_e32 v65, vcc, v3, v5, vcc
	v_add_co_u32_e32 v64, vcc, 0, v31
	v_addc_co_u32_e32 v65, vcc, v65, v1, vcc
	v_ashrrev_i64 v[66:67], 29, v[64:65]
	v_mov_b32_e32 v31, s5
	v_add_co_u32_e32 v66, vcc, s4, v66
	v_addc_co_u32_e32 v67, vcc, v31, v67, vcc
	v_ashrrev_i64 v[64:65], 30, v[64:65]
	v_mov_b32_e32 v31, s41
	v_add_co_u32_e32 v64, vcc, s40, v64
	v_addc_co_u32_e32 v65, vcc, v31, v65, vcc
	global_store_dwordx2 v[66:67], v[70:71], off
	s_waitcnt vmcnt(1)
	global_store_dword v[64:65], v29, off
	s_or_b64 exec, exec, s[90:91]
	s_and_saveexec_b64 s[90:91], s[26:27]
	s_cbranch_execz .LBB142_111
.LBB142_145:                            ;   in Loop: Header=BB142_21 Depth=1
	v_mov_b32_e32 v29, s43
	v_add_co_u32_e32 v31, vcc, s42, v32
	v_addc_co_u32_e32 v64, vcc, v29, v33, vcc
	v_add_co_u32_e32 v31, vcc, s93, v31
	v_addc_co_u32_e32 v64, vcc, 0, v64, vcc
	;; [unrolled: 2-line block ×4, first 2 shown]
	v_cndmask_b32_e64 v65, v29, v64, s[0:1]
	v_cndmask_b32_e64 v64, v66, v31, s[0:1]
	global_load_dword v29, v[64:65], off
	v_add_co_u32_e32 v31, vcc, 0, v16
	v_addc_co_u32_e32 v65, vcc, v3, v5, vcc
	v_add_co_u32_e32 v64, vcc, 0, v31
	v_addc_co_u32_e32 v65, vcc, v65, v21, vcc
	v_ashrrev_i64 v[66:67], 29, v[64:65]
	v_mov_b32_e32 v31, s5
	v_add_co_u32_e32 v66, vcc, s4, v66
	v_addc_co_u32_e32 v67, vcc, v31, v67, vcc
	v_ashrrev_i64 v[64:65], 30, v[64:65]
	v_mov_b32_e32 v31, s41
	v_add_co_u32_e32 v64, vcc, s40, v64
	v_addc_co_u32_e32 v65, vcc, v31, v65, vcc
	global_store_dwordx2 v[66:67], v[72:73], off
	s_waitcnt vmcnt(1)
	global_store_dword v[64:65], v29, off
	s_or_b64 exec, exec, s[90:91]
	s_and_saveexec_b64 s[90:91], s[28:29]
	s_cbranch_execz .LBB142_112
.LBB142_146:                            ;   in Loop: Header=BB142_21 Depth=1
	v_mov_b32_e32 v29, s43
	v_add_co_u32_e32 v31, vcc, s42, v32
	v_addc_co_u32_e32 v64, vcc, v29, v33, vcc
	v_add_co_u32_e32 v31, vcc, s92, v31
	v_addc_co_u32_e32 v64, vcc, 0, v64, vcc
	;; [unrolled: 2-line block ×4, first 2 shown]
	v_cndmask_b32_e64 v65, v29, v64, s[0:1]
	v_cndmask_b32_e64 v64, v66, v31, s[0:1]
	global_load_dword v29, v[64:65], off
	v_add_co_u32_e32 v31, vcc, 0, v16
	v_addc_co_u32_e32 v65, vcc, v3, v5, vcc
	v_add_co_u32_e32 v64, vcc, 0, v31
	v_addc_co_u32_e32 v65, vcc, v65, v23, vcc
	v_ashrrev_i64 v[66:67], 29, v[64:65]
	v_mov_b32_e32 v31, s5
	v_add_co_u32_e32 v66, vcc, s4, v66
	v_addc_co_u32_e32 v67, vcc, v31, v67, vcc
	v_ashrrev_i64 v[64:65], 30, v[64:65]
	v_mov_b32_e32 v31, s41
	v_add_co_u32_e32 v64, vcc, s40, v64
	v_addc_co_u32_e32 v65, vcc, v31, v65, vcc
	global_store_dwordx2 v[66:67], v[74:75], off
	s_waitcnt vmcnt(1)
	global_store_dword v[64:65], v29, off
	s_or_b64 exec, exec, s[90:91]
	s_and_saveexec_b64 s[90:91], s[30:31]
	s_cbranch_execz .LBB142_113
.LBB142_147:                            ;   in Loop: Header=BB142_21 Depth=1
	v_mov_b32_e32 v29, s43
	v_add_co_u32_e32 v31, vcc, s42, v32
	v_addc_co_u32_e32 v64, vcc, v29, v33, vcc
	v_add_co_u32_e32 v31, vcc, s33, v31
	v_addc_co_u32_e32 v64, vcc, 0, v64, vcc
	;; [unrolled: 2-line block ×4, first 2 shown]
	v_cndmask_b32_e64 v65, v29, v64, s[0:1]
	v_cndmask_b32_e64 v64, v66, v31, s[0:1]
	global_load_dword v29, v[64:65], off
	v_add_co_u32_e32 v31, vcc, 0, v16
	v_addc_co_u32_e32 v65, vcc, v3, v5, vcc
	v_add_co_u32_e32 v64, vcc, 0, v31
	v_addc_co_u32_e32 v65, vcc, v65, v25, vcc
	v_ashrrev_i64 v[66:67], 29, v[64:65]
	v_mov_b32_e32 v31, s5
	v_add_co_u32_e32 v66, vcc, s4, v66
	v_addc_co_u32_e32 v67, vcc, v31, v67, vcc
	v_ashrrev_i64 v[64:65], 30, v[64:65]
	v_mov_b32_e32 v31, s41
	v_add_co_u32_e32 v64, vcc, s40, v64
	v_addc_co_u32_e32 v65, vcc, v31, v65, vcc
	global_store_dwordx2 v[66:67], v[76:77], off
	s_waitcnt vmcnt(1)
	global_store_dword v[64:65], v29, off
	s_or_b64 exec, exec, s[90:91]
	s_and_saveexec_b64 s[90:91], s[16:17]
	s_cbranch_execz .LBB142_20
.LBB142_148:                            ;   in Loop: Header=BB142_21 Depth=1
	v_cndmask_b32_e64 v31, v62, v32, s[0:1]
	v_cndmask_b32_e64 v29, v63, v33, s[0:1]
	v_mov_b32_e32 v65, s43
	v_add_co_u32_e32 v64, vcc, s42, v31
	v_addc_co_u32_e32 v65, vcc, v65, v29, vcc
	global_load_dword v29, v[64:65], off offset:896
	v_add_co_u32_e32 v31, vcc, 0, v16
	v_addc_co_u32_e32 v65, vcc, v3, v5, vcc
	v_add_co_u32_e32 v64, vcc, 0, v31
	v_addc_co_u32_e32 v65, vcc, v65, v27, vcc
	v_ashrrev_i64 v[66:67], 29, v[64:65]
	v_mov_b32_e32 v31, s5
	v_add_co_u32_e32 v66, vcc, s4, v66
	v_addc_co_u32_e32 v67, vcc, v31, v67, vcc
	v_ashrrev_i64 v[64:65], 30, v[64:65]
	v_mov_b32_e32 v31, s41
	v_add_co_u32_e32 v64, vcc, s40, v64
	v_addc_co_u32_e32 v65, vcc, v31, v65, vcc
	global_store_dwordx2 v[66:67], v[78:79], off
	s_waitcnt vmcnt(1)
	global_store_dword v[64:65], v29, off
	s_branch .LBB142_20
.LBB142_149:
	s_endpgm
	.section	.rodata,"a",@progbits
	.p2align	6, 0x0
	.amdhsa_kernel _ZN9rocsparseL35bsr2csr_block_per_row_33_256_kernelILj1024ELj256ELj32EfilEEv20rocsparse_direction_T4_S2_21rocsparse_index_base_PKT2_PKT3_PKS2_S2_S3_PS4_PS7_PS2_
		.amdhsa_group_segment_fixed_size 0
		.amdhsa_private_segment_fixed_size 0
		.amdhsa_kernarg_size 96
		.amdhsa_user_sgpr_count 6
		.amdhsa_user_sgpr_private_segment_buffer 1
		.amdhsa_user_sgpr_dispatch_ptr 0
		.amdhsa_user_sgpr_queue_ptr 0
		.amdhsa_user_sgpr_kernarg_segment_ptr 1
		.amdhsa_user_sgpr_dispatch_id 0
		.amdhsa_user_sgpr_flat_scratch_init 0
		.amdhsa_user_sgpr_kernarg_preload_length 0
		.amdhsa_user_sgpr_kernarg_preload_offset 0
		.amdhsa_user_sgpr_private_segment_size 0
		.amdhsa_uses_dynamic_stack 0
		.amdhsa_system_sgpr_private_segment_wavefront_offset 0
		.amdhsa_system_sgpr_workgroup_id_x 1
		.amdhsa_system_sgpr_workgroup_id_y 0
		.amdhsa_system_sgpr_workgroup_id_z 0
		.amdhsa_system_sgpr_workgroup_info 0
		.amdhsa_system_vgpr_workitem_id 0
		.amdhsa_next_free_vgpr 85
		.amdhsa_next_free_sgpr 96
		.amdhsa_accum_offset 88
		.amdhsa_reserve_vcc 1
		.amdhsa_reserve_flat_scratch 0
		.amdhsa_float_round_mode_32 0
		.amdhsa_float_round_mode_16_64 0
		.amdhsa_float_denorm_mode_32 3
		.amdhsa_float_denorm_mode_16_64 3
		.amdhsa_dx10_clamp 1
		.amdhsa_ieee_mode 1
		.amdhsa_fp16_overflow 0
		.amdhsa_tg_split 0
		.amdhsa_exception_fp_ieee_invalid_op 0
		.amdhsa_exception_fp_denorm_src 0
		.amdhsa_exception_fp_ieee_div_zero 0
		.amdhsa_exception_fp_ieee_overflow 0
		.amdhsa_exception_fp_ieee_underflow 0
		.amdhsa_exception_fp_ieee_inexact 0
		.amdhsa_exception_int_div_zero 0
	.end_amdhsa_kernel
	.section	.text._ZN9rocsparseL35bsr2csr_block_per_row_33_256_kernelILj1024ELj256ELj32EfilEEv20rocsparse_direction_T4_S2_21rocsparse_index_base_PKT2_PKT3_PKS2_S2_S3_PS4_PS7_PS2_,"axG",@progbits,_ZN9rocsparseL35bsr2csr_block_per_row_33_256_kernelILj1024ELj256ELj32EfilEEv20rocsparse_direction_T4_S2_21rocsparse_index_base_PKT2_PKT3_PKS2_S2_S3_PS4_PS7_PS2_,comdat
.Lfunc_end142:
	.size	_ZN9rocsparseL35bsr2csr_block_per_row_33_256_kernelILj1024ELj256ELj32EfilEEv20rocsparse_direction_T4_S2_21rocsparse_index_base_PKT2_PKT3_PKS2_S2_S3_PS4_PS7_PS2_, .Lfunc_end142-_ZN9rocsparseL35bsr2csr_block_per_row_33_256_kernelILj1024ELj256ELj32EfilEEv20rocsparse_direction_T4_S2_21rocsparse_index_base_PKT2_PKT3_PKS2_S2_S3_PS4_PS7_PS2_
                                        ; -- End function
	.section	.AMDGPU.csdata,"",@progbits
; Kernel info:
; codeLenInByte = 13320
; NumSgprs: 100
; NumVgprs: 85
; NumAgprs: 0
; TotalNumVgprs: 85
; ScratchSize: 0
; MemoryBound: 0
; FloatMode: 240
; IeeeMode: 1
; LDSByteSize: 0 bytes/workgroup (compile time only)
; SGPRBlocks: 12
; VGPRBlocks: 10
; NumSGPRsForWavesPerEU: 100
; NumVGPRsForWavesPerEU: 85
; AccumOffset: 88
; Occupancy: 5
; WaveLimiterHint : 1
; COMPUTE_PGM_RSRC2:SCRATCH_EN: 0
; COMPUTE_PGM_RSRC2:USER_SGPR: 6
; COMPUTE_PGM_RSRC2:TRAP_HANDLER: 0
; COMPUTE_PGM_RSRC2:TGID_X_EN: 1
; COMPUTE_PGM_RSRC2:TGID_Y_EN: 0
; COMPUTE_PGM_RSRC2:TGID_Z_EN: 0
; COMPUTE_PGM_RSRC2:TIDIG_COMP_CNT: 0
; COMPUTE_PGM_RSRC3_GFX90A:ACCUM_OFFSET: 21
; COMPUTE_PGM_RSRC3_GFX90A:TG_SPLIT: 0
	.section	.text._ZN9rocsparseL35bsr2csr_block_dim_equals_one_kernelILj1024EfllEEvT2_S1_21rocsparse_index_base_PKT0_PKT1_PKS1_S2_PS3_PS6_PS1_,"axG",@progbits,_ZN9rocsparseL35bsr2csr_block_dim_equals_one_kernelILj1024EfllEEvT2_S1_21rocsparse_index_base_PKT0_PKT1_PKS1_S2_PS3_PS6_PS1_,comdat
	.globl	_ZN9rocsparseL35bsr2csr_block_dim_equals_one_kernelILj1024EfllEEvT2_S1_21rocsparse_index_base_PKT0_PKT1_PKS1_S2_PS3_PS6_PS1_ ; -- Begin function _ZN9rocsparseL35bsr2csr_block_dim_equals_one_kernelILj1024EfllEEvT2_S1_21rocsparse_index_base_PKT0_PKT1_PKS1_S2_PS3_PS6_PS1_
	.p2align	8
	.type	_ZN9rocsparseL35bsr2csr_block_dim_equals_one_kernelILj1024EfllEEvT2_S1_21rocsparse_index_base_PKT0_PKT1_PKS1_S2_PS3_PS6_PS1_,@function
_ZN9rocsparseL35bsr2csr_block_dim_equals_one_kernelILj1024EfllEEvT2_S1_21rocsparse_index_base_PKT0_PKT1_PKS1_S2_PS3_PS6_PS1_: ; @_ZN9rocsparseL35bsr2csr_block_dim_equals_one_kernelILj1024EfllEEvT2_S1_21rocsparse_index_base_PKT0_PKT1_PKS1_S2_PS3_PS6_PS1_
; %bb.0:
	v_lshl_or_b32 v0, s6, 10, v0
	v_mov_b32_e32 v1, 0
	s_load_dwordx2 s[14:15], s[4:5], 0x0
	s_load_dword s22, s[4:5], 0x10
	s_load_dwordx4 s[0:3], s[4:5], 0x18
	s_load_dwordx2 s[8:9], s[4:5], 0x28
	s_load_dword s23, s[4:5], 0x30
	s_load_dwordx2 s[10:11], s[4:5], 0x48
	s_load_dwordx2 s[12:13], s[4:5], 0x38
	s_waitcnt lgkmcnt(0)
	v_cmp_gt_i64_e32 vcc, s[14:15], v[0:1]
	s_and_saveexec_b64 s[6:7], vcc
	s_cbranch_execz .LBB143_6
; %bb.1:
	s_load_dwordx2 s[16:17], s[4:5], 0x40
	v_cmp_ne_u32_e32 vcc, 0, v0
                                        ; implicit-def: $sgpr20_sgpr21
	s_and_saveexec_b64 s[18:19], vcc
	s_xor_b64 s[18:19], exec, s[18:19]
; %bb.2:
	s_sub_u32 s20, s23, s22
	s_subb_u32 s21, 0, 0
; %bb.3:
	s_or_saveexec_b64 s[18:19], s[18:19]
	v_pk_mov_b32 v[2:3], s[20:21], s[20:21] op_sel:[0,1]
	s_xor_b64 exec, exec, s[18:19]
	s_cbranch_execz .LBB143_5
; %bb.4:
	s_load_dwordx2 s[20:21], s[2:3], 0x0
	s_sub_u32 s24, s23, s22
	s_subb_u32 s25, 0, 0
	v_mov_b32_e32 v4, 0
	s_waitcnt lgkmcnt(0)
	s_add_u32 s20, s24, s20
	s_addc_u32 s21, s25, s21
	v_pk_mov_b32 v[2:3], s[20:21], s[20:21] op_sel:[0,1]
	global_store_dwordx2 v4, v[2:3], s[16:17]
	v_pk_mov_b32 v[2:3], s[24:25], s[24:25] op_sel:[0,1]
.LBB143_5:
	s_or_b64 exec, exec, s[18:19]
	v_lshlrev_b64 v[4:5], 3, v[0:1]
	v_mov_b32_e32 v7, s3
	v_add_co_u32_e32 v6, vcc, s2, v4
	v_addc_co_u32_e32 v7, vcc, v7, v5, vcc
	global_load_dwordx2 v[6:7], v[6:7], off offset:8
	s_waitcnt lgkmcnt(0)
	v_mov_b32_e32 v8, s17
	s_waitcnt vmcnt(0)
	v_add_co_u32_e32 v2, vcc, v2, v6
	v_addc_co_u32_e32 v3, vcc, v3, v7, vcc
	v_add_co_u32_e32 v4, vcc, s16, v4
	v_addc_co_u32_e32 v5, vcc, v8, v5, vcc
	global_store_dwordx2 v[4:5], v[2:3], off offset:8
.LBB143_6:
	s_or_b64 exec, exec, s[6:7]
	s_lshl_b64 s[6:7], s[14:15], 3
	s_add_u32 s6, s2, s6
	s_addc_u32 s7, s3, s7
	s_load_dwordx2 s[14:15], s[6:7], 0x0
	s_load_dwordx2 s[16:17], s[2:3], 0x0
	s_waitcnt lgkmcnt(0)
	s_sub_u32 s2, s14, s16
	s_subb_u32 s3, s15, s17
	v_cmp_gt_i64_e32 vcc, s[2:3], v[0:1]
	s_and_saveexec_b64 s[6:7], vcc
	s_cbranch_execz .LBB143_9
; %bb.7:
	s_load_dword s4, s[4:5], 0x50
	s_sub_u32 s18, s23, s22
	s_mov_b32 s5, 0
	s_subb_u32 s19, 0, 0
	v_lshlrev_b64 v[2:3], 2, v[0:1]
	s_waitcnt lgkmcnt(0)
	s_lshl_b32 s4, s4, 10
	s_lshl_b64 s[6:7], s[4:5], 2
	s_lshl_b64 s[14:15], s[4:5], 3
	v_lshlrev_b64 v[4:5], 3, v[0:1]
	s_mov_b64 s[16:17], 0
	v_mov_b32_e32 v6, s9
	v_mov_b32_e32 v7, s19
	;; [unrolled: 1-line block ×8, first 2 shown]
.LBB143_8:                              ; =>This Inner Loop Header: Depth=1
	v_add_co_u32_e32 v14, vcc, s8, v4
	v_addc_co_u32_e32 v15, vcc, v6, v5, vcc
	v_add_co_u32_e32 v16, vcc, s0, v2
	v_addc_co_u32_e32 v17, vcc, v9, v3, vcc
	global_load_dwordx2 v[18:19], v[14:15], off
	global_load_dword v20, v[16:17], off
	v_add_co_u32_e32 v14, vcc, s10, v4
	v_addc_co_u32_e32 v15, vcc, v8, v5, vcc
	v_add_co_u32_e32 v16, vcc, s12, v2
	v_addc_co_u32_e32 v17, vcc, v10, v3, vcc
	v_add_co_u32_e32 v0, vcc, s4, v0
	v_addc_co_u32_e32 v1, vcc, v1, v11, vcc
	v_add_co_u32_e32 v2, vcc, s6, v2
	v_addc_co_u32_e32 v3, vcc, v3, v12, vcc
	v_add_co_u32_e32 v4, vcc, s14, v4
	v_addc_co_u32_e32 v5, vcc, v5, v13, vcc
	v_cmp_le_i64_e32 vcc, s[2:3], v[0:1]
	s_or_b64 s[16:17], vcc, s[16:17]
	s_waitcnt vmcnt(1)
	v_add_co_u32_e32 v18, vcc, s18, v18
	v_addc_co_u32_e32 v19, vcc, v7, v19, vcc
	s_waitcnt vmcnt(0)
	global_store_dword v[16:17], v20, off
	global_store_dwordx2 v[14:15], v[18:19], off
	s_andn2_b64 exec, exec, s[16:17]
	s_cbranch_execnz .LBB143_8
.LBB143_9:
	s_endpgm
	.section	.rodata,"a",@progbits
	.p2align	6, 0x0
	.amdhsa_kernel _ZN9rocsparseL35bsr2csr_block_dim_equals_one_kernelILj1024EfllEEvT2_S1_21rocsparse_index_base_PKT0_PKT1_PKS1_S2_PS3_PS6_PS1_
		.amdhsa_group_segment_fixed_size 0
		.amdhsa_private_segment_fixed_size 0
		.amdhsa_kernarg_size 336
		.amdhsa_user_sgpr_count 6
		.amdhsa_user_sgpr_private_segment_buffer 1
		.amdhsa_user_sgpr_dispatch_ptr 0
		.amdhsa_user_sgpr_queue_ptr 0
		.amdhsa_user_sgpr_kernarg_segment_ptr 1
		.amdhsa_user_sgpr_dispatch_id 0
		.amdhsa_user_sgpr_flat_scratch_init 0
		.amdhsa_user_sgpr_kernarg_preload_length 0
		.amdhsa_user_sgpr_kernarg_preload_offset 0
		.amdhsa_user_sgpr_private_segment_size 0
		.amdhsa_uses_dynamic_stack 0
		.amdhsa_system_sgpr_private_segment_wavefront_offset 0
		.amdhsa_system_sgpr_workgroup_id_x 1
		.amdhsa_system_sgpr_workgroup_id_y 0
		.amdhsa_system_sgpr_workgroup_id_z 0
		.amdhsa_system_sgpr_workgroup_info 0
		.amdhsa_system_vgpr_workitem_id 0
		.amdhsa_next_free_vgpr 21
		.amdhsa_next_free_sgpr 26
		.amdhsa_accum_offset 24
		.amdhsa_reserve_vcc 1
		.amdhsa_reserve_flat_scratch 0
		.amdhsa_float_round_mode_32 0
		.amdhsa_float_round_mode_16_64 0
		.amdhsa_float_denorm_mode_32 3
		.amdhsa_float_denorm_mode_16_64 3
		.amdhsa_dx10_clamp 1
		.amdhsa_ieee_mode 1
		.amdhsa_fp16_overflow 0
		.amdhsa_tg_split 0
		.amdhsa_exception_fp_ieee_invalid_op 0
		.amdhsa_exception_fp_denorm_src 0
		.amdhsa_exception_fp_ieee_div_zero 0
		.amdhsa_exception_fp_ieee_overflow 0
		.amdhsa_exception_fp_ieee_underflow 0
		.amdhsa_exception_fp_ieee_inexact 0
		.amdhsa_exception_int_div_zero 0
	.end_amdhsa_kernel
	.section	.text._ZN9rocsparseL35bsr2csr_block_dim_equals_one_kernelILj1024EfllEEvT2_S1_21rocsparse_index_base_PKT0_PKT1_PKS1_S2_PS3_PS6_PS1_,"axG",@progbits,_ZN9rocsparseL35bsr2csr_block_dim_equals_one_kernelILj1024EfllEEvT2_S1_21rocsparse_index_base_PKT0_PKT1_PKS1_S2_PS3_PS6_PS1_,comdat
.Lfunc_end143:
	.size	_ZN9rocsparseL35bsr2csr_block_dim_equals_one_kernelILj1024EfllEEvT2_S1_21rocsparse_index_base_PKT0_PKT1_PKS1_S2_PS3_PS6_PS1_, .Lfunc_end143-_ZN9rocsparseL35bsr2csr_block_dim_equals_one_kernelILj1024EfllEEvT2_S1_21rocsparse_index_base_PKT0_PKT1_PKS1_S2_PS3_PS6_PS1_
                                        ; -- End function
	.section	.AMDGPU.csdata,"",@progbits
; Kernel info:
; codeLenInByte = 524
; NumSgprs: 30
; NumVgprs: 21
; NumAgprs: 0
; TotalNumVgprs: 21
; ScratchSize: 0
; MemoryBound: 0
; FloatMode: 240
; IeeeMode: 1
; LDSByteSize: 0 bytes/workgroup (compile time only)
; SGPRBlocks: 3
; VGPRBlocks: 2
; NumSGPRsForWavesPerEU: 30
; NumVGPRsForWavesPerEU: 21
; AccumOffset: 24
; Occupancy: 8
; WaveLimiterHint : 0
; COMPUTE_PGM_RSRC2:SCRATCH_EN: 0
; COMPUTE_PGM_RSRC2:USER_SGPR: 6
; COMPUTE_PGM_RSRC2:TRAP_HANDLER: 0
; COMPUTE_PGM_RSRC2:TGID_X_EN: 1
; COMPUTE_PGM_RSRC2:TGID_Y_EN: 0
; COMPUTE_PGM_RSRC2:TGID_Z_EN: 0
; COMPUTE_PGM_RSRC2:TIDIG_COMP_CNT: 0
; COMPUTE_PGM_RSRC3_GFX90A:ACCUM_OFFSET: 5
; COMPUTE_PGM_RSRC3_GFX90A:TG_SPLIT: 0
	.section	.text._ZN9rocsparseL32bsr2csr_block_per_row_2_7_kernelILj256ELj2EfllEEv20rocsparse_direction_T3_S2_21rocsparse_index_base_PKT1_PKT2_PKS2_S2_S3_PS4_PS7_PS2_,"axG",@progbits,_ZN9rocsparseL32bsr2csr_block_per_row_2_7_kernelILj256ELj2EfllEEv20rocsparse_direction_T3_S2_21rocsparse_index_base_PKT1_PKT2_PKS2_S2_S3_PS4_PS7_PS2_,comdat
	.globl	_ZN9rocsparseL32bsr2csr_block_per_row_2_7_kernelILj256ELj2EfllEEv20rocsparse_direction_T3_S2_21rocsparse_index_base_PKT1_PKT2_PKS2_S2_S3_PS4_PS7_PS2_ ; -- Begin function _ZN9rocsparseL32bsr2csr_block_per_row_2_7_kernelILj256ELj2EfllEEv20rocsparse_direction_T3_S2_21rocsparse_index_base_PKT1_PKT2_PKS2_S2_S3_PS4_PS7_PS2_
	.p2align	8
	.type	_ZN9rocsparseL32bsr2csr_block_per_row_2_7_kernelILj256ELj2EfllEEv20rocsparse_direction_T3_S2_21rocsparse_index_base_PKT1_PKT2_PKS2_S2_S3_PS4_PS7_PS2_,@function
_ZN9rocsparseL32bsr2csr_block_per_row_2_7_kernelILj256ELj2EfllEEv20rocsparse_direction_T3_S2_21rocsparse_index_base_PKT1_PKT2_PKS2_S2_S3_PS4_PS7_PS2_: ; @_ZN9rocsparseL32bsr2csr_block_per_row_2_7_kernelILj256ELj2EfllEEv20rocsparse_direction_T3_S2_21rocsparse_index_base_PKT1_PKT2_PKS2_S2_S3_PS4_PS7_PS2_
; %bb.0:
	s_load_dwordx2 s[2:3], s[4:5], 0x28
	s_load_dword s12, s[4:5], 0x40
	s_load_dwordx2 s[0:1], s[4:5], 0x50
	s_mov_b32 s15, 0
	s_mov_b32 s7, s15
	s_lshl_b64 s[8:9], s[6:7], 3
	s_waitcnt lgkmcnt(0)
	s_add_u32 s2, s2, s8
	s_addc_u32 s3, s3, s9
	s_load_dwordx4 s[8:11], s[2:3], 0x0
	v_or_b32_e32 v1, s6, v0
	s_mov_b32 s13, s15
	v_cmp_eq_u32_e32 vcc, 0, v1
	s_and_saveexec_b64 s[2:3], vcc
	s_cbranch_execz .LBB144_2
; %bb.1:
	v_mov_b32_e32 v1, 0
	v_pk_mov_b32 v[2:3], s[12:13], s[12:13] op_sel:[0,1]
	global_store_dwordx2 v1, v[2:3], s[0:1]
.LBB144_2:
	s_or_b64 exec, exec, s[2:3]
	s_load_dword s14, s[4:5], 0x18
	v_and_b32_e32 v16, 1, v0
	v_lshrrev_b32_e32 v4, 1, v0
	v_mov_b32_e32 v6, s1
	s_waitcnt lgkmcnt(0)
	s_sub_u32 s16, s8, s14
	s_subb_u32 s17, s9, 0
	s_sub_u32 s10, s10, s14
	s_subb_u32 s11, s11, 0
	s_lshl_b64 s[18:19], s[16:17], 2
	s_sub_u32 s20, s10, s16
	s_subb_u32 s21, s11, s17
	s_lshl_b64 s[2:3], s[20:21], 1
	v_mov_b32_e32 v0, s20
	s_add_u32 s20, s2, s12
	s_addc_u32 s3, s3, 0
	s_add_u32 s18, s20, s18
	v_alignbit_b32 v0, s21, v0, 31
	s_addc_u32 s19, s3, s19
	s_lshl_b64 s[6:7], s[6:7], 4
	v_mul_lo_u32 v5, v0, v16
	v_pk_mov_b32 v[0:1], s[18:19], s[18:19] op_sel:[0,1]
	v_lshl_or_b32 v2, v16, 3, s6
	v_mad_u64_u32 v[0:1], s[18:19], s2, v16, v[0:1]
	v_mov_b32_e32 v3, s7
	v_add_co_u32_e32 v2, vcc, s0, v2
	v_add_u32_e32 v1, v5, v1
	v_addc_co_u32_e32 v3, vcc, v6, v3, vcc
	global_store_dwordx2 v[2:3], v[0:1], off offset:8
	v_mov_b32_e32 v1, s17
	v_add_co_u32_e32 v0, vcc, s16, v4
	v_addc_co_u32_e32 v1, vcc, 0, v1, vcc
	v_cmp_gt_i64_e32 vcc, s[10:11], v[0:1]
	s_and_saveexec_b64 s[0:1], vcc
	s_cbranch_execz .LBB144_7
; %bb.3:
	s_load_dwordx2 s[18:19], s[4:5], 0x30
	s_load_dwordx2 s[20:21], s[4:5], 0x48
	s_load_dword s3, s[4:5], 0x0
	s_load_dwordx2 s[6:7], s[4:5], 0x20
	s_load_dwordx2 s[22:23], s[4:5], 0x58
	v_lshlrev_b64 v[2:3], 3, v[0:1]
	s_waitcnt lgkmcnt(0)
	v_mov_b32_e32 v7, s19
	s_cmp_eq_u32 s3, 0
	s_cselect_b64 s[0:1], -1, 0
	s_cmp_lg_u32 s3, 0
	s_cselect_b64 s[4:5], -1, 0
	s_add_u32 s16, s6, 8
	v_add_co_u32_e32 v2, vcc, s18, v2
	v_mul_lo_u32 v6, s2, v16
	s_addc_u32 s17, s7, 0
	v_addc_co_u32_e32 v3, vcc, v7, v3, vcc
	s_lshl_b64 s[2:3], s[8:9], 2
	v_mov_b32_e32 v7, s3
	v_add_co_u32_e32 v6, vcc, s2, v6
	v_addc_co_u32_e32 v5, vcc, v5, v7, vcc
	v_lshlrev_b32_e32 v4, 1, v4
	v_add_co_u32_e32 v4, vcc, v6, v4
	v_addc_co_u32_e32 v5, vcc, 0, v5, vcc
	s_lshl_b64 s[2:3], s[14:15], 2
	v_mov_b32_e32 v6, s3
	v_subrev_co_u32_e32 v10, vcc, s2, v4
	v_subb_co_u32_e32 v11, vcc, v5, v6, vcc
	v_lshlrev_b64 v[4:5], 2, v[10:11]
	v_mov_b32_e32 v6, s21
	v_add_co_u32_e32 v4, vcc, s20, v4
	v_addc_co_u32_e32 v5, vcc, v5, v6, vcc
	v_add_co_u32_e32 v4, vcc, 4, v4
	v_addc_co_u32_e32 v5, vcc, 0, v5, vcc
	v_lshlrev_b64 v[10:11], 3, v[10:11]
	v_mov_b32_e32 v12, s23
	v_add_co_u32_e32 v10, vcc, s22, v10
	v_addc_co_u32_e32 v11, vcc, v11, v12, vcc
	v_add_co_u32_e32 v10, vcc, 8, v10
	v_lshlrev_b64 v[12:13], 4, v[0:1]
	v_addc_co_u32_e32 v11, vcc, 0, v11, vcc
	v_lshl_or_b32 v12, v16, 3, v12
	v_mov_b32_e32 v17, s7
	v_add_co_u32_e32 v12, vcc, s6, v12
	v_addc_co_u32_e32 v13, vcc, v13, v17, vcc
	v_lshlrev_b64 v[6:7], 2, v[0:1]
	v_add_co_u32_e32 v12, vcc, 4, v12
	v_or_b32_e32 v8, v6, v16
	v_mov_b32_e32 v9, v7
	v_addc_co_u32_e32 v13, vcc, 0, v13, vcc
	v_lshl_or_b32 v6, v16, 1, v6
	s_mov_b64 s[8:9], 0
	v_mov_b32_e32 v18, s15
	v_mov_b32_e32 v19, s13
	s_branch .LBB144_5
.LBB144_4:                              ;   in Loop: Header=BB144_5 Depth=1
	global_load_dword v14, v[14:15], off
	v_add_co_u32_e32 v0, vcc, 0x80, v0
	v_addc_co_u32_e32 v1, vcc, 0, v1, vcc
	v_add_co_u32_e32 v2, vcc, 0x400, v2
	v_addc_co_u32_e32 v3, vcc, 0, v3, vcc
	v_cmp_le_i64_e32 vcc, s[10:11], v[0:1]
	s_or_b64 s[8:9], vcc, s[8:9]
	s_waitcnt vmcnt(0)
	global_store_dword v[4:5], v14, off
	v_add_co_u32_e32 v4, vcc, 0x400, v4
	v_addc_co_u32_e32 v5, vcc, 0, v5, vcc
	v_add_co_u32_e32 v8, vcc, 0x200, v8
	v_addc_co_u32_e32 v9, vcc, 0, v9, vcc
	;; [unrolled: 2-line block ×5, first 2 shown]
	s_andn2_b64 exec, exec, s[8:9]
	s_cbranch_execz .LBB144_7
.LBB144_5:                              ; =>This Inner Loop Header: Depth=1
	global_load_dwordx2 v[14:15], v[2:3], off
	v_cndmask_b32_e64 v21, v9, v7, s[0:1]
	v_cndmask_b32_e64 v20, v8, v6, s[0:1]
	v_lshlrev_b64 v[20:21], 2, v[20:21]
	v_add_co_u32_e32 v20, vcc, s6, v20
	v_addc_co_u32_e32 v21, vcc, v17, v21, vcc
	global_load_dword v22, v[20:21], off
	s_andn2_b64 vcc, exec, s[4:5]
	s_waitcnt vmcnt(1)
	v_subrev_co_u32_e64 v14, s[2:3], s14, v14
	v_subb_co_u32_e64 v15, s[2:3], v15, v18, s[2:3]
	v_lshlrev_b64 v[14:15], 1, v[14:15]
	v_add_co_u32_e64 v20, s[2:3], s12, v14
	v_addc_co_u32_e64 v21, s[2:3], v15, v19, s[2:3]
	s_waitcnt vmcnt(0)
	global_store_dword v[4:5], v22, off offset:-4
	v_add_co_u32_e64 v22, s[2:3], 1, v20
	v_addc_co_u32_e64 v23, s[2:3], 0, v21, s[2:3]
	v_pk_mov_b32 v[14:15], v[12:13], v[12:13] op_sel:[0,1]
	global_store_dwordx4 v[10:11], v[20:23], off offset:-8
	s_cbranch_vccnz .LBB144_4
; %bb.6:                                ;   in Loop: Header=BB144_5 Depth=1
	v_lshlrev_b64 v[14:15], 4, v[0:1]
	v_lshl_or_b32 v14, v16, 2, v14
	v_mov_b32_e32 v20, s17
	v_add_co_u32_e32 v14, vcc, s16, v14
	v_addc_co_u32_e32 v15, vcc, v20, v15, vcc
	s_branch .LBB144_4
.LBB144_7:
	s_endpgm
	.section	.rodata,"a",@progbits
	.p2align	6, 0x0
	.amdhsa_kernel _ZN9rocsparseL32bsr2csr_block_per_row_2_7_kernelILj256ELj2EfllEEv20rocsparse_direction_T3_S2_21rocsparse_index_base_PKT1_PKT2_PKS2_S2_S3_PS4_PS7_PS2_
		.amdhsa_group_segment_fixed_size 0
		.amdhsa_private_segment_fixed_size 0
		.amdhsa_kernarg_size 96
		.amdhsa_user_sgpr_count 6
		.amdhsa_user_sgpr_private_segment_buffer 1
		.amdhsa_user_sgpr_dispatch_ptr 0
		.amdhsa_user_sgpr_queue_ptr 0
		.amdhsa_user_sgpr_kernarg_segment_ptr 1
		.amdhsa_user_sgpr_dispatch_id 0
		.amdhsa_user_sgpr_flat_scratch_init 0
		.amdhsa_user_sgpr_kernarg_preload_length 0
		.amdhsa_user_sgpr_kernarg_preload_offset 0
		.amdhsa_user_sgpr_private_segment_size 0
		.amdhsa_uses_dynamic_stack 0
		.amdhsa_system_sgpr_private_segment_wavefront_offset 0
		.amdhsa_system_sgpr_workgroup_id_x 1
		.amdhsa_system_sgpr_workgroup_id_y 0
		.amdhsa_system_sgpr_workgroup_id_z 0
		.amdhsa_system_sgpr_workgroup_info 0
		.amdhsa_system_vgpr_workitem_id 0
		.amdhsa_next_free_vgpr 24
		.amdhsa_next_free_sgpr 24
		.amdhsa_accum_offset 24
		.amdhsa_reserve_vcc 1
		.amdhsa_reserve_flat_scratch 0
		.amdhsa_float_round_mode_32 0
		.amdhsa_float_round_mode_16_64 0
		.amdhsa_float_denorm_mode_32 3
		.amdhsa_float_denorm_mode_16_64 3
		.amdhsa_dx10_clamp 1
		.amdhsa_ieee_mode 1
		.amdhsa_fp16_overflow 0
		.amdhsa_tg_split 0
		.amdhsa_exception_fp_ieee_invalid_op 0
		.amdhsa_exception_fp_denorm_src 0
		.amdhsa_exception_fp_ieee_div_zero 0
		.amdhsa_exception_fp_ieee_overflow 0
		.amdhsa_exception_fp_ieee_underflow 0
		.amdhsa_exception_fp_ieee_inexact 0
		.amdhsa_exception_int_div_zero 0
	.end_amdhsa_kernel
	.section	.text._ZN9rocsparseL32bsr2csr_block_per_row_2_7_kernelILj256ELj2EfllEEv20rocsparse_direction_T3_S2_21rocsparse_index_base_PKT1_PKT2_PKS2_S2_S3_PS4_PS7_PS2_,"axG",@progbits,_ZN9rocsparseL32bsr2csr_block_per_row_2_7_kernelILj256ELj2EfllEEv20rocsparse_direction_T3_S2_21rocsparse_index_base_PKT1_PKT2_PKS2_S2_S3_PS4_PS7_PS2_,comdat
.Lfunc_end144:
	.size	_ZN9rocsparseL32bsr2csr_block_per_row_2_7_kernelILj256ELj2EfllEEv20rocsparse_direction_T3_S2_21rocsparse_index_base_PKT1_PKT2_PKS2_S2_S3_PS4_PS7_PS2_, .Lfunc_end144-_ZN9rocsparseL32bsr2csr_block_per_row_2_7_kernelILj256ELj2EfllEEv20rocsparse_direction_T3_S2_21rocsparse_index_base_PKT1_PKT2_PKS2_S2_S3_PS4_PS7_PS2_
                                        ; -- End function
	.section	.AMDGPU.csdata,"",@progbits
; Kernel info:
; codeLenInByte = 840
; NumSgprs: 28
; NumVgprs: 24
; NumAgprs: 0
; TotalNumVgprs: 24
; ScratchSize: 0
; MemoryBound: 0
; FloatMode: 240
; IeeeMode: 1
; LDSByteSize: 0 bytes/workgroup (compile time only)
; SGPRBlocks: 3
; VGPRBlocks: 2
; NumSGPRsForWavesPerEU: 28
; NumVGPRsForWavesPerEU: 24
; AccumOffset: 24
; Occupancy: 8
; WaveLimiterHint : 0
; COMPUTE_PGM_RSRC2:SCRATCH_EN: 0
; COMPUTE_PGM_RSRC2:USER_SGPR: 6
; COMPUTE_PGM_RSRC2:TRAP_HANDLER: 0
; COMPUTE_PGM_RSRC2:TGID_X_EN: 1
; COMPUTE_PGM_RSRC2:TGID_Y_EN: 0
; COMPUTE_PGM_RSRC2:TGID_Z_EN: 0
; COMPUTE_PGM_RSRC2:TIDIG_COMP_CNT: 0
; COMPUTE_PGM_RSRC3_GFX90A:ACCUM_OFFSET: 5
; COMPUTE_PGM_RSRC3_GFX90A:TG_SPLIT: 0
	.section	.text._ZN9rocsparseL32bsr2csr_block_per_row_2_7_kernelILj256ELj3EfllEEv20rocsparse_direction_T3_S2_21rocsparse_index_base_PKT1_PKT2_PKS2_S2_S3_PS4_PS7_PS2_,"axG",@progbits,_ZN9rocsparseL32bsr2csr_block_per_row_2_7_kernelILj256ELj3EfllEEv20rocsparse_direction_T3_S2_21rocsparse_index_base_PKT1_PKT2_PKS2_S2_S3_PS4_PS7_PS2_,comdat
	.globl	_ZN9rocsparseL32bsr2csr_block_per_row_2_7_kernelILj256ELj3EfllEEv20rocsparse_direction_T3_S2_21rocsparse_index_base_PKT1_PKT2_PKS2_S2_S3_PS4_PS7_PS2_ ; -- Begin function _ZN9rocsparseL32bsr2csr_block_per_row_2_7_kernelILj256ELj3EfllEEv20rocsparse_direction_T3_S2_21rocsparse_index_base_PKT1_PKT2_PKS2_S2_S3_PS4_PS7_PS2_
	.p2align	8
	.type	_ZN9rocsparseL32bsr2csr_block_per_row_2_7_kernelILj256ELj3EfllEEv20rocsparse_direction_T3_S2_21rocsparse_index_base_PKT1_PKT2_PKS2_S2_S3_PS4_PS7_PS2_,@function
_ZN9rocsparseL32bsr2csr_block_per_row_2_7_kernelILj256ELj3EfllEEv20rocsparse_direction_T3_S2_21rocsparse_index_base_PKT1_PKT2_PKS2_S2_S3_PS4_PS7_PS2_: ; @_ZN9rocsparseL32bsr2csr_block_per_row_2_7_kernelILj256ELj3EfllEEv20rocsparse_direction_T3_S2_21rocsparse_index_base_PKT1_PKT2_PKS2_S2_S3_PS4_PS7_PS2_
; %bb.0:
	s_load_dwordx2 s[2:3], s[4:5], 0x28
	s_load_dword s12, s[4:5], 0x40
	s_load_dwordx2 s[0:1], s[4:5], 0x50
	s_mov_b32 s7, 0
	s_lshl_b64 s[8:9], s[6:7], 3
	s_waitcnt lgkmcnt(0)
	s_add_u32 s2, s2, s8
	v_or_b32_e32 v1, s6, v0
	s_addc_u32 s3, s3, s9
	v_cmp_eq_u32_e32 vcc, 0, v1
	s_and_saveexec_b64 s[8:9], vcc
	s_cbranch_execz .LBB145_2
; %bb.1:
	v_mov_b32_e32 v2, s12
	v_mov_b32_e32 v3, 0
	global_store_dwordx2 v3, v[2:3], s[0:1]
.LBB145_2:
	s_or_b64 exec, exec, s[8:9]
	v_and_b32_e32 v12, 3, v0
	v_cmp_ne_u32_e32 vcc, 3, v12
	s_and_saveexec_b64 s[8:9], vcc
	s_cbranch_execz .LBB145_6
; %bb.3:
	s_load_dwordx4 s[8:11], s[2:3], 0x0
	s_load_dword s7, s[4:5], 0x18
	v_lshrrev_b32_e32 v2, 2, v0
	v_lshlrev_b32_e32 v4, 3, v12
	s_mov_b32 s2, 0
	s_waitcnt lgkmcnt(0)
	s_sub_u32 s16, s8, s7
	s_subb_u32 s17, s9, 0
	s_sub_u32 s10, s10, s7
	s_mul_i32 s3, s17, 9
	s_mul_hi_u32 s13, s16, 9
	s_subb_u32 s11, s11, 0
	s_add_i32 s15, s13, s3
	s_sub_u32 s3, s10, s16
	s_subb_u32 s13, s11, s17
	s_mul_i32 s13, s13, 3
	s_mul_hi_u32 s18, s3, 3
	s_add_i32 s18, s18, s13
	s_mul_i32 s3, s3, 3
	s_add_u32 s19, s3, s12
	s_mul_i32 s14, s16, 9
	v_mul_lo_u32 v3, s18, v12
	s_addc_u32 s18, s18, 0
	s_add_u32 s14, s19, s14
	s_addc_u32 s15, s18, s15
	v_pk_mov_b32 v[0:1], s[14:15], s[14:15] op_sel:[0,1]
	v_mad_u64_u32 v[0:1], s[14:15], s3, v12, v[0:1]
	s_mul_hi_u32 s14, s6, 24
	s_mul_i32 s6, s6, 24
	s_add_u32 s0, s0, s6
	v_add_u32_e32 v1, v3, v1
	s_addc_u32 s1, s1, s14
	global_store_dwordx2 v4, v[0:1], s[0:1] offset:8
	v_mov_b32_e32 v1, s17
	v_add_co_u32_e32 v0, vcc, s16, v2
	v_addc_co_u32_e32 v1, vcc, 0, v1, vcc
	v_cmp_gt_i64_e32 vcc, s[10:11], v[0:1]
	s_and_b64 exec, exec, vcc
	s_cbranch_execz .LBB145_6
; %bb.4:
	v_mad_u64_u32 v[4:5], s[0:1], s3, v12, 0
	v_add_u32_e32 v5, v5, v3
	s_load_dwordx2 s[14:15], s[4:5], 0x30
	s_load_dwordx2 s[16:17], s[4:5], 0x48
	;; [unrolled: 1-line block ×3, first 2 shown]
	s_load_dword s6, s[4:5], 0x0
	s_load_dwordx2 s[20:21], s[4:5], 0x58
	v_mad_u64_u32 v[4:5], s[4:5], s8, 9, v[4:5]
	v_mov_b32_e32 v6, v5
	v_mad_u64_u32 v[6:7], s[4:5], s9, 9, v[6:7]
	v_mov_b32_e32 v5, v6
	v_mad_u64_u32 v[2:3], s[4:5], v2, 3, v[4:5]
	s_mul_hi_u32 s3, s7, 9
	s_mul_i32 s4, s7, 9
	v_mov_b32_e32 v4, s3
	v_subrev_co_u32_e32 v10, vcc, s4, v2
	v_subb_co_u32_e32 v11, vcc, v3, v4, vcc
	v_lshlrev_b64 v[2:3], 2, v[10:11]
	s_waitcnt lgkmcnt(0)
	v_mov_b32_e32 v4, s17
	v_add_co_u32_e32 v2, vcc, s16, v2
	v_addc_co_u32_e32 v3, vcc, v3, v4, vcc
	v_add_co_u32_e32 v2, vcc, 8, v2
	v_addc_co_u32_e32 v3, vcc, 0, v3, vcc
	v_lshlrev_b64 v[4:5], 3, v[0:1]
	v_mov_b32_e32 v6, s15
	v_add_co_u32_e32 v4, vcc, s14, v4
	v_addc_co_u32_e32 v5, vcc, v6, v5, vcc
	v_mad_u64_u32 v[8:9], s[4:5], v0, 36, s[18:19]
	v_lshlrev_b64 v[10:11], 3, v[10:11]
	v_mov_b32_e32 v14, v9
	v_mov_b32_e32 v9, s21
	v_add_co_u32_e32 v10, vcc, s20, v10
	v_addc_co_u32_e32 v9, vcc, v11, v9, vcc
	s_cmp_eq_u32 s6, 0
	v_mad_u64_u32 v[14:15], s[4:5], v1, 36, v[14:15]
	v_add_co_u32_e32 v10, vcc, 8, v10
	s_mov_b32 s13, s2
	s_cselect_b64 s[0:1], -1, 0
	v_lshlrev_b32_e32 v6, 2, v12
	v_mov_b32_e32 v7, v14
	v_addc_co_u32_e32 v11, vcc, 0, v9, vcc
	v_mul_hi_u32_u24_e32 v9, 12, v12
	v_mul_u32_u24_e32 v12, 12, v12
	s_mov_b64 s[4:5], 0
	v_mov_b32_e32 v13, s2
	s_movk_i32 s6, 0x300
	s_movk_i32 s8, 0x200
.LBB145_5:                              ; =>This Inner Loop Header: Depth=1
	v_add_co_u32_e32 v20, vcc, v8, v6
	v_addc_co_u32_e32 v21, vcc, 0, v7, vcc
	v_add_co_u32_e32 v22, vcc, v8, v12
	v_addc_co_u32_e32 v23, vcc, v7, v9, vcc
	v_cndmask_b32_e64 v17, v21, v23, s[0:1]
	v_cndmask_b32_e64 v16, v20, v22, s[0:1]
	global_load_dword v16, v[16:17], off
	v_add_co_u32_e32 v17, vcc, 4, v22
	v_addc_co_u32_e32 v18, vcc, 0, v23, vcc
	v_add_co_u32_e32 v24, vcc, 12, v20
	v_addc_co_u32_e32 v19, vcc, 0, v21, vcc
	v_cndmask_b32_e64 v19, v19, v18, s[0:1]
	v_cndmask_b32_e64 v18, v24, v17, s[0:1]
	global_load_dword v17, v[18:19], off
	v_add_co_u32_e32 v18, vcc, 8, v22
	v_addc_co_u32_e32 v19, vcc, 0, v23, vcc
	v_add_co_u32_e32 v20, vcc, 24, v20
	global_load_dwordx2 v[14:15], v[4:5], off
	v_addc_co_u32_e32 v21, vcc, 0, v21, vcc
	v_cndmask_b32_e64 v19, v21, v19, s[0:1]
	v_cndmask_b32_e64 v18, v20, v18, s[0:1]
	global_load_dword v18, v[18:19], off
	v_add_co_u32_e32 v0, vcc, 64, v0
	v_addc_co_u32_e32 v1, vcc, 0, v1, vcc
	v_cmp_le_i64_e32 vcc, s[10:11], v[0:1]
	s_or_b64 s[4:5], vcc, s[4:5]
	s_waitcnt vmcnt(1)
	v_subrev_co_u32_e32 v14, vcc, s7, v14
	v_subb_co_u32_e32 v15, vcc, v15, v13, vcc
	v_mad_u64_u32 v[20:21], s[2:3], v14, 3, s[12:13]
	s_waitcnt vmcnt(0)
	global_store_dwordx3 v[2:3], v[16:18], off offset:-8
	v_add_co_u32_e32 v2, vcc, s6, v2
	v_mov_b32_e32 v22, v21
	v_addc_co_u32_e32 v3, vcc, 0, v3, vcc
	v_mad_u64_u32 v[22:23], s[2:3], v15, 3, v[22:23]
	v_add_co_u32_e32 v4, vcc, s8, v4
	v_mov_b32_e32 v19, v22
	v_add_co_u32_e64 v16, s[2:3], 1, v20
	v_addc_co_u32_e32 v5, vcc, 0, v5, vcc
	v_addc_co_u32_e64 v17, s[2:3], 0, v19, s[2:3]
	v_add_co_u32_e32 v8, vcc, 0x900, v8
	v_mov_b32_e32 v14, v20
	v_mov_b32_e32 v15, v22
	v_add_co_u32_e64 v18, s[2:3], 2, v20
	v_addc_co_u32_e32 v7, vcc, 0, v7, vcc
	v_addc_co_u32_e64 v19, s[2:3], 0, v19, s[2:3]
	global_store_dwordx4 v[10:11], v[14:17], off offset:-8
	global_store_dwordx2 v[10:11], v[18:19], off offset:8
	v_add_co_u32_e32 v10, vcc, 0x600, v10
	v_addc_co_u32_e32 v11, vcc, 0, v11, vcc
	s_andn2_b64 exec, exec, s[4:5]
	s_cbranch_execnz .LBB145_5
.LBB145_6:
	s_endpgm
	.section	.rodata,"a",@progbits
	.p2align	6, 0x0
	.amdhsa_kernel _ZN9rocsparseL32bsr2csr_block_per_row_2_7_kernelILj256ELj3EfllEEv20rocsparse_direction_T3_S2_21rocsparse_index_base_PKT1_PKT2_PKS2_S2_S3_PS4_PS7_PS2_
		.amdhsa_group_segment_fixed_size 0
		.amdhsa_private_segment_fixed_size 0
		.amdhsa_kernarg_size 96
		.amdhsa_user_sgpr_count 6
		.amdhsa_user_sgpr_private_segment_buffer 1
		.amdhsa_user_sgpr_dispatch_ptr 0
		.amdhsa_user_sgpr_queue_ptr 0
		.amdhsa_user_sgpr_kernarg_segment_ptr 1
		.amdhsa_user_sgpr_dispatch_id 0
		.amdhsa_user_sgpr_flat_scratch_init 0
		.amdhsa_user_sgpr_kernarg_preload_length 0
		.amdhsa_user_sgpr_kernarg_preload_offset 0
		.amdhsa_user_sgpr_private_segment_size 0
		.amdhsa_uses_dynamic_stack 0
		.amdhsa_system_sgpr_private_segment_wavefront_offset 0
		.amdhsa_system_sgpr_workgroup_id_x 1
		.amdhsa_system_sgpr_workgroup_id_y 0
		.amdhsa_system_sgpr_workgroup_id_z 0
		.amdhsa_system_sgpr_workgroup_info 0
		.amdhsa_system_vgpr_workitem_id 0
		.amdhsa_next_free_vgpr 25
		.amdhsa_next_free_sgpr 22
		.amdhsa_accum_offset 28
		.amdhsa_reserve_vcc 1
		.amdhsa_reserve_flat_scratch 0
		.amdhsa_float_round_mode_32 0
		.amdhsa_float_round_mode_16_64 0
		.amdhsa_float_denorm_mode_32 3
		.amdhsa_float_denorm_mode_16_64 3
		.amdhsa_dx10_clamp 1
		.amdhsa_ieee_mode 1
		.amdhsa_fp16_overflow 0
		.amdhsa_tg_split 0
		.amdhsa_exception_fp_ieee_invalid_op 0
		.amdhsa_exception_fp_denorm_src 0
		.amdhsa_exception_fp_ieee_div_zero 0
		.amdhsa_exception_fp_ieee_overflow 0
		.amdhsa_exception_fp_ieee_underflow 0
		.amdhsa_exception_fp_ieee_inexact 0
		.amdhsa_exception_int_div_zero 0
	.end_amdhsa_kernel
	.section	.text._ZN9rocsparseL32bsr2csr_block_per_row_2_7_kernelILj256ELj3EfllEEv20rocsparse_direction_T3_S2_21rocsparse_index_base_PKT1_PKT2_PKS2_S2_S3_PS4_PS7_PS2_,"axG",@progbits,_ZN9rocsparseL32bsr2csr_block_per_row_2_7_kernelILj256ELj3EfllEEv20rocsparse_direction_T3_S2_21rocsparse_index_base_PKT1_PKT2_PKS2_S2_S3_PS4_PS7_PS2_,comdat
.Lfunc_end145:
	.size	_ZN9rocsparseL32bsr2csr_block_per_row_2_7_kernelILj256ELj3EfllEEv20rocsparse_direction_T3_S2_21rocsparse_index_base_PKT1_PKT2_PKS2_S2_S3_PS4_PS7_PS2_, .Lfunc_end145-_ZN9rocsparseL32bsr2csr_block_per_row_2_7_kernelILj256ELj3EfllEEv20rocsparse_direction_T3_S2_21rocsparse_index_base_PKT1_PKT2_PKS2_S2_S3_PS4_PS7_PS2_
                                        ; -- End function
	.section	.AMDGPU.csdata,"",@progbits
; Kernel info:
; codeLenInByte = 824
; NumSgprs: 26
; NumVgprs: 25
; NumAgprs: 0
; TotalNumVgprs: 25
; ScratchSize: 0
; MemoryBound: 0
; FloatMode: 240
; IeeeMode: 1
; LDSByteSize: 0 bytes/workgroup (compile time only)
; SGPRBlocks: 3
; VGPRBlocks: 3
; NumSGPRsForWavesPerEU: 26
; NumVGPRsForWavesPerEU: 25
; AccumOffset: 28
; Occupancy: 8
; WaveLimiterHint : 0
; COMPUTE_PGM_RSRC2:SCRATCH_EN: 0
; COMPUTE_PGM_RSRC2:USER_SGPR: 6
; COMPUTE_PGM_RSRC2:TRAP_HANDLER: 0
; COMPUTE_PGM_RSRC2:TGID_X_EN: 1
; COMPUTE_PGM_RSRC2:TGID_Y_EN: 0
; COMPUTE_PGM_RSRC2:TGID_Z_EN: 0
; COMPUTE_PGM_RSRC2:TIDIG_COMP_CNT: 0
; COMPUTE_PGM_RSRC3_GFX90A:ACCUM_OFFSET: 6
; COMPUTE_PGM_RSRC3_GFX90A:TG_SPLIT: 0
	.section	.text._ZN9rocsparseL32bsr2csr_block_per_row_2_7_kernelILj256ELj4EfllEEv20rocsparse_direction_T3_S2_21rocsparse_index_base_PKT1_PKT2_PKS2_S2_S3_PS4_PS7_PS2_,"axG",@progbits,_ZN9rocsparseL32bsr2csr_block_per_row_2_7_kernelILj256ELj4EfllEEv20rocsparse_direction_T3_S2_21rocsparse_index_base_PKT1_PKT2_PKS2_S2_S3_PS4_PS7_PS2_,comdat
	.globl	_ZN9rocsparseL32bsr2csr_block_per_row_2_7_kernelILj256ELj4EfllEEv20rocsparse_direction_T3_S2_21rocsparse_index_base_PKT1_PKT2_PKS2_S2_S3_PS4_PS7_PS2_ ; -- Begin function _ZN9rocsparseL32bsr2csr_block_per_row_2_7_kernelILj256ELj4EfllEEv20rocsparse_direction_T3_S2_21rocsparse_index_base_PKT1_PKT2_PKS2_S2_S3_PS4_PS7_PS2_
	.p2align	8
	.type	_ZN9rocsparseL32bsr2csr_block_per_row_2_7_kernelILj256ELj4EfllEEv20rocsparse_direction_T3_S2_21rocsparse_index_base_PKT1_PKT2_PKS2_S2_S3_PS4_PS7_PS2_,@function
_ZN9rocsparseL32bsr2csr_block_per_row_2_7_kernelILj256ELj4EfllEEv20rocsparse_direction_T3_S2_21rocsparse_index_base_PKT1_PKT2_PKS2_S2_S3_PS4_PS7_PS2_: ; @_ZN9rocsparseL32bsr2csr_block_per_row_2_7_kernelILj256ELj4EfllEEv20rocsparse_direction_T3_S2_21rocsparse_index_base_PKT1_PKT2_PKS2_S2_S3_PS4_PS7_PS2_
; %bb.0:
	s_load_dwordx2 s[2:3], s[4:5], 0x28
	s_load_dword s12, s[4:5], 0x40
	s_load_dwordx2 s[0:1], s[4:5], 0x50
	s_mov_b32 s15, 0
	s_mov_b32 s7, s15
	s_lshl_b64 s[8:9], s[6:7], 3
	s_waitcnt lgkmcnt(0)
	s_add_u32 s2, s2, s8
	s_addc_u32 s3, s3, s9
	s_load_dwordx4 s[8:11], s[2:3], 0x0
	v_or_b32_e32 v1, s6, v0
	s_mov_b32 s13, s15
	v_cmp_eq_u32_e32 vcc, 0, v1
	s_and_saveexec_b64 s[2:3], vcc
	s_cbranch_execz .LBB146_2
; %bb.1:
	v_mov_b32_e32 v1, 0
	v_pk_mov_b32 v[2:3], s[12:13], s[12:13] op_sel:[0,1]
	global_store_dwordx2 v1, v[2:3], s[0:1]
.LBB146_2:
	s_or_b64 exec, exec, s[2:3]
	s_load_dword s14, s[4:5], 0x18
	v_and_b32_e32 v20, 3, v0
	v_mov_b32_e32 v6, s1
	v_lshrrev_b32_e32 v0, 2, v0
	s_waitcnt lgkmcnt(0)
	s_sub_u32 s16, s8, s14
	s_subb_u32 s17, s9, 0
	s_sub_u32 s10, s10, s14
	s_subb_u32 s11, s11, 0
	s_lshl_b64 s[18:19], s[16:17], 4
	s_sub_u32 s20, s10, s16
	s_subb_u32 s21, s11, s17
	s_lshl_b64 s[2:3], s[20:21], 2
	v_mov_b32_e32 v1, s20
	s_add_u32 s20, s2, s12
	s_addc_u32 s3, s3, 0
	s_add_u32 s18, s20, s18
	s_addc_u32 s19, s3, s19
	s_lshl_b64 s[6:7], s[6:7], 5
	v_alignbit_b32 v1, s21, v1, 30
	v_pk_mov_b32 v[2:3], s[18:19], s[18:19] op_sel:[0,1]
	v_lshl_or_b32 v4, v20, 3, s6
	v_mul_lo_u32 v1, v1, v20
	v_mad_u64_u32 v[2:3], s[18:19], s2, v20, v[2:3]
	v_mov_b32_e32 v5, s7
	v_add_co_u32_e32 v4, vcc, s0, v4
	v_add_u32_e32 v3, v1, v3
	v_addc_co_u32_e32 v5, vcc, v6, v5, vcc
	global_store_dwordx2 v[4:5], v[2:3], off offset:8
	v_mov_b32_e32 v2, s17
	v_add_co_u32_e32 v4, vcc, s16, v0
	v_addc_co_u32_e32 v5, vcc, 0, v2, vcc
	v_cmp_gt_i64_e32 vcc, s[10:11], v[4:5]
	s_and_saveexec_b64 s[0:1], vcc
	s_cbranch_execz .LBB146_15
; %bb.3:
	s_load_dwordx2 s[24:25], s[4:5], 0x30
	s_load_dwordx2 s[26:27], s[4:5], 0x48
	;; [unrolled: 1-line block ×3, first 2 shown]
	s_load_dword s3, s[4:5], 0x0
	s_load_dwordx2 s[28:29], s[4:5], 0x58
	v_mad_u64_u32 v[2:3], s[0:1], s2, v20, 0
	v_lshlrev_b64 v[6:7], 3, v[4:5]
	s_waitcnt lgkmcnt(0)
	s_cmp_eq_u32 s3, 0
	s_cselect_b64 s[0:1], -1, 0
	s_cmp_lg_u32 s3, 0
	s_cselect_b64 s[16:17], -1, 0
	s_add_u32 s18, s6, 16
	s_addc_u32 s19, s7, 0
	s_add_u32 s20, s6, 32
	s_addc_u32 s21, s7, 0
	v_add_u32_e32 v1, v3, v1
	s_add_u32 s22, s6, 48
	v_mov_b32_e32 v3, s25
	v_add_co_u32_e32 v6, vcc, s24, v6
	s_addc_u32 s23, s7, 0
	v_addc_co_u32_e32 v7, vcc, v3, v7, vcc
	s_lshl_b64 s[2:3], s[8:9], 4
	v_mov_b32_e32 v3, s3
	v_add_co_u32_e32 v2, vcc, s2, v2
	v_addc_co_u32_e32 v1, vcc, v1, v3, vcc
	v_lshlrev_b32_e32 v0, 2, v0
	v_add_co_u32_e32 v0, vcc, v2, v0
	v_addc_co_u32_e32 v1, vcc, 0, v1, vcc
	s_lshl_b64 s[2:3], s[14:15], 4
	v_mov_b32_e32 v2, s3
	v_subrev_co_u32_e32 v0, vcc, s2, v0
	v_subb_co_u32_e32 v1, vcc, v1, v2, vcc
	v_lshlrev_b64 v[2:3], 2, v[0:1]
	v_mov_b32_e32 v12, s27
	v_add_co_u32_e32 v2, vcc, s26, v2
	v_addc_co_u32_e32 v3, vcc, v3, v12, vcc
	v_add_co_u32_e32 v12, vcc, 8, v2
	v_addc_co_u32_e32 v13, vcc, 0, v3, vcc
	v_lshlrev_b64 v[2:3], 6, v[4:5]
	v_lshl_or_b32 v2, v20, 4, v2
	v_mov_b32_e32 v21, s7
	v_add_co_u32_e32 v2, vcc, s6, v2
	v_addc_co_u32_e32 v3, vcc, v3, v21, vcc
	v_add_co_u32_e32 v14, vcc, 12, v2
	v_addc_co_u32_e32 v15, vcc, 0, v3, vcc
	v_lshlrev_b64 v[0:1], 3, v[0:1]
	v_mov_b32_e32 v2, s29
	v_add_co_u32_e32 v0, vcc, s28, v0
	v_addc_co_u32_e32 v1, vcc, v1, v2, vcc
	v_lshlrev_b64 v[8:9], 4, v[4:5]
	v_add_co_u32_e32 v16, vcc, 16, v0
	v_or_b32_e32 v10, v8, v20
	v_mov_b32_e32 v11, v9
	v_lshl_or_b32 v8, v20, 2, v8
	v_addc_co_u32_e32 v17, vcc, 0, v1, vcc
	s_mov_b64 s[8:9], 0
	v_mov_b32_e32 v22, s15
	v_mov_b32_e32 v23, s13
	v_cndmask_b32_e64 v24, 0, 1, s[16:17]
	s_branch .LBB146_5
.LBB146_4:                              ;   in Loop: Header=BB146_5 Depth=1
	global_load_dword v0, v[0:1], off
	v_add_co_u32_e32 v4, vcc, 64, v4
	v_addc_co_u32_e32 v5, vcc, 0, v5, vcc
	v_add_co_u32_e32 v6, vcc, 0x200, v6
	v_addc_co_u32_e32 v7, vcc, 0, v7, vcc
	;; [unrolled: 2-line block ×4, first 2 shown]
	v_cmp_le_i64_e64 s[2:3], s[10:11], v[4:5]
	s_or_b64 s[8:9], s[2:3], s[8:9]
	s_waitcnt vmcnt(0)
	global_store_dword v[12:13], v0, off offset:4
	v_add_co_u32_e32 v12, vcc, 0x400, v12
	v_addc_co_u32_e32 v13, vcc, 0, v13, vcc
	v_add_co_u32_e32 v14, vcc, 0x1000, v14
	v_addc_co_u32_e32 v15, vcc, 0, v15, vcc
	v_add_co_u32_e32 v16, vcc, 0x800, v16
	v_addc_co_u32_e32 v17, vcc, 0, v17, vcc
	s_andn2_b64 exec, exec, s[8:9]
	s_cbranch_execz .LBB146_15
.LBB146_5:                              ; =>This Inner Loop Header: Depth=1
	global_load_dwordx2 v[0:1], v[6:7], off
	v_cndmask_b32_e64 v3, v11, v9, s[0:1]
	v_cndmask_b32_e64 v2, v10, v8, s[0:1]
	v_lshlrev_b64 v[2:3], 2, v[2:3]
	v_add_co_u32_e32 v2, vcc, s6, v2
	v_addc_co_u32_e32 v3, vcc, v21, v3, vcc
	global_load_dword v2, v[2:3], off
	v_lshlrev_b64 v[18:19], 4, v[4:5]
	v_or_b32_e32 v18, v18, v20
	v_cmp_ne_u32_e64 s[2:3], 1, v24
	s_andn2_b64 vcc, exec, s[16:17]
	s_waitcnt vmcnt(1)
	v_subrev_co_u32_e64 v0, s[4:5], s14, v0
	v_subb_co_u32_e64 v1, s[4:5], v1, v22, s[4:5]
	v_lshlrev_b64 v[0:1], 2, v[0:1]
	v_add_co_u32_e64 v0, s[4:5], s12, v0
	v_addc_co_u32_e64 v1, s[4:5], v1, v23, s[4:5]
	s_waitcnt vmcnt(0)
	global_store_dword v[12:13], v2, off offset:-8
	v_add_co_u32_e64 v2, s[4:5], 1, v0
	v_addc_co_u32_e64 v3, s[4:5], 0, v1, s[4:5]
	global_store_dwordx4 v[16:17], v[0:3], off offset:-16
	s_nop 0
	v_lshlrev_b64 v[2:3], 2, v[18:19]
	s_cbranch_vccnz .LBB146_7
; %bb.6:                                ;   in Loop: Header=BB146_5 Depth=1
	v_mov_b32_e32 v19, s19
	v_add_co_u32_e32 v18, vcc, s18, v2
	v_addc_co_u32_e32 v19, vcc, v19, v3, vcc
	s_cbranch_execz .LBB146_8
	s_branch .LBB146_9
.LBB146_7:                              ;   in Loop: Header=BB146_5 Depth=1
                                        ; implicit-def: $vgpr18_vgpr19
.LBB146_8:                              ;   in Loop: Header=BB146_5 Depth=1
	v_add_co_u32_e32 v18, vcc, -8, v14
	v_addc_co_u32_e32 v19, vcc, -1, v15, vcc
.LBB146_9:                              ;   in Loop: Header=BB146_5 Depth=1
	global_load_dword v25, v[18:19], off
	v_add_co_u32_e32 v18, vcc, 2, v0
	v_addc_co_u32_e32 v19, vcc, 0, v1, vcc
	s_and_b64 vcc, exec, s[2:3]
	s_waitcnt vmcnt(0)
	global_store_dword v[12:13], v25, off offset:-4
	global_store_dwordx2 v[16:17], v[18:19], off
	s_cbranch_vccnz .LBB146_11
; %bb.10:                               ;   in Loop: Header=BB146_5 Depth=1
	v_mov_b32_e32 v19, s21
	v_add_co_u32_e32 v18, vcc, s20, v2
	v_addc_co_u32_e32 v19, vcc, v19, v3, vcc
	s_cbranch_execz .LBB146_12
	s_branch .LBB146_13
.LBB146_11:                             ;   in Loop: Header=BB146_5 Depth=1
                                        ; implicit-def: $vgpr18_vgpr19
.LBB146_12:                             ;   in Loop: Header=BB146_5 Depth=1
	v_add_co_u32_e32 v18, vcc, -4, v14
	v_addc_co_u32_e32 v19, vcc, -1, v15, vcc
.LBB146_13:                             ;   in Loop: Header=BB146_5 Depth=1
	global_load_dword v18, v[18:19], off
	v_add_co_u32_e32 v0, vcc, 3, v0
	v_addc_co_u32_e32 v1, vcc, 0, v1, vcc
	s_and_b64 vcc, exec, s[2:3]
	global_store_dwordx2 v[16:17], v[0:1], off offset:8
	s_waitcnt vmcnt(1)
	global_store_dword v[12:13], v18, off
	v_pk_mov_b32 v[0:1], v[14:15], v[14:15] op_sel:[0,1]
	s_cbranch_vccnz .LBB146_4
; %bb.14:                               ;   in Loop: Header=BB146_5 Depth=1
	v_mov_b32_e32 v1, s23
	v_add_co_u32_e32 v0, vcc, s22, v2
	v_addc_co_u32_e32 v1, vcc, v1, v3, vcc
	s_branch .LBB146_4
.LBB146_15:
	s_endpgm
	.section	.rodata,"a",@progbits
	.p2align	6, 0x0
	.amdhsa_kernel _ZN9rocsparseL32bsr2csr_block_per_row_2_7_kernelILj256ELj4EfllEEv20rocsparse_direction_T3_S2_21rocsparse_index_base_PKT1_PKT2_PKS2_S2_S3_PS4_PS7_PS2_
		.amdhsa_group_segment_fixed_size 0
		.amdhsa_private_segment_fixed_size 0
		.amdhsa_kernarg_size 96
		.amdhsa_user_sgpr_count 6
		.amdhsa_user_sgpr_private_segment_buffer 1
		.amdhsa_user_sgpr_dispatch_ptr 0
		.amdhsa_user_sgpr_queue_ptr 0
		.amdhsa_user_sgpr_kernarg_segment_ptr 1
		.amdhsa_user_sgpr_dispatch_id 0
		.amdhsa_user_sgpr_flat_scratch_init 0
		.amdhsa_user_sgpr_kernarg_preload_length 0
		.amdhsa_user_sgpr_kernarg_preload_offset 0
		.amdhsa_user_sgpr_private_segment_size 0
		.amdhsa_uses_dynamic_stack 0
		.amdhsa_system_sgpr_private_segment_wavefront_offset 0
		.amdhsa_system_sgpr_workgroup_id_x 1
		.amdhsa_system_sgpr_workgroup_id_y 0
		.amdhsa_system_sgpr_workgroup_id_z 0
		.amdhsa_system_sgpr_workgroup_info 0
		.amdhsa_system_vgpr_workitem_id 0
		.amdhsa_next_free_vgpr 26
		.amdhsa_next_free_sgpr 30
		.amdhsa_accum_offset 28
		.amdhsa_reserve_vcc 1
		.amdhsa_reserve_flat_scratch 0
		.amdhsa_float_round_mode_32 0
		.amdhsa_float_round_mode_16_64 0
		.amdhsa_float_denorm_mode_32 3
		.amdhsa_float_denorm_mode_16_64 3
		.amdhsa_dx10_clamp 1
		.amdhsa_ieee_mode 1
		.amdhsa_fp16_overflow 0
		.amdhsa_tg_split 0
		.amdhsa_exception_fp_ieee_invalid_op 0
		.amdhsa_exception_fp_denorm_src 0
		.amdhsa_exception_fp_ieee_div_zero 0
		.amdhsa_exception_fp_ieee_overflow 0
		.amdhsa_exception_fp_ieee_underflow 0
		.amdhsa_exception_fp_ieee_inexact 0
		.amdhsa_exception_int_div_zero 0
	.end_amdhsa_kernel
	.section	.text._ZN9rocsparseL32bsr2csr_block_per_row_2_7_kernelILj256ELj4EfllEEv20rocsparse_direction_T3_S2_21rocsparse_index_base_PKT1_PKT2_PKS2_S2_S3_PS4_PS7_PS2_,"axG",@progbits,_ZN9rocsparseL32bsr2csr_block_per_row_2_7_kernelILj256ELj4EfllEEv20rocsparse_direction_T3_S2_21rocsparse_index_base_PKT1_PKT2_PKS2_S2_S3_PS4_PS7_PS2_,comdat
.Lfunc_end146:
	.size	_ZN9rocsparseL32bsr2csr_block_per_row_2_7_kernelILj256ELj4EfllEEv20rocsparse_direction_T3_S2_21rocsparse_index_base_PKT1_PKT2_PKS2_S2_S3_PS4_PS7_PS2_, .Lfunc_end146-_ZN9rocsparseL32bsr2csr_block_per_row_2_7_kernelILj256ELj4EfllEEv20rocsparse_direction_T3_S2_21rocsparse_index_base_PKT1_PKT2_PKS2_S2_S3_PS4_PS7_PS2_
                                        ; -- End function
	.section	.AMDGPU.csdata,"",@progbits
; Kernel info:
; codeLenInByte = 1028
; NumSgprs: 34
; NumVgprs: 26
; NumAgprs: 0
; TotalNumVgprs: 26
; ScratchSize: 0
; MemoryBound: 0
; FloatMode: 240
; IeeeMode: 1
; LDSByteSize: 0 bytes/workgroup (compile time only)
; SGPRBlocks: 4
; VGPRBlocks: 3
; NumSGPRsForWavesPerEU: 34
; NumVGPRsForWavesPerEU: 26
; AccumOffset: 28
; Occupancy: 8
; WaveLimiterHint : 0
; COMPUTE_PGM_RSRC2:SCRATCH_EN: 0
; COMPUTE_PGM_RSRC2:USER_SGPR: 6
; COMPUTE_PGM_RSRC2:TRAP_HANDLER: 0
; COMPUTE_PGM_RSRC2:TGID_X_EN: 1
; COMPUTE_PGM_RSRC2:TGID_Y_EN: 0
; COMPUTE_PGM_RSRC2:TGID_Z_EN: 0
; COMPUTE_PGM_RSRC2:TIDIG_COMP_CNT: 0
; COMPUTE_PGM_RSRC3_GFX90A:ACCUM_OFFSET: 6
; COMPUTE_PGM_RSRC3_GFX90A:TG_SPLIT: 0
	.section	.text._ZN9rocsparseL32bsr2csr_block_per_row_2_7_kernelILj256ELj5EfllEEv20rocsparse_direction_T3_S2_21rocsparse_index_base_PKT1_PKT2_PKS2_S2_S3_PS4_PS7_PS2_,"axG",@progbits,_ZN9rocsparseL32bsr2csr_block_per_row_2_7_kernelILj256ELj5EfllEEv20rocsparse_direction_T3_S2_21rocsparse_index_base_PKT1_PKT2_PKS2_S2_S3_PS4_PS7_PS2_,comdat
	.globl	_ZN9rocsparseL32bsr2csr_block_per_row_2_7_kernelILj256ELj5EfllEEv20rocsparse_direction_T3_S2_21rocsparse_index_base_PKT1_PKT2_PKS2_S2_S3_PS4_PS7_PS2_ ; -- Begin function _ZN9rocsparseL32bsr2csr_block_per_row_2_7_kernelILj256ELj5EfllEEv20rocsparse_direction_T3_S2_21rocsparse_index_base_PKT1_PKT2_PKS2_S2_S3_PS4_PS7_PS2_
	.p2align	8
	.type	_ZN9rocsparseL32bsr2csr_block_per_row_2_7_kernelILj256ELj5EfllEEv20rocsparse_direction_T3_S2_21rocsparse_index_base_PKT1_PKT2_PKS2_S2_S3_PS4_PS7_PS2_,@function
_ZN9rocsparseL32bsr2csr_block_per_row_2_7_kernelILj256ELj5EfllEEv20rocsparse_direction_T3_S2_21rocsparse_index_base_PKT1_PKT2_PKS2_S2_S3_PS4_PS7_PS2_: ; @_ZN9rocsparseL32bsr2csr_block_per_row_2_7_kernelILj256ELj5EfllEEv20rocsparse_direction_T3_S2_21rocsparse_index_base_PKT1_PKT2_PKS2_S2_S3_PS4_PS7_PS2_
; %bb.0:
	s_load_dwordx2 s[2:3], s[4:5], 0x28
	s_load_dword s12, s[4:5], 0x40
	s_load_dwordx2 s[0:1], s[4:5], 0x50
	s_mov_b32 s7, 0
	s_lshl_b64 s[8:9], s[6:7], 3
	s_waitcnt lgkmcnt(0)
	s_add_u32 s2, s2, s8
	v_or_b32_e32 v1, s6, v0
	s_addc_u32 s3, s3, s9
	v_cmp_eq_u32_e32 vcc, 0, v1
	s_and_saveexec_b64 s[8:9], vcc
	s_cbranch_execz .LBB147_2
; %bb.1:
	v_mov_b32_e32 v2, s12
	v_mov_b32_e32 v3, 0
	global_store_dwordx2 v3, v[2:3], s[0:1]
.LBB147_2:
	s_or_b64 exec, exec, s[8:9]
	v_and_b32_e32 v12, 7, v0
	v_cmp_gt_u32_e32 vcc, 5, v12
	s_and_saveexec_b64 s[8:9], vcc
	s_cbranch_execz .LBB147_6
; %bb.3:
	s_load_dwordx4 s[8:11], s[2:3], 0x0
	s_load_dword s7, s[4:5], 0x18
	v_lshrrev_b32_e32 v2, 3, v0
	v_lshlrev_b32_e32 v4, 3, v12
	s_mov_b32 s2, 0
	s_waitcnt lgkmcnt(0)
	s_sub_u32 s16, s8, s7
	s_subb_u32 s17, s9, 0
	s_sub_u32 s10, s10, s7
	s_mul_i32 s3, s17, 25
	s_mul_hi_u32 s13, s16, 25
	s_subb_u32 s11, s11, 0
	s_add_i32 s15, s13, s3
	s_sub_u32 s3, s10, s16
	s_subb_u32 s13, s11, s17
	s_mul_i32 s13, s13, 5
	s_mul_hi_u32 s18, s3, 5
	s_add_i32 s18, s18, s13
	s_mul_i32 s3, s3, 5
	s_add_u32 s19, s3, s12
	s_mul_i32 s14, s16, 25
	v_mul_lo_u32 v3, s18, v12
	s_addc_u32 s18, s18, 0
	s_add_u32 s14, s19, s14
	s_addc_u32 s15, s18, s15
	v_pk_mov_b32 v[0:1], s[14:15], s[14:15] op_sel:[0,1]
	v_mad_u64_u32 v[0:1], s[14:15], s3, v12, v[0:1]
	s_mul_hi_u32 s14, s6, 40
	s_mul_i32 s6, s6, 40
	s_add_u32 s0, s0, s6
	v_add_u32_e32 v1, v3, v1
	s_addc_u32 s1, s1, s14
	global_store_dwordx2 v4, v[0:1], s[0:1] offset:8
	v_mov_b32_e32 v1, s17
	v_add_co_u32_e32 v0, vcc, s16, v2
	v_addc_co_u32_e32 v1, vcc, 0, v1, vcc
	v_cmp_gt_i64_e32 vcc, s[10:11], v[0:1]
	s_and_b64 exec, exec, vcc
	s_cbranch_execz .LBB147_6
; %bb.4:
	v_mad_u64_u32 v[4:5], s[0:1], s3, v12, 0
	v_add_u32_e32 v5, v5, v3
	s_load_dwordx2 s[14:15], s[4:5], 0x30
	s_load_dwordx2 s[16:17], s[4:5], 0x48
	;; [unrolled: 1-line block ×3, first 2 shown]
	s_load_dword s6, s[4:5], 0x0
	s_load_dwordx2 s[20:21], s[4:5], 0x58
	v_mad_u64_u32 v[4:5], s[4:5], s8, 25, v[4:5]
	v_mov_b32_e32 v6, v5
	v_mad_u64_u32 v[6:7], s[4:5], s9, 25, v[6:7]
	v_mov_b32_e32 v5, v6
	v_mad_u64_u32 v[2:3], s[4:5], v2, 5, v[4:5]
	s_mul_hi_u32 s3, s7, 25
	s_mul_i32 s4, s7, 25
	v_mov_b32_e32 v4, s3
	v_subrev_co_u32_e32 v10, vcc, s4, v2
	v_subb_co_u32_e32 v11, vcc, v3, v4, vcc
	v_lshlrev_b64 v[2:3], 2, v[10:11]
	s_waitcnt lgkmcnt(0)
	v_mov_b32_e32 v4, s17
	v_add_co_u32_e32 v2, vcc, s16, v2
	v_addc_co_u32_e32 v3, vcc, v3, v4, vcc
	v_add_co_u32_e32 v2, vcc, 16, v2
	v_addc_co_u32_e32 v3, vcc, 0, v3, vcc
	v_lshlrev_b64 v[4:5], 3, v[0:1]
	v_mov_b32_e32 v6, s15
	v_add_co_u32_e32 v4, vcc, s14, v4
	s_movk_i32 s3, 0x64
	v_pk_mov_b32 v[8:9], s[18:19], s[18:19] op_sel:[0,1]
	v_addc_co_u32_e32 v5, vcc, v6, v5, vcc
	v_mad_u64_u32 v[8:9], s[4:5], v0, s3, v[8:9]
	v_lshlrev_b64 v[10:11], 3, v[10:11]
	v_mov_b32_e32 v14, v9
	v_mov_b32_e32 v9, s21
	v_add_co_u32_e32 v10, vcc, s20, v10
	v_addc_co_u32_e32 v9, vcc, v11, v9, vcc
	s_cmp_eq_u32 s6, 0
	v_mad_u64_u32 v[14:15], s[4:5], v1, s3, v[14:15]
	v_add_co_u32_e32 v10, vcc, 16, v10
	s_mov_b32 s13, s2
	s_cselect_b64 s[0:1], -1, 0
	v_lshlrev_b32_e32 v6, 2, v12
	v_mov_b32_e32 v7, v14
	v_addc_co_u32_e32 v11, vcc, 0, v9, vcc
	v_mul_hi_u32_u24_e32 v9, 20, v12
	v_mul_u32_u24_e32 v12, 20, v12
	s_mov_b64 s[4:5], 0
	v_mov_b32_e32 v13, s2
	s_movk_i32 s6, 0x50
	s_movk_i32 s8, 0x280
	;; [unrolled: 1-line block ×3, first 2 shown]
.LBB147_5:                              ; =>This Inner Loop Header: Depth=1
	v_add_co_u32_e32 v22, vcc, v8, v6
	v_addc_co_u32_e32 v23, vcc, 0, v7, vcc
	v_add_co_u32_e32 v24, vcc, v8, v12
	v_addc_co_u32_e32 v25, vcc, v7, v9, vcc
	v_cndmask_b32_e64 v15, v23, v25, s[0:1]
	v_cndmask_b32_e64 v14, v22, v24, s[0:1]
	global_load_dword v14, v[14:15], off
	v_add_co_u32_e32 v15, vcc, 4, v24
	v_addc_co_u32_e32 v16, vcc, 0, v25, vcc
	v_add_co_u32_e32 v20, vcc, 20, v22
	v_addc_co_u32_e32 v17, vcc, 0, v23, vcc
	v_cndmask_b32_e64 v17, v17, v16, s[0:1]
	v_cndmask_b32_e64 v16, v20, v15, s[0:1]
	global_load_dword v15, v[16:17], off
	v_add_co_u32_e32 v16, vcc, 8, v24
	v_addc_co_u32_e32 v17, vcc, 0, v25, vcc
	v_add_co_u32_e32 v20, vcc, 40, v22
	v_addc_co_u32_e32 v21, vcc, 0, v23, vcc
	global_load_dwordx2 v[18:19], v[4:5], off
	v_cndmask_b32_e64 v17, v21, v17, s[0:1]
	v_cndmask_b32_e64 v16, v20, v16, s[0:1]
	global_load_dword v16, v[16:17], off
	v_add_co_u32_e32 v17, vcc, 12, v24
	v_addc_co_u32_e32 v20, vcc, 0, v25, vcc
	v_add_co_u32_e32 v26, vcc, 60, v22
	v_addc_co_u32_e32 v21, vcc, 0, v23, vcc
	v_cndmask_b32_e64 v21, v21, v20, s[0:1]
	v_cndmask_b32_e64 v20, v26, v17, s[0:1]
	global_load_dword v17, v[20:21], off
	v_add_co_u32_e32 v20, vcc, 16, v24
	v_addc_co_u32_e32 v21, vcc, 0, v25, vcc
	v_add_co_u32_e32 v22, vcc, s6, v22
	v_addc_co_u32_e32 v23, vcc, 0, v23, vcc
	v_cndmask_b32_e64 v21, v23, v21, s[0:1]
	v_cndmask_b32_e64 v20, v22, v20, s[0:1]
	global_load_dword v24, v[20:21], off
	s_waitcnt vmcnt(3)
	v_subrev_co_u32_e32 v18, vcc, s7, v18
	v_mad_u64_u32 v[22:23], s[2:3], v18, 5, s[12:13]
	v_subb_co_u32_e32 v19, vcc, v19, v13, vcc
	v_mov_b32_e32 v20, v23
	v_mad_u64_u32 v[20:21], s[2:3], v19, 5, v[20:21]
	v_mov_b32_e32 v23, v20
	v_mov_b32_e32 v19, v20
	v_add_co_u32_e32 v20, vcc, 1, v22
	v_addc_co_u32_e32 v21, vcc, 0, v23, vcc
	s_waitcnt vmcnt(1)
	global_store_dwordx4 v[2:3], v[14:17], off offset:-16
	v_mov_b32_e32 v18, v22
	v_add_co_u32_e32 v14, vcc, 2, v22
	v_addc_co_u32_e32 v15, vcc, 0, v23, vcc
	v_add_co_u32_e32 v16, vcc, 3, v22
	v_addc_co_u32_e32 v17, vcc, 0, v23, vcc
	;; [unrolled: 2-line block ×4, first 2 shown]
	global_store_dwordx4 v[10:11], v[18:21], off offset:-16
	global_store_dwordx4 v[10:11], v[14:17], off
	global_store_dwordx2 v[10:11], v[22:23], off offset:16
	s_waitcnt vmcnt(4)
	global_store_dword v[2:3], v24, off
	v_add_co_u32_e32 v2, vcc, s8, v2
	v_addc_co_u32_e32 v3, vcc, 0, v3, vcc
	v_add_co_u32_e32 v4, vcc, s9, v4
	v_addc_co_u32_e32 v5, vcc, 0, v5, vcc
	v_add_co_u32_e32 v8, vcc, 0xc80, v8
	v_addc_co_u32_e32 v7, vcc, 0, v7, vcc
	v_add_co_u32_e32 v10, vcc, 0x500, v10
	v_cmp_le_i64_e64 s[2:3], s[10:11], v[0:1]
	s_or_b64 s[4:5], s[2:3], s[4:5]
	v_addc_co_u32_e32 v11, vcc, 0, v11, vcc
	s_andn2_b64 exec, exec, s[4:5]
	s_cbranch_execnz .LBB147_5
.LBB147_6:
	s_endpgm
	.section	.rodata,"a",@progbits
	.p2align	6, 0x0
	.amdhsa_kernel _ZN9rocsparseL32bsr2csr_block_per_row_2_7_kernelILj256ELj5EfllEEv20rocsparse_direction_T3_S2_21rocsparse_index_base_PKT1_PKT2_PKS2_S2_S3_PS4_PS7_PS2_
		.amdhsa_group_segment_fixed_size 0
		.amdhsa_private_segment_fixed_size 0
		.amdhsa_kernarg_size 96
		.amdhsa_user_sgpr_count 6
		.amdhsa_user_sgpr_private_segment_buffer 1
		.amdhsa_user_sgpr_dispatch_ptr 0
		.amdhsa_user_sgpr_queue_ptr 0
		.amdhsa_user_sgpr_kernarg_segment_ptr 1
		.amdhsa_user_sgpr_dispatch_id 0
		.amdhsa_user_sgpr_flat_scratch_init 0
		.amdhsa_user_sgpr_kernarg_preload_length 0
		.amdhsa_user_sgpr_kernarg_preload_offset 0
		.amdhsa_user_sgpr_private_segment_size 0
		.amdhsa_uses_dynamic_stack 0
		.amdhsa_system_sgpr_private_segment_wavefront_offset 0
		.amdhsa_system_sgpr_workgroup_id_x 1
		.amdhsa_system_sgpr_workgroup_id_y 0
		.amdhsa_system_sgpr_workgroup_id_z 0
		.amdhsa_system_sgpr_workgroup_info 0
		.amdhsa_system_vgpr_workitem_id 0
		.amdhsa_next_free_vgpr 27
		.amdhsa_next_free_sgpr 22
		.amdhsa_accum_offset 28
		.amdhsa_reserve_vcc 1
		.amdhsa_reserve_flat_scratch 0
		.amdhsa_float_round_mode_32 0
		.amdhsa_float_round_mode_16_64 0
		.amdhsa_float_denorm_mode_32 3
		.amdhsa_float_denorm_mode_16_64 3
		.amdhsa_dx10_clamp 1
		.amdhsa_ieee_mode 1
		.amdhsa_fp16_overflow 0
		.amdhsa_tg_split 0
		.amdhsa_exception_fp_ieee_invalid_op 0
		.amdhsa_exception_fp_denorm_src 0
		.amdhsa_exception_fp_ieee_div_zero 0
		.amdhsa_exception_fp_ieee_overflow 0
		.amdhsa_exception_fp_ieee_underflow 0
		.amdhsa_exception_fp_ieee_inexact 0
		.amdhsa_exception_int_div_zero 0
	.end_amdhsa_kernel
	.section	.text._ZN9rocsparseL32bsr2csr_block_per_row_2_7_kernelILj256ELj5EfllEEv20rocsparse_direction_T3_S2_21rocsparse_index_base_PKT1_PKT2_PKS2_S2_S3_PS4_PS7_PS2_,"axG",@progbits,_ZN9rocsparseL32bsr2csr_block_per_row_2_7_kernelILj256ELj5EfllEEv20rocsparse_direction_T3_S2_21rocsparse_index_base_PKT1_PKT2_PKS2_S2_S3_PS4_PS7_PS2_,comdat
.Lfunc_end147:
	.size	_ZN9rocsparseL32bsr2csr_block_per_row_2_7_kernelILj256ELj5EfllEEv20rocsparse_direction_T3_S2_21rocsparse_index_base_PKT1_PKT2_PKS2_S2_S3_PS4_PS7_PS2_, .Lfunc_end147-_ZN9rocsparseL32bsr2csr_block_per_row_2_7_kernelILj256ELj5EfllEEv20rocsparse_direction_T3_S2_21rocsparse_index_base_PKT1_PKT2_PKS2_S2_S3_PS4_PS7_PS2_
                                        ; -- End function
	.section	.AMDGPU.csdata,"",@progbits
; Kernel info:
; codeLenInByte = 944
; NumSgprs: 26
; NumVgprs: 27
; NumAgprs: 0
; TotalNumVgprs: 27
; ScratchSize: 0
; MemoryBound: 0
; FloatMode: 240
; IeeeMode: 1
; LDSByteSize: 0 bytes/workgroup (compile time only)
; SGPRBlocks: 3
; VGPRBlocks: 3
; NumSGPRsForWavesPerEU: 26
; NumVGPRsForWavesPerEU: 27
; AccumOffset: 28
; Occupancy: 8
; WaveLimiterHint : 0
; COMPUTE_PGM_RSRC2:SCRATCH_EN: 0
; COMPUTE_PGM_RSRC2:USER_SGPR: 6
; COMPUTE_PGM_RSRC2:TRAP_HANDLER: 0
; COMPUTE_PGM_RSRC2:TGID_X_EN: 1
; COMPUTE_PGM_RSRC2:TGID_Y_EN: 0
; COMPUTE_PGM_RSRC2:TGID_Z_EN: 0
; COMPUTE_PGM_RSRC2:TIDIG_COMP_CNT: 0
; COMPUTE_PGM_RSRC3_GFX90A:ACCUM_OFFSET: 6
; COMPUTE_PGM_RSRC3_GFX90A:TG_SPLIT: 0
	.section	.text._ZN9rocsparseL32bsr2csr_block_per_row_2_7_kernelILj256ELj6EfllEEv20rocsparse_direction_T3_S2_21rocsparse_index_base_PKT1_PKT2_PKS2_S2_S3_PS4_PS7_PS2_,"axG",@progbits,_ZN9rocsparseL32bsr2csr_block_per_row_2_7_kernelILj256ELj6EfllEEv20rocsparse_direction_T3_S2_21rocsparse_index_base_PKT1_PKT2_PKS2_S2_S3_PS4_PS7_PS2_,comdat
	.globl	_ZN9rocsparseL32bsr2csr_block_per_row_2_7_kernelILj256ELj6EfllEEv20rocsparse_direction_T3_S2_21rocsparse_index_base_PKT1_PKT2_PKS2_S2_S3_PS4_PS7_PS2_ ; -- Begin function _ZN9rocsparseL32bsr2csr_block_per_row_2_7_kernelILj256ELj6EfllEEv20rocsparse_direction_T3_S2_21rocsparse_index_base_PKT1_PKT2_PKS2_S2_S3_PS4_PS7_PS2_
	.p2align	8
	.type	_ZN9rocsparseL32bsr2csr_block_per_row_2_7_kernelILj256ELj6EfllEEv20rocsparse_direction_T3_S2_21rocsparse_index_base_PKT1_PKT2_PKS2_S2_S3_PS4_PS7_PS2_,@function
_ZN9rocsparseL32bsr2csr_block_per_row_2_7_kernelILj256ELj6EfllEEv20rocsparse_direction_T3_S2_21rocsparse_index_base_PKT1_PKT2_PKS2_S2_S3_PS4_PS7_PS2_: ; @_ZN9rocsparseL32bsr2csr_block_per_row_2_7_kernelILj256ELj6EfllEEv20rocsparse_direction_T3_S2_21rocsparse_index_base_PKT1_PKT2_PKS2_S2_S3_PS4_PS7_PS2_
; %bb.0:
	s_load_dwordx2 s[2:3], s[4:5], 0x28
	s_load_dword s12, s[4:5], 0x40
	s_load_dwordx2 s[0:1], s[4:5], 0x50
	s_mov_b32 s7, 0
	s_lshl_b64 s[8:9], s[6:7], 3
	s_waitcnt lgkmcnt(0)
	s_add_u32 s2, s2, s8
	v_or_b32_e32 v1, s6, v0
	s_addc_u32 s3, s3, s9
	v_cmp_eq_u32_e32 vcc, 0, v1
	s_and_saveexec_b64 s[8:9], vcc
	s_cbranch_execz .LBB148_2
; %bb.1:
	v_mov_b32_e32 v2, s12
	v_mov_b32_e32 v3, 0
	global_store_dwordx2 v3, v[2:3], s[0:1]
.LBB148_2:
	s_or_b64 exec, exec, s[8:9]
	v_and_b32_e32 v6, 7, v0
	v_cmp_gt_u32_e32 vcc, 6, v6
	s_and_saveexec_b64 s[8:9], vcc
	s_cbranch_execz .LBB148_6
; %bb.3:
	s_load_dwordx4 s[8:11], s[2:3], 0x0
	s_load_dword s16, s[4:5], 0x18
	v_lshrrev_b32_e32 v8, 3, v0
	v_lshlrev_b32_e32 v3, 3, v6
	s_mov_b32 s2, 0
	v_mov_b32_e32 v7, 0
	s_waitcnt lgkmcnt(0)
	s_sub_u32 s7, s8, s16
	s_subb_u32 s17, s9, 0
	s_sub_u32 s10, s10, s16
	s_mul_i32 s3, s17, 36
	s_mul_hi_u32 s13, s7, 36
	s_subb_u32 s11, s11, 0
	s_add_i32 s15, s13, s3
	s_sub_u32 s3, s10, s7
	s_subb_u32 s13, s11, s17
	s_mul_i32 s13, s13, 6
	s_mul_hi_u32 s18, s3, 6
	s_add_i32 s18, s18, s13
	s_mul_i32 s3, s3, 6
	s_add_u32 s19, s3, s12
	s_mul_i32 s14, s7, 36
	v_mul_lo_u32 v2, s18, v6
	s_addc_u32 s18, s18, 0
	s_add_u32 s14, s19, s14
	s_addc_u32 s15, s18, s15
	v_pk_mov_b32 v[0:1], s[14:15], s[14:15] op_sel:[0,1]
	v_mad_u64_u32 v[0:1], s[14:15], s3, v6, v[0:1]
	s_mul_hi_u32 s14, s6, 48
	s_mul_i32 s6, s6, 48
	s_add_u32 s0, s0, s6
	v_add_u32_e32 v1, v2, v1
	s_addc_u32 s1, s1, s14
	global_store_dwordx2 v3, v[0:1], s[0:1] offset:8
	v_mov_b32_e32 v1, s17
	v_add_co_u32_e32 v0, vcc, s7, v8
	v_addc_co_u32_e32 v1, vcc, 0, v1, vcc
	v_cmp_gt_i64_e32 vcc, s[10:11], v[0:1]
	s_and_b64 exec, exec, vcc
	s_cbranch_execz .LBB148_6
; %bb.4:
	v_mad_u64_u32 v[10:11], s[0:1], s3, v6, 0
	v_add_u32_e32 v11, v11, v2
	v_mul_hi_u32_u24_e32 v3, 20, v6
	v_mul_u32_u24_e32 v2, 20, v6
	v_lshlrev_b32_e32 v6, 2, v6
	s_movk_i32 s3, 0x90
	s_load_dwordx2 s[6:7], s[4:5], 0x30
	s_load_dwordx2 s[14:15], s[4:5], 0x48
	;; [unrolled: 1-line block ×3, first 2 shown]
	s_load_dword s17, s[4:5], 0x0
	s_load_dwordx2 s[20:21], s[4:5], 0x58
	v_mad_u64_u32 v[6:7], s[4:5], v0, s3, v[6:7]
	v_mov_b32_e32 v12, v7
	v_lshlrev_b64 v[4:5], 3, v[0:1]
	v_mad_u64_u32 v[12:13], s[4:5], v1, s3, v[12:13]
	v_mad_u64_u32 v[10:11], s[4:5], s8, 36, v[10:11]
	s_waitcnt lgkmcnt(0)
	v_mov_b32_e32 v9, s7
	v_add_co_u32_e32 v4, vcc, s6, v4
	v_mov_b32_e32 v7, v12
	v_mov_b32_e32 v12, v11
	v_addc_co_u32_e32 v5, vcc, v9, v5, vcc
	v_mad_u64_u32 v[12:13], s[4:5], s9, 36, v[12:13]
	v_mov_b32_e32 v9, s19
	v_add_co_u32_e32 v6, vcc, s18, v6
	v_mov_b32_e32 v11, v12
	v_addc_co_u32_e32 v7, vcc, v9, v7, vcc
	v_mad_u64_u32 v[8:9], s[4:5], v8, 6, v[10:11]
	s_mul_hi_u32 s3, s16, 36
	s_mul_i32 s4, s16, 36
	v_mov_b32_e32 v11, s3
	v_subrev_co_u32_e32 v10, vcc, s4, v8
	v_subb_co_u32_e32 v11, vcc, v9, v11, vcc
	v_lshlrev_b64 v[8:9], 2, v[10:11]
	v_mov_b32_e32 v12, s15
	v_add_co_u32_e32 v8, vcc, s14, v8
	v_addc_co_u32_e32 v9, vcc, v9, v12, vcc
	v_add_co_u32_e32 v8, vcc, 8, v8
	v_addc_co_u32_e32 v9, vcc, 0, v9, vcc
	v_lshlrev_b64 v[10:11], 3, v[10:11]
	v_mov_b32_e32 v12, s21
	v_add_co_u32_e32 v10, vcc, s20, v10
	v_addc_co_u32_e32 v11, vcc, v11, v12, vcc
	s_cmp_eq_u32 s17, 0
	v_add_co_u32_e32 v10, vcc, 24, v10
	s_mov_b32 s13, s2
	s_cselect_b64 s[0:1], -1, 0
	v_addc_co_u32_e32 v11, vcc, 0, v11, vcc
	s_mov_b64 s[14:15], 0
	v_mov_b32_e32 v12, s2
	s_movk_i32 s17, 0x48
	s_movk_i32 s18, 0x60
	;; [unrolled: 1-line block ×5, first 2 shown]
.LBB148_5:                              ; =>This Inner Loop Header: Depth=1
	v_add_co_u32_e32 v13, vcc, v6, v2
	v_addc_co_u32_e32 v16, vcc, v7, v3, vcc
	v_add_co_u32_e32 v17, vcc, 24, v6
	v_addc_co_u32_e32 v20, vcc, 0, v7, vcc
	;; [unrolled: 2-line block ×10, first 2 shown]
	global_load_dwordx2 v[18:19], v[4:5], off
	v_cndmask_b32_e64 v14, v6, v13, s[0:1]
	v_add_co_u32_e32 v13, vcc, 20, v13
	v_cndmask_b32_e64 v15, v7, v16, s[0:1]
	v_addc_co_u32_e32 v16, vcc, 0, v16, vcc
	v_cndmask_b32_e64 v21, v20, v21, s[0:1]
	v_cndmask_b32_e64 v20, v17, v30, s[0:1]
	global_load_dword v14, v[14:15], off
	v_cndmask_b32_e64 v23, v23, v32, s[0:1]
	v_cndmask_b32_e64 v22, v22, v31, s[0:1]
	;; [unrolled: 1-line block ×8, first 2 shown]
	global_load_dword v15, v[20:21], off
	global_load_dword v16, v[22:23], off
	;; [unrolled: 1-line block ×5, first 2 shown]
	v_add_co_u32_e32 v0, vcc, 32, v0
	v_addc_co_u32_e32 v1, vcc, 0, v1, vcc
	v_add_co_u32_e32 v4, vcc, s20, v4
	v_addc_co_u32_e32 v5, vcc, 0, v5, vcc
	v_add_co_u32_e32 v6, vcc, s21, v6
	v_addc_co_u32_e32 v7, vcc, 0, v7, vcc
	v_cmp_le_i64_e64 s[2:3], s[10:11], v[0:1]
	s_or_b64 s[14:15], s[2:3], s[14:15]
	s_waitcnt vmcnt(2)
	global_store_dwordx4 v[8:9], v[14:17], off offset:-8
	s_waitcnt vmcnt(1)
	global_store_dwordx2 v[8:9], v[30:31], off offset:8
	v_subrev_co_u32_e32 v13, vcc, s16, v18
	v_subb_co_u32_e32 v19, vcc, v19, v12, vcc
	v_mad_u64_u32 v[20:21], s[2:3], v13, 6, s[12:13]
	v_mov_b32_e32 v22, v21
	v_add_co_u32_e32 v8, vcc, 0x300, v8
	v_mad_u64_u32 v[22:23], s[2:3], v19, 6, v[22:23]
	v_addc_co_u32_e32 v9, vcc, 0, v9, vcc
	v_mov_b32_e32 v18, v20
	v_mov_b32_e32 v13, v22
	;; [unrolled: 1-line block ×3, first 2 shown]
	v_add_co_u32_e64 v14, s[2:3], 2, v20
	v_add_co_u32_e64 v16, s[4:5], 3, v20
	;; [unrolled: 1-line block ×4, first 2 shown]
	v_add_co_u32_e32 v20, vcc, 1, v20
	v_addc_co_u32_e32 v21, vcc, 0, v13, vcc
	v_addc_co_u32_e64 v15, vcc, 0, v13, s[2:3]
	v_addc_co_u32_e64 v17, vcc, 0, v13, s[4:5]
	;; [unrolled: 1-line block ×4, first 2 shown]
	global_store_dwordx4 v[10:11], v[18:21], off offset:-24
	global_store_dwordx4 v[10:11], v[14:17], off offset:-8
	global_store_dwordx4 v[10:11], v[22:25], off offset:8
	v_add_co_u32_e32 v10, vcc, 0x600, v10
	v_addc_co_u32_e32 v11, vcc, 0, v11, vcc
	s_andn2_b64 exec, exec, s[14:15]
	s_cbranch_execnz .LBB148_5
.LBB148_6:
	s_endpgm
	.section	.rodata,"a",@progbits
	.p2align	6, 0x0
	.amdhsa_kernel _ZN9rocsparseL32bsr2csr_block_per_row_2_7_kernelILj256ELj6EfllEEv20rocsparse_direction_T3_S2_21rocsparse_index_base_PKT1_PKT2_PKS2_S2_S3_PS4_PS7_PS2_
		.amdhsa_group_segment_fixed_size 0
		.amdhsa_private_segment_fixed_size 0
		.amdhsa_kernarg_size 96
		.amdhsa_user_sgpr_count 6
		.amdhsa_user_sgpr_private_segment_buffer 1
		.amdhsa_user_sgpr_dispatch_ptr 0
		.amdhsa_user_sgpr_queue_ptr 0
		.amdhsa_user_sgpr_kernarg_segment_ptr 1
		.amdhsa_user_sgpr_dispatch_id 0
		.amdhsa_user_sgpr_flat_scratch_init 0
		.amdhsa_user_sgpr_kernarg_preload_length 0
		.amdhsa_user_sgpr_kernarg_preload_offset 0
		.amdhsa_user_sgpr_private_segment_size 0
		.amdhsa_uses_dynamic_stack 0
		.amdhsa_system_sgpr_private_segment_wavefront_offset 0
		.amdhsa_system_sgpr_workgroup_id_x 1
		.amdhsa_system_sgpr_workgroup_id_y 0
		.amdhsa_system_sgpr_workgroup_id_z 0
		.amdhsa_system_sgpr_workgroup_info 0
		.amdhsa_system_vgpr_workitem_id 0
		.amdhsa_next_free_vgpr 37
		.amdhsa_next_free_sgpr 22
		.amdhsa_accum_offset 40
		.amdhsa_reserve_vcc 1
		.amdhsa_reserve_flat_scratch 0
		.amdhsa_float_round_mode_32 0
		.amdhsa_float_round_mode_16_64 0
		.amdhsa_float_denorm_mode_32 3
		.amdhsa_float_denorm_mode_16_64 3
		.amdhsa_dx10_clamp 1
		.amdhsa_ieee_mode 1
		.amdhsa_fp16_overflow 0
		.amdhsa_tg_split 0
		.amdhsa_exception_fp_ieee_invalid_op 0
		.amdhsa_exception_fp_denorm_src 0
		.amdhsa_exception_fp_ieee_div_zero 0
		.amdhsa_exception_fp_ieee_overflow 0
		.amdhsa_exception_fp_ieee_underflow 0
		.amdhsa_exception_fp_ieee_inexact 0
		.amdhsa_exception_int_div_zero 0
	.end_amdhsa_kernel
	.section	.text._ZN9rocsparseL32bsr2csr_block_per_row_2_7_kernelILj256ELj6EfllEEv20rocsparse_direction_T3_S2_21rocsparse_index_base_PKT1_PKT2_PKS2_S2_S3_PS4_PS7_PS2_,"axG",@progbits,_ZN9rocsparseL32bsr2csr_block_per_row_2_7_kernelILj256ELj6EfllEEv20rocsparse_direction_T3_S2_21rocsparse_index_base_PKT1_PKT2_PKS2_S2_S3_PS4_PS7_PS2_,comdat
.Lfunc_end148:
	.size	_ZN9rocsparseL32bsr2csr_block_per_row_2_7_kernelILj256ELj6EfllEEv20rocsparse_direction_T3_S2_21rocsparse_index_base_PKT1_PKT2_PKS2_S2_S3_PS4_PS7_PS2_, .Lfunc_end148-_ZN9rocsparseL32bsr2csr_block_per_row_2_7_kernelILj256ELj6EfllEEv20rocsparse_direction_T3_S2_21rocsparse_index_base_PKT1_PKT2_PKS2_S2_S3_PS4_PS7_PS2_
                                        ; -- End function
	.section	.AMDGPU.csdata,"",@progbits
; Kernel info:
; codeLenInByte = 1028
; NumSgprs: 26
; NumVgprs: 37
; NumAgprs: 0
; TotalNumVgprs: 37
; ScratchSize: 0
; MemoryBound: 0
; FloatMode: 240
; IeeeMode: 1
; LDSByteSize: 0 bytes/workgroup (compile time only)
; SGPRBlocks: 3
; VGPRBlocks: 4
; NumSGPRsForWavesPerEU: 26
; NumVGPRsForWavesPerEU: 37
; AccumOffset: 40
; Occupancy: 8
; WaveLimiterHint : 0
; COMPUTE_PGM_RSRC2:SCRATCH_EN: 0
; COMPUTE_PGM_RSRC2:USER_SGPR: 6
; COMPUTE_PGM_RSRC2:TRAP_HANDLER: 0
; COMPUTE_PGM_RSRC2:TGID_X_EN: 1
; COMPUTE_PGM_RSRC2:TGID_Y_EN: 0
; COMPUTE_PGM_RSRC2:TGID_Z_EN: 0
; COMPUTE_PGM_RSRC2:TIDIG_COMP_CNT: 0
; COMPUTE_PGM_RSRC3_GFX90A:ACCUM_OFFSET: 9
; COMPUTE_PGM_RSRC3_GFX90A:TG_SPLIT: 0
	.section	.text._ZN9rocsparseL32bsr2csr_block_per_row_2_7_kernelILj256ELj7EfllEEv20rocsparse_direction_T3_S2_21rocsparse_index_base_PKT1_PKT2_PKS2_S2_S3_PS4_PS7_PS2_,"axG",@progbits,_ZN9rocsparseL32bsr2csr_block_per_row_2_7_kernelILj256ELj7EfllEEv20rocsparse_direction_T3_S2_21rocsparse_index_base_PKT1_PKT2_PKS2_S2_S3_PS4_PS7_PS2_,comdat
	.globl	_ZN9rocsparseL32bsr2csr_block_per_row_2_7_kernelILj256ELj7EfllEEv20rocsparse_direction_T3_S2_21rocsparse_index_base_PKT1_PKT2_PKS2_S2_S3_PS4_PS7_PS2_ ; -- Begin function _ZN9rocsparseL32bsr2csr_block_per_row_2_7_kernelILj256ELj7EfllEEv20rocsparse_direction_T3_S2_21rocsparse_index_base_PKT1_PKT2_PKS2_S2_S3_PS4_PS7_PS2_
	.p2align	8
	.type	_ZN9rocsparseL32bsr2csr_block_per_row_2_7_kernelILj256ELj7EfllEEv20rocsparse_direction_T3_S2_21rocsparse_index_base_PKT1_PKT2_PKS2_S2_S3_PS4_PS7_PS2_,@function
_ZN9rocsparseL32bsr2csr_block_per_row_2_7_kernelILj256ELj7EfllEEv20rocsparse_direction_T3_S2_21rocsparse_index_base_PKT1_PKT2_PKS2_S2_S3_PS4_PS7_PS2_: ; @_ZN9rocsparseL32bsr2csr_block_per_row_2_7_kernelILj256ELj7EfllEEv20rocsparse_direction_T3_S2_21rocsparse_index_base_PKT1_PKT2_PKS2_S2_S3_PS4_PS7_PS2_
; %bb.0:
	s_load_dwordx2 s[2:3], s[4:5], 0x28
	s_load_dword s12, s[4:5], 0x40
	s_load_dwordx2 s[0:1], s[4:5], 0x50
	s_mov_b32 s7, 0
	s_lshl_b64 s[8:9], s[6:7], 3
	s_waitcnt lgkmcnt(0)
	s_add_u32 s2, s2, s8
	v_or_b32_e32 v1, s6, v0
	s_addc_u32 s3, s3, s9
	v_cmp_eq_u32_e32 vcc, 0, v1
	s_and_saveexec_b64 s[8:9], vcc
	s_cbranch_execz .LBB149_2
; %bb.1:
	v_mov_b32_e32 v2, s12
	v_mov_b32_e32 v3, 0
	global_store_dwordx2 v3, v[2:3], s[0:1]
.LBB149_2:
	s_or_b64 exec, exec, s[8:9]
	v_and_b32_e32 v8, 7, v0
	v_cmp_ne_u32_e32 vcc, 7, v8
	s_and_saveexec_b64 s[8:9], vcc
	s_cbranch_execz .LBB149_6
; %bb.3:
	s_load_dwordx4 s[8:11], s[2:3], 0x0
	s_load_dword s7, s[4:5], 0x18
	v_lshrrev_b32_e32 v4, 3, v0
	v_lshlrev_b32_e32 v3, 3, v8
	s_mov_b32 s2, 0
	v_mov_b32_e32 v9, 0
	s_waitcnt lgkmcnt(0)
	s_sub_u32 s16, s8, s7
	s_subb_u32 s17, s9, 0
	s_sub_u32 s10, s10, s7
	s_mul_i32 s3, s17, 49
	s_mul_hi_u32 s13, s16, 49
	s_subb_u32 s11, s11, 0
	s_add_i32 s15, s13, s3
	s_sub_u32 s3, s10, s16
	s_subb_u32 s13, s11, s17
	s_mul_i32 s13, s13, 7
	s_mul_hi_u32 s18, s3, 7
	s_add_i32 s18, s18, s13
	s_mul_i32 s3, s3, 7
	s_add_u32 s19, s3, s12
	s_mul_i32 s14, s16, 49
	v_mul_lo_u32 v2, s18, v8
	s_addc_u32 s18, s18, 0
	s_add_u32 s14, s19, s14
	s_addc_u32 s15, s18, s15
	v_pk_mov_b32 v[0:1], s[14:15], s[14:15] op_sel:[0,1]
	v_mad_u64_u32 v[0:1], s[14:15], s3, v8, v[0:1]
	s_mul_hi_u32 s14, s6, 56
	s_mul_i32 s6, s6, 56
	s_add_u32 s0, s0, s6
	v_add_u32_e32 v1, v2, v1
	s_addc_u32 s1, s1, s14
	global_store_dwordx2 v3, v[0:1], s[0:1] offset:8
	v_mov_b32_e32 v1, s17
	v_add_co_u32_e32 v0, vcc, s16, v4
	v_addc_co_u32_e32 v1, vcc, 0, v1, vcc
	v_cmp_gt_i64_e32 vcc, s[10:11], v[0:1]
	s_and_b64 exec, exec, vcc
	s_cbranch_execz .LBB149_6
; %bb.4:
	v_mad_u64_u32 v[6:7], s[0:1], s3, v8, 0
	v_add_u32_e32 v7, v7, v2
	s_load_dwordx2 s[14:15], s[4:5], 0x30
	s_load_dwordx2 s[16:17], s[4:5], 0x48
	s_load_dwordx2 s[18:19], s[4:5], 0x20
	s_load_dword s6, s[4:5], 0x0
	s_load_dwordx2 s[20:21], s[4:5], 0x58
	v_mad_u64_u32 v[6:7], s[4:5], s8, 49, v[6:7]
	v_mov_b32_e32 v10, v7
	v_mad_u64_u32 v[10:11], s[4:5], s9, 49, v[10:11]
	v_mov_b32_e32 v7, v10
	v_mad_u64_u32 v[4:5], s[4:5], v4, 7, v[6:7]
	s_mul_hi_u32 s3, s7, 49
	s_mul_i32 s4, s7, 49
	v_mov_b32_e32 v6, s3
	v_subrev_co_u32_e32 v10, vcc, s4, v4
	v_subb_co_u32_e32 v11, vcc, v5, v6, vcc
	v_lshlrev_b64 v[4:5], 2, v[10:11]
	s_waitcnt lgkmcnt(0)
	v_mov_b32_e32 v6, s17
	v_add_co_u32_e32 v4, vcc, s16, v4
	v_addc_co_u32_e32 v5, vcc, v5, v6, vcc
	v_add_co_u32_e32 v4, vcc, 24, v4
	v_mul_hi_u32_u24_e32 v3, 24, v8
	v_mul_u32_u24_e32 v2, 24, v8
	v_addc_co_u32_e32 v5, vcc, 0, v5, vcc
	v_lshlrev_b64 v[6:7], 3, v[0:1]
	v_lshlrev_b32_e32 v8, 2, v8
	s_movk_i32 s3, 0xc4
	v_mov_b32_e32 v12, s15
	v_add_co_u32_e32 v6, vcc, s14, v6
	v_mad_u64_u32 v[8:9], s[4:5], v0, s3, v[8:9]
	v_addc_co_u32_e32 v7, vcc, v12, v7, vcc
	v_mov_b32_e32 v12, v9
	v_mad_u64_u32 v[12:13], s[4:5], v1, s3, v[12:13]
	v_mov_b32_e32 v9, v12
	v_mov_b32_e32 v12, s19
	v_add_co_u32_e32 v8, vcc, s18, v8
	v_addc_co_u32_e32 v9, vcc, v12, v9, vcc
	v_lshlrev_b64 v[10:11], 3, v[10:11]
	v_mov_b32_e32 v12, s21
	v_add_co_u32_e32 v10, vcc, s20, v10
	v_addc_co_u32_e32 v11, vcc, v11, v12, vcc
	s_cmp_eq_u32 s6, 0
	v_add_co_u32_e32 v10, vcc, 24, v10
	s_mov_b32 s13, s2
	s_cselect_b64 s[0:1], -1, 0
	v_addc_co_u32_e32 v11, vcc, 0, v11, vcc
	s_mov_b64 s[4:5], 0
	v_mov_b32_e32 v12, s2
	s_movk_i32 s6, 0x54
	s_movk_i32 s8, 0x70
	;; [unrolled: 1-line block ×6, first 2 shown]
.LBB149_5:                              ; =>This Inner Loop Header: Depth=1
	v_add_co_u32_e32 v13, vcc, v8, v2
	v_addc_co_u32_e32 v24, vcc, v9, v3, vcc
	v_cndmask_b32_e64 v15, v9, v24, s[0:1]
	v_cndmask_b32_e64 v14, v8, v13, s[0:1]
	global_load_dword v14, v[14:15], off
	v_add_co_u32_e32 v15, vcc, 4, v13
	v_addc_co_u32_e32 v16, vcc, 0, v24, vcc
	v_add_co_u32_e32 v20, vcc, 28, v8
	v_addc_co_u32_e32 v17, vcc, 0, v9, vcc
	v_cndmask_b32_e64 v17, v17, v16, s[0:1]
	v_cndmask_b32_e64 v16, v20, v15, s[0:1]
	global_load_dword v15, v[16:17], off
	v_add_co_u32_e32 v16, vcc, 8, v13
	v_addc_co_u32_e32 v17, vcc, 0, v24, vcc
	v_add_co_u32_e32 v20, vcc, 56, v8
	v_addc_co_u32_e32 v21, vcc, 0, v9, vcc
	v_cndmask_b32_e64 v17, v21, v17, s[0:1]
	v_cndmask_b32_e64 v16, v20, v16, s[0:1]
	global_load_dwordx2 v[18:19], v[6:7], off
	s_nop 0
	global_load_dword v16, v[16:17], off
	v_add_co_u32_e32 v17, vcc, 12, v13
	v_addc_co_u32_e32 v20, vcc, 0, v24, vcc
	v_add_co_u32_e32 v22, vcc, s6, v8
	v_addc_co_u32_e32 v21, vcc, 0, v9, vcc
	v_cndmask_b32_e64 v21, v21, v20, s[0:1]
	v_cndmask_b32_e64 v20, v22, v17, s[0:1]
	global_load_dword v17, v[20:21], off
	v_add_co_u32_e32 v20, vcc, 16, v13
	v_addc_co_u32_e32 v21, vcc, 0, v24, vcc
	v_add_co_u32_e32 v22, vcc, s8, v8
	v_addc_co_u32_e32 v23, vcc, 0, v9, vcc
	v_cndmask_b32_e64 v21, v23, v21, s[0:1]
	v_cndmask_b32_e64 v20, v22, v20, s[0:1]
	;; [unrolled: 7-line block ×3, first 2 shown]
	v_add_co_u32_e32 v13, vcc, 24, v13
	global_load_dword v23, v[20:21], off
	v_addc_co_u32_e32 v20, vcc, 0, v24, vcc
	v_add_co_u32_e32 v24, vcc, s14, v8
	v_addc_co_u32_e32 v21, vcc, 0, v9, vcc
	v_cndmask_b32_e64 v21, v21, v20, s[0:1]
	v_cndmask_b32_e64 v20, v24, v13, s[0:1]
	global_load_dword v24, v[20:21], off
	s_waitcnt vmcnt(5)
	v_subrev_co_u32_e32 v13, vcc, s7, v18
	v_mad_u64_u32 v[26:27], s[2:3], v13, 7, s[12:13]
	v_subb_co_u32_e32 v19, vcc, v19, v12, vcc
	v_mov_b32_e32 v18, v27
	v_mad_u64_u32 v[28:29], s[2:3], v19, 7, v[18:19]
	v_mov_b32_e32 v13, v28
	v_add_co_u32_e32 v20, vcc, 1, v26
	v_addc_co_u32_e32 v21, vcc, 0, v13, vcc
	v_mov_b32_e32 v18, v26
	v_mov_b32_e32 v19, v28
	global_store_dwordx4 v[10:11], v[18:21], off offset:-24
	s_nop 0
	v_add_co_u32_e32 v18, vcc, 2, v26
	v_addc_co_u32_e32 v19, vcc, 0, v13, vcc
	v_add_co_u32_e32 v20, vcc, 3, v26
	v_addc_co_u32_e32 v21, vcc, 0, v13, vcc
	global_store_dwordx4 v[10:11], v[18:21], off offset:-8
	s_waitcnt vmcnt(5)
	global_store_dwordx4 v[4:5], v[14:17], off offset:-24
	s_nop 0
	v_add_co_u32_e32 v14, vcc, 4, v26
	v_addc_co_u32_e32 v15, vcc, 0, v13, vcc
	v_add_co_u32_e32 v16, vcc, 5, v26
	v_addc_co_u32_e32 v17, vcc, 0, v13, vcc
	global_store_dwordx4 v[10:11], v[14:17], off offset:8
	s_nop 0
	v_add_co_u32_e32 v14, vcc, 6, v26
	v_addc_co_u32_e32 v15, vcc, 0, v13, vcc
	v_add_co_u32_e32 v0, vcc, 32, v0
	v_addc_co_u32_e32 v1, vcc, 0, v1, vcc
	global_store_dwordx2 v[10:11], v[14:15], off offset:24
	s_waitcnt vmcnt(5)
	global_store_dwordx3 v[4:5], v[22:24], off offset:-8
	v_add_co_u32_e32 v4, vcc, s15, v4
	v_addc_co_u32_e32 v5, vcc, 0, v5, vcc
	v_add_co_u32_e32 v6, vcc, s16, v6
	v_addc_co_u32_e32 v7, vcc, 0, v7, vcc
	;; [unrolled: 2-line block ×3, first 2 shown]
	v_add_co_u32_e32 v10, vcc, 0x700, v10
	v_cmp_le_i64_e64 s[2:3], s[10:11], v[0:1]
	s_or_b64 s[4:5], s[2:3], s[4:5]
	v_addc_co_u32_e32 v11, vcc, 0, v11, vcc
	s_andn2_b64 exec, exec, s[4:5]
	s_cbranch_execnz .LBB149_5
.LBB149_6:
	s_endpgm
	.section	.rodata,"a",@progbits
	.p2align	6, 0x0
	.amdhsa_kernel _ZN9rocsparseL32bsr2csr_block_per_row_2_7_kernelILj256ELj7EfllEEv20rocsparse_direction_T3_S2_21rocsparse_index_base_PKT1_PKT2_PKS2_S2_S3_PS4_PS7_PS2_
		.amdhsa_group_segment_fixed_size 0
		.amdhsa_private_segment_fixed_size 0
		.amdhsa_kernarg_size 96
		.amdhsa_user_sgpr_count 6
		.amdhsa_user_sgpr_private_segment_buffer 1
		.amdhsa_user_sgpr_dispatch_ptr 0
		.amdhsa_user_sgpr_queue_ptr 0
		.amdhsa_user_sgpr_kernarg_segment_ptr 1
		.amdhsa_user_sgpr_dispatch_id 0
		.amdhsa_user_sgpr_flat_scratch_init 0
		.amdhsa_user_sgpr_kernarg_preload_length 0
		.amdhsa_user_sgpr_kernarg_preload_offset 0
		.amdhsa_user_sgpr_private_segment_size 0
		.amdhsa_uses_dynamic_stack 0
		.amdhsa_system_sgpr_private_segment_wavefront_offset 0
		.amdhsa_system_sgpr_workgroup_id_x 1
		.amdhsa_system_sgpr_workgroup_id_y 0
		.amdhsa_system_sgpr_workgroup_id_z 0
		.amdhsa_system_sgpr_workgroup_info 0
		.amdhsa_system_vgpr_workitem_id 0
		.amdhsa_next_free_vgpr 30
		.amdhsa_next_free_sgpr 22
		.amdhsa_accum_offset 32
		.amdhsa_reserve_vcc 1
		.amdhsa_reserve_flat_scratch 0
		.amdhsa_float_round_mode_32 0
		.amdhsa_float_round_mode_16_64 0
		.amdhsa_float_denorm_mode_32 3
		.amdhsa_float_denorm_mode_16_64 3
		.amdhsa_dx10_clamp 1
		.amdhsa_ieee_mode 1
		.amdhsa_fp16_overflow 0
		.amdhsa_tg_split 0
		.amdhsa_exception_fp_ieee_invalid_op 0
		.amdhsa_exception_fp_denorm_src 0
		.amdhsa_exception_fp_ieee_div_zero 0
		.amdhsa_exception_fp_ieee_overflow 0
		.amdhsa_exception_fp_ieee_underflow 0
		.amdhsa_exception_fp_ieee_inexact 0
		.amdhsa_exception_int_div_zero 0
	.end_amdhsa_kernel
	.section	.text._ZN9rocsparseL32bsr2csr_block_per_row_2_7_kernelILj256ELj7EfllEEv20rocsparse_direction_T3_S2_21rocsparse_index_base_PKT1_PKT2_PKS2_S2_S3_PS4_PS7_PS2_,"axG",@progbits,_ZN9rocsparseL32bsr2csr_block_per_row_2_7_kernelILj256ELj7EfllEEv20rocsparse_direction_T3_S2_21rocsparse_index_base_PKT1_PKT2_PKS2_S2_S3_PS4_PS7_PS2_,comdat
.Lfunc_end149:
	.size	_ZN9rocsparseL32bsr2csr_block_per_row_2_7_kernelILj256ELj7EfllEEv20rocsparse_direction_T3_S2_21rocsparse_index_base_PKT1_PKT2_PKS2_S2_S3_PS4_PS7_PS2_, .Lfunc_end149-_ZN9rocsparseL32bsr2csr_block_per_row_2_7_kernelILj256ELj7EfllEEv20rocsparse_direction_T3_S2_21rocsparse_index_base_PKT1_PKT2_PKS2_S2_S3_PS4_PS7_PS2_
                                        ; -- End function
	.section	.AMDGPU.csdata,"",@progbits
; Kernel info:
; codeLenInByte = 1076
; NumSgprs: 26
; NumVgprs: 30
; NumAgprs: 0
; TotalNumVgprs: 30
; ScratchSize: 0
; MemoryBound: 0
; FloatMode: 240
; IeeeMode: 1
; LDSByteSize: 0 bytes/workgroup (compile time only)
; SGPRBlocks: 3
; VGPRBlocks: 3
; NumSGPRsForWavesPerEU: 26
; NumVGPRsForWavesPerEU: 30
; AccumOffset: 32
; Occupancy: 8
; WaveLimiterHint : 0
; COMPUTE_PGM_RSRC2:SCRATCH_EN: 0
; COMPUTE_PGM_RSRC2:USER_SGPR: 6
; COMPUTE_PGM_RSRC2:TRAP_HANDLER: 0
; COMPUTE_PGM_RSRC2:TGID_X_EN: 1
; COMPUTE_PGM_RSRC2:TGID_Y_EN: 0
; COMPUTE_PGM_RSRC2:TGID_Z_EN: 0
; COMPUTE_PGM_RSRC2:TIDIG_COMP_CNT: 0
; COMPUTE_PGM_RSRC3_GFX90A:ACCUM_OFFSET: 7
; COMPUTE_PGM_RSRC3_GFX90A:TG_SPLIT: 0
	.section	.text._ZN9rocsparseL33bsr2csr_block_per_row_8_32_kernelILj1024ELj8EfllEEv20rocsparse_direction_T3_S2_21rocsparse_index_base_PKT1_PKT2_PKS2_S2_S3_PS4_PS7_PS2_,"axG",@progbits,_ZN9rocsparseL33bsr2csr_block_per_row_8_32_kernelILj1024ELj8EfllEEv20rocsparse_direction_T3_S2_21rocsparse_index_base_PKT1_PKT2_PKS2_S2_S3_PS4_PS7_PS2_,comdat
	.globl	_ZN9rocsparseL33bsr2csr_block_per_row_8_32_kernelILj1024ELj8EfllEEv20rocsparse_direction_T3_S2_21rocsparse_index_base_PKT1_PKT2_PKS2_S2_S3_PS4_PS7_PS2_ ; -- Begin function _ZN9rocsparseL33bsr2csr_block_per_row_8_32_kernelILj1024ELj8EfllEEv20rocsparse_direction_T3_S2_21rocsparse_index_base_PKT1_PKT2_PKS2_S2_S3_PS4_PS7_PS2_
	.p2align	8
	.type	_ZN9rocsparseL33bsr2csr_block_per_row_8_32_kernelILj1024ELj8EfllEEv20rocsparse_direction_T3_S2_21rocsparse_index_base_PKT1_PKT2_PKS2_S2_S3_PS4_PS7_PS2_,@function
_ZN9rocsparseL33bsr2csr_block_per_row_8_32_kernelILj1024ELj8EfllEEv20rocsparse_direction_T3_S2_21rocsparse_index_base_PKT1_PKT2_PKS2_S2_S3_PS4_PS7_PS2_: ; @_ZN9rocsparseL33bsr2csr_block_per_row_8_32_kernelILj1024ELj8EfllEEv20rocsparse_direction_T3_S2_21rocsparse_index_base_PKT1_PKT2_PKS2_S2_S3_PS4_PS7_PS2_
; %bb.0:
	s_load_dwordx2 s[0:1], s[4:5], 0x28
	s_load_dword s12, s[4:5], 0x40
	s_load_dwordx2 s[10:11], s[4:5], 0x50
	s_mov_b32 s14, 0
	s_mov_b32 s7, s14
	s_lshl_b64 s[2:3], s[6:7], 3
	s_waitcnt lgkmcnt(0)
	s_add_u32 s8, s0, s2
	v_or_b32_e32 v1, s6, v0
	s_addc_u32 s9, s1, s3
	v_cmp_eq_u32_e32 vcc, 0, v1
	s_and_saveexec_b64 s[0:1], vcc
	s_cbranch_execz .LBB150_2
; %bb.1:
	v_mov_b32_e32 v2, s12
	v_mov_b32_e32 v3, 0
	global_store_dwordx2 v3, v[2:3], s[10:11]
.LBB150_2:
	s_or_b64 exec, exec, s[0:1]
	s_load_dwordx2 s[2:3], s[4:5], 0x38
	v_mov_b32_e32 v3, 0
	v_and_b32_e32 v2, 7, v0
	v_bfe_u32 v6, v0, 3, 3
	v_mov_b32_e32 v7, v3
	s_waitcnt lgkmcnt(0)
	v_cmp_gt_i64_e32 vcc, s[2:3], v[6:7]
	v_cmp_gt_i64_e64 s[0:1], s[2:3], v[2:3]
	s_and_b64 s[0:1], vcc, s[0:1]
	s_and_saveexec_b64 s[16:17], s[0:1]
	s_cbranch_execz .LBB150_6
; %bb.3:
	s_load_dwordx4 s[16:19], s[8:9], 0x0
	s_load_dword s15, s[4:5], 0x18
	s_mul_i32 s0, s2, s3
	s_mul_hi_u32 s1, s2, s2
	v_lshrrev_b32_e32 v8, 6, v0
	v_mov_b32_e32 v9, v3
	s_waitcnt lgkmcnt(0)
	s_sub_u32 s13, s16, s15
	s_subb_u32 s16, s17, 0
	s_sub_u32 s8, s18, s15
	s_subb_u32 s9, s19, 0
	s_add_i32 s1, s1, s0
	s_add_i32 s1, s1, s0
	s_mul_i32 s0, s2, s2
	s_mul_i32 s7, s13, s1
	s_mul_hi_u32 s17, s13, s0
	s_add_i32 s7, s17, s7
	s_mul_i32 s17, s16, s0
	s_add_i32 s7, s7, s17
	s_sub_u32 s18, s8, s13
	s_subb_u32 s17, s9, s16
	s_mul_i32 s19, s18, s3
	s_mul_hi_u32 s21, s18, s2
	s_add_i32 s19, s21, s19
	s_mul_i32 s21, s17, s2
	s_add_i32 s22, s19, s21
	s_mul_i32 s23, s18, s2
	s_add_u32 s21, s23, s12
	s_mul_i32 s20, s13, s0
	s_addc_u32 s24, s22, 0
	s_add_u32 s20, s21, s20
	s_addc_u32 s21, s24, s7
	v_pk_mov_b32 v[0:1], s[20:21], s[20:21] op_sel:[0,1]
	v_mad_u64_u32 v[0:1], s[20:21], s23, v6, v[0:1]
	v_mov_b32_e32 v4, v1
	v_mad_u64_u32 v[4:5], s[20:21], s22, v6, v[4:5]
	s_mul_i32 s7, s6, s3
	s_mul_hi_u32 s20, s6, s2
	s_add_i32 s7, s20, s7
	s_mul_i32 s6, s6, s2
	s_lshl_b64 s[6:7], s[6:7], 3
	s_add_u32 s6, s10, s6
	v_mov_b32_e32 v1, v4
	s_addc_u32 s7, s11, s7
	v_lshlrev_b32_e32 v3, 3, v6
	global_store_dwordx2 v3, v[0:1], s[6:7] offset:8
	v_mov_b32_e32 v1, s16
	v_add_co_u32_e32 v0, vcc, s13, v8
	v_addc_co_u32_e32 v1, vcc, 0, v1, vcc
	v_cmp_gt_i64_e32 vcc, s[8:9], v[0:1]
	s_and_b64 exec, exec, vcc
	s_cbranch_execz .LBB150_6
; %bb.4:
	s_load_dwordx2 s[6:7], s[4:5], 0x30
	s_load_dwordx2 s[10:11], s[4:5], 0x48
	;; [unrolled: 1-line block ×4, first 2 shown]
	s_load_dword s24, s[4:5], 0x0
	v_mad_u64_u32 v[10:11], s[4:5], v2, s2, 0
	v_mov_b32_e32 v12, v11
	v_mad_u64_u32 v[12:13], s[4:5], v2, s3, v[12:13]
	v_mov_b32_e32 v3, s14
	v_add_co_u32_e32 v4, vcc, s12, v2
	v_mov_b32_e32 v11, v12
	v_addc_co_u32_e32 v5, vcc, 0, v3, vcc
	v_lshlrev_b64 v[10:11], 2, v[10:11]
	s_waitcnt lgkmcnt(0)
	v_mov_b32_e32 v3, s23
	v_add_co_u32_e32 v7, vcc, s22, v10
	v_addc_co_u32_e32 v10, vcc, v3, v11, vcc
	v_lshlrev_b32_e32 v11, 2, v6
	v_add_co_u32_e32 v7, vcc, v7, v11
	v_addc_co_u32_e32 v14, vcc, 0, v10, vcc
	v_mad_u64_u32 v[10:11], s[4:5], v6, s2, 0
	v_mov_b32_e32 v12, v11
	v_mad_u64_u32 v[12:13], s[4:5], v6, s3, v[12:13]
	v_mov_b32_e32 v11, v12
	v_lshlrev_b64 v[10:11], 2, v[10:11]
	v_add_co_u32_e32 v10, vcc, s22, v10
	v_addc_co_u32_e32 v3, vcc, v3, v11, vcc
	v_lshlrev_b32_e32 v13, 2, v2
	v_add_co_u32_e32 v10, vcc, v10, v13
	s_cmp_eq_u32 s24, 0
	v_addc_co_u32_e32 v3, vcc, 0, v3, vcc
	s_cselect_b64 vcc, -1, 0
	v_cndmask_b32_e32 v3, v14, v3, vcc
	v_cndmask_b32_e32 v7, v7, v10, vcc
	v_mul_lo_u32 v12, s1, v0
	v_mul_lo_u32 v14, s0, v1
	v_mad_u64_u32 v[10:11], s[4:5], s0, v0, 0
	v_add3_u32 v11, v11, v14, v12
	v_lshlrev_b64 v[10:11], 2, v[10:11]
	v_add_co_u32_e32 v10, vcc, v7, v10
	v_addc_co_u32_e32 v11, vcc, v3, v11, vcc
	s_lshl_b64 s[4:5], s[0:1], 6
	s_mul_i32 s0, s3, s13
	s_mul_i32 s1, s2, s16
	v_mov_b32_e32 v3, s13
	s_add_i32 s12, s1, s0
	v_mad_u64_u32 v[8:9], s[0:1], s2, v3, v[8:9]
	v_add_u32_e32 v9, s12, v9
	v_mad_u64_u32 v[8:9], s[0:1], s18, v6, v[8:9]
	v_mov_b32_e32 v12, v9
	v_mad_u64_u32 v[6:7], s[0:1], s17, v6, v[12:13]
	v_mul_lo_u32 v3, s3, v8
	v_mul_lo_u32 v6, s2, v6
	v_mad_u64_u32 v[8:9], s[0:1], s2, v8, 0
	v_add3_u32 v9, v9, v6, v3
	v_lshlrev_b64 v[6:7], 2, v[8:9]
	v_add_co_u32_e32 v3, vcc, v6, v13
	v_addc_co_u32_e32 v7, vcc, 0, v7, vcc
	v_mov_b32_e32 v12, s11
	v_add_co_u32_e32 v6, vcc, s10, v3
	v_addc_co_u32_e32 v7, vcc, v12, v7, vcc
	v_lshlrev_b64 v[8:9], 3, v[8:9]
	v_lshlrev_b32_e32 v2, 3, v2
	v_add_co_u32_e32 v2, vcc, v8, v2
	v_addc_co_u32_e32 v3, vcc, 0, v9, vcc
	v_mov_b32_e32 v8, s21
	v_add_co_u32_e32 v2, vcc, s20, v2
	v_addc_co_u32_e32 v3, vcc, v8, v3, vcc
	v_lshlrev_b64 v[8:9], 3, v[0:1]
	v_mov_b32_e32 v12, s7
	v_add_co_u32_e32 v8, vcc, s6, v8
	s_lshl_b64 s[10:11], s[2:3], 6
	s_lshl_b64 s[12:13], s[2:3], 7
	v_addc_co_u32_e32 v9, vcc, v12, v9, vcc
	s_mov_b64 s[6:7], 0
.LBB150_5:                              ; =>This Inner Loop Header: Depth=1
	global_load_dwordx2 v[12:13], v[8:9], off
	global_load_dword v14, v[10:11], off
	v_add_co_u32_e32 v0, vcc, 16, v0
	v_addc_co_u32_e32 v1, vcc, 0, v1, vcc
	v_add_co_u32_e32 v8, vcc, 0x80, v8
	v_addc_co_u32_e32 v9, vcc, 0, v9, vcc
	v_cmp_le_i64_e32 vcc, s[8:9], v[0:1]
	v_mov_b32_e32 v15, s14
	s_or_b64 s[6:7], vcc, s[6:7]
	v_mov_b32_e32 v16, s5
	v_add_co_u32_e64 v10, s[0:1], s4, v10
	v_mov_b32_e32 v17, s11
	v_addc_co_u32_e64 v11, s[0:1], v11, v16, s[0:1]
	v_mov_b32_e32 v18, s13
	s_waitcnt vmcnt(1)
	v_subrev_co_u32_e32 v12, vcc, s15, v12
	v_subb_co_u32_e32 v13, vcc, v13, v15, vcc
	s_waitcnt vmcnt(0)
	global_store_dword v[6:7], v14, off
	v_add_co_u32_e32 v6, vcc, s10, v6
	v_mul_lo_u32 v14, v12, s3
	v_mul_lo_u32 v15, v13, s2
	v_mad_u64_u32 v[12:13], s[0:1], v12, s2, v[4:5]
	v_addc_co_u32_e32 v7, vcc, v7, v17, vcc
	v_add3_u32 v13, v15, v13, v14
	global_store_dwordx2 v[2:3], v[12:13], off
	v_add_co_u32_e32 v2, vcc, s12, v2
	v_addc_co_u32_e32 v3, vcc, v3, v18, vcc
	s_andn2_b64 exec, exec, s[6:7]
	s_cbranch_execnz .LBB150_5
.LBB150_6:
	s_endpgm
	.section	.rodata,"a",@progbits
	.p2align	6, 0x0
	.amdhsa_kernel _ZN9rocsparseL33bsr2csr_block_per_row_8_32_kernelILj1024ELj8EfllEEv20rocsparse_direction_T3_S2_21rocsparse_index_base_PKT1_PKT2_PKS2_S2_S3_PS4_PS7_PS2_
		.amdhsa_group_segment_fixed_size 0
		.amdhsa_private_segment_fixed_size 0
		.amdhsa_kernarg_size 96
		.amdhsa_user_sgpr_count 6
		.amdhsa_user_sgpr_private_segment_buffer 1
		.amdhsa_user_sgpr_dispatch_ptr 0
		.amdhsa_user_sgpr_queue_ptr 0
		.amdhsa_user_sgpr_kernarg_segment_ptr 1
		.amdhsa_user_sgpr_dispatch_id 0
		.amdhsa_user_sgpr_flat_scratch_init 0
		.amdhsa_user_sgpr_kernarg_preload_length 0
		.amdhsa_user_sgpr_kernarg_preload_offset 0
		.amdhsa_user_sgpr_private_segment_size 0
		.amdhsa_uses_dynamic_stack 0
		.amdhsa_system_sgpr_private_segment_wavefront_offset 0
		.amdhsa_system_sgpr_workgroup_id_x 1
		.amdhsa_system_sgpr_workgroup_id_y 0
		.amdhsa_system_sgpr_workgroup_id_z 0
		.amdhsa_system_sgpr_workgroup_info 0
		.amdhsa_system_vgpr_workitem_id 0
		.amdhsa_next_free_vgpr 19
		.amdhsa_next_free_sgpr 25
		.amdhsa_accum_offset 20
		.amdhsa_reserve_vcc 1
		.amdhsa_reserve_flat_scratch 0
		.amdhsa_float_round_mode_32 0
		.amdhsa_float_round_mode_16_64 0
		.amdhsa_float_denorm_mode_32 3
		.amdhsa_float_denorm_mode_16_64 3
		.amdhsa_dx10_clamp 1
		.amdhsa_ieee_mode 1
		.amdhsa_fp16_overflow 0
		.amdhsa_tg_split 0
		.amdhsa_exception_fp_ieee_invalid_op 0
		.amdhsa_exception_fp_denorm_src 0
		.amdhsa_exception_fp_ieee_div_zero 0
		.amdhsa_exception_fp_ieee_overflow 0
		.amdhsa_exception_fp_ieee_underflow 0
		.amdhsa_exception_fp_ieee_inexact 0
		.amdhsa_exception_int_div_zero 0
	.end_amdhsa_kernel
	.section	.text._ZN9rocsparseL33bsr2csr_block_per_row_8_32_kernelILj1024ELj8EfllEEv20rocsparse_direction_T3_S2_21rocsparse_index_base_PKT1_PKT2_PKS2_S2_S3_PS4_PS7_PS2_,"axG",@progbits,_ZN9rocsparseL33bsr2csr_block_per_row_8_32_kernelILj1024ELj8EfllEEv20rocsparse_direction_T3_S2_21rocsparse_index_base_PKT1_PKT2_PKS2_S2_S3_PS4_PS7_PS2_,comdat
.Lfunc_end150:
	.size	_ZN9rocsparseL33bsr2csr_block_per_row_8_32_kernelILj1024ELj8EfllEEv20rocsparse_direction_T3_S2_21rocsparse_index_base_PKT1_PKT2_PKS2_S2_S3_PS4_PS7_PS2_, .Lfunc_end150-_ZN9rocsparseL33bsr2csr_block_per_row_8_32_kernelILj1024ELj8EfllEEv20rocsparse_direction_T3_S2_21rocsparse_index_base_PKT1_PKT2_PKS2_S2_S3_PS4_PS7_PS2_
                                        ; -- End function
	.section	.AMDGPU.csdata,"",@progbits
; Kernel info:
; codeLenInByte = 944
; NumSgprs: 29
; NumVgprs: 19
; NumAgprs: 0
; TotalNumVgprs: 19
; ScratchSize: 0
; MemoryBound: 0
; FloatMode: 240
; IeeeMode: 1
; LDSByteSize: 0 bytes/workgroup (compile time only)
; SGPRBlocks: 3
; VGPRBlocks: 2
; NumSGPRsForWavesPerEU: 29
; NumVGPRsForWavesPerEU: 19
; AccumOffset: 20
; Occupancy: 8
; WaveLimiterHint : 0
; COMPUTE_PGM_RSRC2:SCRATCH_EN: 0
; COMPUTE_PGM_RSRC2:USER_SGPR: 6
; COMPUTE_PGM_RSRC2:TRAP_HANDLER: 0
; COMPUTE_PGM_RSRC2:TGID_X_EN: 1
; COMPUTE_PGM_RSRC2:TGID_Y_EN: 0
; COMPUTE_PGM_RSRC2:TGID_Z_EN: 0
; COMPUTE_PGM_RSRC2:TIDIG_COMP_CNT: 0
; COMPUTE_PGM_RSRC3_GFX90A:ACCUM_OFFSET: 4
; COMPUTE_PGM_RSRC3_GFX90A:TG_SPLIT: 0
	.section	.text._ZN9rocsparseL33bsr2csr_block_per_row_8_32_kernelILj1024ELj16EfllEEv20rocsparse_direction_T3_S2_21rocsparse_index_base_PKT1_PKT2_PKS2_S2_S3_PS4_PS7_PS2_,"axG",@progbits,_ZN9rocsparseL33bsr2csr_block_per_row_8_32_kernelILj1024ELj16EfllEEv20rocsparse_direction_T3_S2_21rocsparse_index_base_PKT1_PKT2_PKS2_S2_S3_PS4_PS7_PS2_,comdat
	.globl	_ZN9rocsparseL33bsr2csr_block_per_row_8_32_kernelILj1024ELj16EfllEEv20rocsparse_direction_T3_S2_21rocsparse_index_base_PKT1_PKT2_PKS2_S2_S3_PS4_PS7_PS2_ ; -- Begin function _ZN9rocsparseL33bsr2csr_block_per_row_8_32_kernelILj1024ELj16EfllEEv20rocsparse_direction_T3_S2_21rocsparse_index_base_PKT1_PKT2_PKS2_S2_S3_PS4_PS7_PS2_
	.p2align	8
	.type	_ZN9rocsparseL33bsr2csr_block_per_row_8_32_kernelILj1024ELj16EfllEEv20rocsparse_direction_T3_S2_21rocsparse_index_base_PKT1_PKT2_PKS2_S2_S3_PS4_PS7_PS2_,@function
_ZN9rocsparseL33bsr2csr_block_per_row_8_32_kernelILj1024ELj16EfllEEv20rocsparse_direction_T3_S2_21rocsparse_index_base_PKT1_PKT2_PKS2_S2_S3_PS4_PS7_PS2_: ; @_ZN9rocsparseL33bsr2csr_block_per_row_8_32_kernelILj1024ELj16EfllEEv20rocsparse_direction_T3_S2_21rocsparse_index_base_PKT1_PKT2_PKS2_S2_S3_PS4_PS7_PS2_
; %bb.0:
	s_load_dwordx2 s[0:1], s[4:5], 0x28
	s_load_dword s14, s[4:5], 0x40
	s_load_dwordx2 s[10:11], s[4:5], 0x50
	s_mov_b32 s12, 0
	s_mov_b32 s7, s12
	s_lshl_b64 s[2:3], s[6:7], 3
	s_waitcnt lgkmcnt(0)
	s_add_u32 s8, s0, s2
	v_or_b32_e32 v1, s6, v0
	s_addc_u32 s9, s1, s3
	v_cmp_eq_u32_e32 vcc, 0, v1
	s_and_saveexec_b64 s[0:1], vcc
	s_cbranch_execz .LBB151_2
; %bb.1:
	v_mov_b32_e32 v2, s14
	v_mov_b32_e32 v3, 0
	global_store_dwordx2 v3, v[2:3], s[10:11]
.LBB151_2:
	s_or_b64 exec, exec, s[0:1]
	s_load_dwordx2 s[2:3], s[4:5], 0x38
	v_mov_b32_e32 v3, 0
	v_and_b32_e32 v2, 15, v0
	v_bfe_u32 v6, v0, 4, 4
	v_mov_b32_e32 v7, v3
	s_waitcnt lgkmcnt(0)
	v_cmp_gt_i64_e32 vcc, s[2:3], v[6:7]
	v_cmp_gt_i64_e64 s[0:1], s[2:3], v[2:3]
	s_and_b64 s[0:1], vcc, s[0:1]
	s_and_saveexec_b64 s[16:17], s[0:1]
	s_cbranch_execz .LBB151_6
; %bb.3:
	s_load_dwordx4 s[16:19], s[8:9], 0x0
	s_load_dword s13, s[4:5], 0x18
	s_mul_i32 s7, s2, s3
	s_mul_hi_u32 s8, s2, s2
	v_lshrrev_b32_e32 v8, 8, v0
	v_mov_b32_e32 v9, v3
	s_waitcnt lgkmcnt(0)
	s_sub_u32 s15, s16, s13
	s_subb_u32 s16, s17, 0
	s_sub_u32 s0, s18, s13
	s_subb_u32 s1, s19, 0
	s_add_i32 s8, s8, s7
	s_add_i32 s9, s8, s7
	s_mul_i32 s8, s2, s2
	s_mul_i32 s7, s15, s9
	s_mul_hi_u32 s17, s15, s8
	s_add_i32 s7, s17, s7
	s_mul_i32 s17, s16, s8
	s_add_i32 s7, s7, s17
	s_sub_u32 s18, s0, s15
	s_subb_u32 s17, s1, s16
	s_mul_i32 s19, s18, s3
	s_mul_hi_u32 s21, s18, s2
	s_add_i32 s19, s21, s19
	s_mul_i32 s21, s17, s2
	s_add_i32 s22, s19, s21
	s_mul_i32 s23, s18, s2
	s_add_u32 s21, s23, s14
	s_mul_i32 s20, s15, s8
	s_addc_u32 s24, s22, 0
	s_add_u32 s20, s21, s20
	s_addc_u32 s21, s24, s7
	v_pk_mov_b32 v[0:1], s[20:21], s[20:21] op_sel:[0,1]
	v_mad_u64_u32 v[0:1], s[20:21], s23, v6, v[0:1]
	v_mov_b32_e32 v4, v1
	v_mad_u64_u32 v[4:5], s[20:21], s22, v6, v[4:5]
	s_mul_i32 s7, s6, s3
	s_mul_hi_u32 s20, s6, s2
	s_add_i32 s7, s20, s7
	s_mul_i32 s6, s6, s2
	s_lshl_b64 s[6:7], s[6:7], 3
	s_add_u32 s6, s10, s6
	v_mov_b32_e32 v1, v4
	s_addc_u32 s7, s11, s7
	v_lshlrev_b32_e32 v3, 3, v6
	global_store_dwordx2 v3, v[0:1], s[6:7] offset:8
	v_mov_b32_e32 v1, s16
	v_add_co_u32_e32 v0, vcc, s15, v8
	v_addc_co_u32_e32 v1, vcc, 0, v1, vcc
	v_cmp_gt_i64_e32 vcc, s[0:1], v[0:1]
	s_and_b64 exec, exec, vcc
	s_cbranch_execz .LBB151_6
; %bb.4:
	s_load_dwordx2 s[6:7], s[4:5], 0x30
	s_load_dwordx2 s[10:11], s[4:5], 0x48
	;; [unrolled: 1-line block ×4, first 2 shown]
	s_load_dword s24, s[4:5], 0x0
	v_mad_u64_u32 v[10:11], s[4:5], v2, s2, 0
	v_mov_b32_e32 v12, v11
	v_mad_u64_u32 v[12:13], s[4:5], v2, s3, v[12:13]
	v_mov_b32_e32 v3, s12
	v_add_co_u32_e32 v4, vcc, s14, v2
	v_mov_b32_e32 v11, v12
	v_addc_co_u32_e32 v5, vcc, 0, v3, vcc
	v_lshlrev_b64 v[10:11], 2, v[10:11]
	s_waitcnt lgkmcnt(0)
	v_mov_b32_e32 v3, s23
	v_add_co_u32_e32 v7, vcc, s22, v10
	v_addc_co_u32_e32 v10, vcc, v3, v11, vcc
	v_lshlrev_b32_e32 v11, 2, v6
	v_add_co_u32_e32 v7, vcc, v7, v11
	v_addc_co_u32_e32 v14, vcc, 0, v10, vcc
	v_mad_u64_u32 v[10:11], s[4:5], v6, s2, 0
	v_mov_b32_e32 v12, v11
	v_mad_u64_u32 v[12:13], s[4:5], v6, s3, v[12:13]
	v_mov_b32_e32 v11, v12
	v_lshlrev_b64 v[10:11], 2, v[10:11]
	v_add_co_u32_e32 v10, vcc, s22, v10
	v_addc_co_u32_e32 v3, vcc, v3, v11, vcc
	v_lshlrev_b32_e32 v13, 2, v2
	v_add_co_u32_e32 v10, vcc, v10, v13
	s_cmp_eq_u32 s24, 0
	v_addc_co_u32_e32 v3, vcc, 0, v3, vcc
	s_cselect_b64 vcc, -1, 0
	v_cndmask_b32_e32 v3, v14, v3, vcc
	v_cndmask_b32_e32 v7, v7, v10, vcc
	v_mul_lo_u32 v12, s9, v0
	v_mul_lo_u32 v14, s8, v1
	v_mad_u64_u32 v[10:11], s[4:5], s8, v0, 0
	v_add3_u32 v11, v11, v14, v12
	v_lshlrev_b64 v[10:11], 2, v[10:11]
	v_add_co_u32_e32 v10, vcc, v7, v10
	v_addc_co_u32_e32 v11, vcc, v3, v11, vcc
	s_lshl_b64 s[4:5], s[8:9], 4
	s_mul_i32 s8, s3, s15
	s_mul_i32 s9, s2, s16
	v_mov_b32_e32 v3, s15
	s_add_i32 s14, s9, s8
	v_mad_u64_u32 v[8:9], s[8:9], s2, v3, v[8:9]
	v_add_u32_e32 v9, s14, v9
	v_mad_u64_u32 v[8:9], s[8:9], s18, v6, v[8:9]
	v_mov_b32_e32 v12, v9
	v_mad_u64_u32 v[6:7], s[8:9], s17, v6, v[12:13]
	v_mul_lo_u32 v3, s3, v8
	v_mul_lo_u32 v6, s2, v6
	v_mad_u64_u32 v[8:9], s[8:9], s2, v8, 0
	v_add3_u32 v9, v9, v6, v3
	v_lshlrev_b64 v[6:7], 2, v[8:9]
	v_add_co_u32_e32 v3, vcc, v6, v13
	v_addc_co_u32_e32 v7, vcc, 0, v7, vcc
	v_mov_b32_e32 v12, s11
	v_add_co_u32_e32 v6, vcc, s10, v3
	v_addc_co_u32_e32 v7, vcc, v12, v7, vcc
	v_lshlrev_b64 v[8:9], 3, v[8:9]
	v_lshlrev_b32_e32 v2, 3, v2
	v_add_co_u32_e32 v2, vcc, v8, v2
	v_addc_co_u32_e32 v3, vcc, 0, v9, vcc
	v_mov_b32_e32 v8, s21
	v_add_co_u32_e32 v2, vcc, s20, v2
	v_addc_co_u32_e32 v3, vcc, v8, v3, vcc
	v_lshlrev_b64 v[8:9], 3, v[0:1]
	v_mov_b32_e32 v12, s7
	v_add_co_u32_e32 v8, vcc, s6, v8
	s_lshl_b64 s[8:9], s[2:3], 4
	s_lshl_b64 s[10:11], s[2:3], 5
	v_addc_co_u32_e32 v9, vcc, v12, v9, vcc
	s_mov_b64 s[6:7], 0
.LBB151_5:                              ; =>This Inner Loop Header: Depth=1
	global_load_dwordx2 v[12:13], v[8:9], off
	global_load_dword v14, v[10:11], off
	v_add_co_u32_e32 v0, vcc, 4, v0
	v_addc_co_u32_e32 v1, vcc, 0, v1, vcc
	v_add_co_u32_e32 v8, vcc, 32, v8
	v_addc_co_u32_e32 v9, vcc, 0, v9, vcc
	v_mov_b32_e32 v16, s5
	v_add_co_u32_e32 v10, vcc, s4, v10
	v_addc_co_u32_e32 v11, vcc, v11, v16, vcc
	v_cmp_le_i64_e32 vcc, s[0:1], v[0:1]
	v_mov_b32_e32 v15, s12
	s_or_b64 s[6:7], vcc, s[6:7]
	v_mov_b32_e32 v17, s9
	v_mov_b32_e32 v18, s11
	s_waitcnt vmcnt(1)
	v_subrev_co_u32_e32 v12, vcc, s13, v12
	v_subb_co_u32_e32 v13, vcc, v13, v15, vcc
	s_waitcnt vmcnt(0)
	global_store_dword v[6:7], v14, off
	v_add_co_u32_e32 v6, vcc, s8, v6
	v_mul_lo_u32 v14, v12, s3
	v_mul_lo_u32 v15, v13, s2
	v_mad_u64_u32 v[12:13], s[14:15], v12, s2, v[4:5]
	v_addc_co_u32_e32 v7, vcc, v7, v17, vcc
	v_add3_u32 v13, v15, v13, v14
	global_store_dwordx2 v[2:3], v[12:13], off
	v_add_co_u32_e32 v2, vcc, s10, v2
	v_addc_co_u32_e32 v3, vcc, v3, v18, vcc
	s_andn2_b64 exec, exec, s[6:7]
	s_cbranch_execnz .LBB151_5
.LBB151_6:
	s_endpgm
	.section	.rodata,"a",@progbits
	.p2align	6, 0x0
	.amdhsa_kernel _ZN9rocsparseL33bsr2csr_block_per_row_8_32_kernelILj1024ELj16EfllEEv20rocsparse_direction_T3_S2_21rocsparse_index_base_PKT1_PKT2_PKS2_S2_S3_PS4_PS7_PS2_
		.amdhsa_group_segment_fixed_size 0
		.amdhsa_private_segment_fixed_size 0
		.amdhsa_kernarg_size 96
		.amdhsa_user_sgpr_count 6
		.amdhsa_user_sgpr_private_segment_buffer 1
		.amdhsa_user_sgpr_dispatch_ptr 0
		.amdhsa_user_sgpr_queue_ptr 0
		.amdhsa_user_sgpr_kernarg_segment_ptr 1
		.amdhsa_user_sgpr_dispatch_id 0
		.amdhsa_user_sgpr_flat_scratch_init 0
		.amdhsa_user_sgpr_kernarg_preload_length 0
		.amdhsa_user_sgpr_kernarg_preload_offset 0
		.amdhsa_user_sgpr_private_segment_size 0
		.amdhsa_uses_dynamic_stack 0
		.amdhsa_system_sgpr_private_segment_wavefront_offset 0
		.amdhsa_system_sgpr_workgroup_id_x 1
		.amdhsa_system_sgpr_workgroup_id_y 0
		.amdhsa_system_sgpr_workgroup_id_z 0
		.amdhsa_system_sgpr_workgroup_info 0
		.amdhsa_system_vgpr_workitem_id 0
		.amdhsa_next_free_vgpr 19
		.amdhsa_next_free_sgpr 25
		.amdhsa_accum_offset 20
		.amdhsa_reserve_vcc 1
		.amdhsa_reserve_flat_scratch 0
		.amdhsa_float_round_mode_32 0
		.amdhsa_float_round_mode_16_64 0
		.amdhsa_float_denorm_mode_32 3
		.amdhsa_float_denorm_mode_16_64 3
		.amdhsa_dx10_clamp 1
		.amdhsa_ieee_mode 1
		.amdhsa_fp16_overflow 0
		.amdhsa_tg_split 0
		.amdhsa_exception_fp_ieee_invalid_op 0
		.amdhsa_exception_fp_denorm_src 0
		.amdhsa_exception_fp_ieee_div_zero 0
		.amdhsa_exception_fp_ieee_overflow 0
		.amdhsa_exception_fp_ieee_underflow 0
		.amdhsa_exception_fp_ieee_inexact 0
		.amdhsa_exception_int_div_zero 0
	.end_amdhsa_kernel
	.section	.text._ZN9rocsparseL33bsr2csr_block_per_row_8_32_kernelILj1024ELj16EfllEEv20rocsparse_direction_T3_S2_21rocsparse_index_base_PKT1_PKT2_PKS2_S2_S3_PS4_PS7_PS2_,"axG",@progbits,_ZN9rocsparseL33bsr2csr_block_per_row_8_32_kernelILj1024ELj16EfllEEv20rocsparse_direction_T3_S2_21rocsparse_index_base_PKT1_PKT2_PKS2_S2_S3_PS4_PS7_PS2_,comdat
.Lfunc_end151:
	.size	_ZN9rocsparseL33bsr2csr_block_per_row_8_32_kernelILj1024ELj16EfllEEv20rocsparse_direction_T3_S2_21rocsparse_index_base_PKT1_PKT2_PKS2_S2_S3_PS4_PS7_PS2_, .Lfunc_end151-_ZN9rocsparseL33bsr2csr_block_per_row_8_32_kernelILj1024ELj16EfllEEv20rocsparse_direction_T3_S2_21rocsparse_index_base_PKT1_PKT2_PKS2_S2_S3_PS4_PS7_PS2_
                                        ; -- End function
	.section	.AMDGPU.csdata,"",@progbits
; Kernel info:
; codeLenInByte = 932
; NumSgprs: 29
; NumVgprs: 19
; NumAgprs: 0
; TotalNumVgprs: 19
; ScratchSize: 0
; MemoryBound: 0
; FloatMode: 240
; IeeeMode: 1
; LDSByteSize: 0 bytes/workgroup (compile time only)
; SGPRBlocks: 3
; VGPRBlocks: 2
; NumSGPRsForWavesPerEU: 29
; NumVGPRsForWavesPerEU: 19
; AccumOffset: 20
; Occupancy: 8
; WaveLimiterHint : 0
; COMPUTE_PGM_RSRC2:SCRATCH_EN: 0
; COMPUTE_PGM_RSRC2:USER_SGPR: 6
; COMPUTE_PGM_RSRC2:TRAP_HANDLER: 0
; COMPUTE_PGM_RSRC2:TGID_X_EN: 1
; COMPUTE_PGM_RSRC2:TGID_Y_EN: 0
; COMPUTE_PGM_RSRC2:TGID_Z_EN: 0
; COMPUTE_PGM_RSRC2:TIDIG_COMP_CNT: 0
; COMPUTE_PGM_RSRC3_GFX90A:ACCUM_OFFSET: 4
; COMPUTE_PGM_RSRC3_GFX90A:TG_SPLIT: 0
	.section	.text._ZN9rocsparseL33bsr2csr_block_per_row_8_32_kernelILj1024ELj32EfllEEv20rocsparse_direction_T3_S2_21rocsparse_index_base_PKT1_PKT2_PKS2_S2_S3_PS4_PS7_PS2_,"axG",@progbits,_ZN9rocsparseL33bsr2csr_block_per_row_8_32_kernelILj1024ELj32EfllEEv20rocsparse_direction_T3_S2_21rocsparse_index_base_PKT1_PKT2_PKS2_S2_S3_PS4_PS7_PS2_,comdat
	.globl	_ZN9rocsparseL33bsr2csr_block_per_row_8_32_kernelILj1024ELj32EfllEEv20rocsparse_direction_T3_S2_21rocsparse_index_base_PKT1_PKT2_PKS2_S2_S3_PS4_PS7_PS2_ ; -- Begin function _ZN9rocsparseL33bsr2csr_block_per_row_8_32_kernelILj1024ELj32EfllEEv20rocsparse_direction_T3_S2_21rocsparse_index_base_PKT1_PKT2_PKS2_S2_S3_PS4_PS7_PS2_
	.p2align	8
	.type	_ZN9rocsparseL33bsr2csr_block_per_row_8_32_kernelILj1024ELj32EfllEEv20rocsparse_direction_T3_S2_21rocsparse_index_base_PKT1_PKT2_PKS2_S2_S3_PS4_PS7_PS2_,@function
_ZN9rocsparseL33bsr2csr_block_per_row_8_32_kernelILj1024ELj32EfllEEv20rocsparse_direction_T3_S2_21rocsparse_index_base_PKT1_PKT2_PKS2_S2_S3_PS4_PS7_PS2_: ; @_ZN9rocsparseL33bsr2csr_block_per_row_8_32_kernelILj1024ELj32EfllEEv20rocsparse_direction_T3_S2_21rocsparse_index_base_PKT1_PKT2_PKS2_S2_S3_PS4_PS7_PS2_
; %bb.0:
	s_load_dwordx2 s[0:1], s[4:5], 0x28
	s_load_dword s22, s[4:5], 0x40
	s_load_dwordx2 s[16:17], s[4:5], 0x50
	s_mov_b32 s9, 0
	s_mov_b32 s7, s9
	s_lshl_b64 s[2:3], s[6:7], 3
	s_waitcnt lgkmcnt(0)
	s_add_u32 s12, s0, s2
	v_or_b32_e32 v1, s6, v0
	s_addc_u32 s13, s1, s3
	v_cmp_eq_u32_e32 vcc, 0, v1
	s_and_saveexec_b64 s[0:1], vcc
	s_cbranch_execz .LBB152_2
; %bb.1:
	v_mov_b32_e32 v2, s22
	v_mov_b32_e32 v3, 0
	global_store_dwordx2 v3, v[2:3], s[16:17]
.LBB152_2:
	s_or_b64 exec, exec, s[0:1]
	s_load_dwordx2 s[10:11], s[4:5], 0x38
	v_mov_b32_e32 v3, 0
	v_and_b32_e32 v2, 31, v0
	v_lshrrev_b32_e32 v4, 5, v0
	v_mov_b32_e32 v5, v3
	s_waitcnt lgkmcnt(0)
	v_cmp_gt_i64_e32 vcc, s[10:11], v[4:5]
	v_cmp_gt_i64_e64 s[0:1], s[10:11], v[2:3]
	s_and_b64 s[0:1], vcc, s[0:1]
	s_and_saveexec_b64 s[2:3], s[0:1]
	s_cbranch_execz .LBB152_6
; %bb.3:
	s_load_dwordx4 s[0:3], s[12:13], 0x0
	s_load_dword s8, s[4:5], 0x18
	s_mul_i32 s7, s10, s11
	s_mul_hi_u32 s18, s10, s10
	v_lshlrev_b32_e32 v3, 3, v4
	s_waitcnt lgkmcnt(0)
	s_sub_u32 s12, s0, s8
	s_subb_u32 s13, s1, 0
	s_sub_u32 s14, s2, s8
	s_subb_u32 s15, s3, 0
	s_add_i32 s18, s18, s7
	s_add_i32 s19, s18, s7
	s_mul_i32 s18, s10, s10
	s_mul_i32 s7, s12, s19
	s_mul_hi_u32 s20, s12, s18
	s_add_i32 s7, s20, s7
	s_mul_i32 s20, s13, s18
	s_add_i32 s21, s7, s20
	s_sub_u32 s24, s14, s12
	s_subb_u32 s23, s15, s13
	s_mul_i32 s7, s24, s11
	s_mul_hi_u32 s25, s24, s10
	s_add_i32 s7, s25, s7
	s_mul_i32 s25, s23, s10
	s_add_i32 s7, s7, s25
	s_mul_i32 s28, s24, s10
	s_add_u32 s26, s28, s22
	s_mul_i32 s20, s12, s18
	s_addc_u32 s27, s7, 0
	s_add_u32 s26, s26, s20
	s_addc_u32 s27, s27, s21
	v_pk_mov_b32 v[0:1], s[26:27], s[26:27] op_sel:[0,1]
	v_mad_u64_u32 v[0:1], s[26:27], s28, v4, v[0:1]
	v_mov_b32_e32 v6, v1
	v_mad_u64_u32 v[6:7], s[26:27], s7, v4, v[6:7]
	s_mul_i32 s7, s6, s11
	s_mul_hi_u32 s26, s6, s10
	s_add_i32 s7, s26, s7
	s_mul_i32 s6, s6, s10
	s_lshl_b64 s[6:7], s[6:7], 3
	s_add_u32 s6, s16, s6
	v_mov_b32_e32 v1, v6
	s_addc_u32 s7, s17, s7
	global_store_dwordx2 v3, v[0:1], s[6:7] offset:8
	v_pk_mov_b32 v[0:1], s[2:3], s[2:3] op_sel:[0,1]
	v_cmp_ge_i64_e32 vcc, s[0:1], v[0:1]
	s_cbranch_vccnz .LBB152_6
; %bb.4:
	s_load_dwordx2 s[6:7], s[4:5], 0x30
	s_load_dwordx2 s[16:17], s[4:5], 0x48
	;; [unrolled: 1-line block ×4, first 2 shown]
	s_load_dword s28, s[4:5], 0x0
	v_mad_u64_u32 v[6:7], s[4:5], v2, s10, 0
	v_mov_b32_e32 v8, v7
	v_mad_u64_u32 v[8:9], s[4:5], v2, s11, v[8:9]
	v_mov_b32_e32 v1, s9
	v_add_co_u32_e32 v0, vcc, s22, v2
	v_mov_b32_e32 v7, v8
	v_addc_co_u32_e32 v1, vcc, 0, v1, vcc
	v_lshlrev_b64 v[6:7], 2, v[6:7]
	s_waitcnt lgkmcnt(0)
	v_mov_b32_e32 v3, s3
	v_add_co_u32_e32 v5, vcc, s2, v6
	v_addc_co_u32_e32 v6, vcc, v3, v7, vcc
	v_lshlrev_b32_e32 v7, 2, v4
	v_add_co_u32_e32 v5, vcc, v5, v7
	v_addc_co_u32_e32 v10, vcc, 0, v6, vcc
	v_mad_u64_u32 v[6:7], s[4:5], v4, s10, 0
	v_mov_b32_e32 v8, v7
	v_mad_u64_u32 v[8:9], s[4:5], v4, s11, v[8:9]
	v_mov_b32_e32 v7, v8
	v_lshlrev_b64 v[6:7], 2, v[6:7]
	v_add_co_u32_e32 v6, vcc, s2, v6
	v_addc_co_u32_e32 v3, vcc, v3, v7, vcc
	v_lshlrev_b32_e32 v11, 2, v2
	v_add_co_u32_e32 v6, vcc, v6, v11
	s_cmp_eq_u32 s28, 0
	v_addc_co_u32_e32 v3, vcc, 0, v3, vcc
	s_mul_i32 s4, s10, s13
	s_mul_hi_u32 s5, s10, s12
	s_cselect_b64 vcc, -1, 0
	s_add_i32 s4, s5, s4
	s_mul_i32 s5, s11, s12
	s_add_i32 s4, s4, s5
	s_mul_i32 s5, s10, s12
	v_mov_b32_e32 v8, s5
	v_mov_b32_e32 v9, s4
	v_mad_u64_u32 v[8:9], s[4:5], v4, s24, v[8:9]
	v_cndmask_b32_e32 v3, v10, v3, vcc
	v_cndmask_b32_e32 v5, v5, v6, vcc
	s_lshl_b64 s[2:3], s[20:21], 2
	v_mov_b32_e32 v10, v9
	v_mov_b32_e32 v7, s3
	v_add_co_u32_e32 v6, vcc, s2, v5
	v_mad_u64_u32 v[4:5], s[4:5], v4, s23, v[10:11]
	v_addc_co_u32_e32 v7, vcc, v3, v7, vcc
	v_mul_lo_u32 v3, s11, v8
	v_mul_lo_u32 v4, s10, v4
	v_mad_u64_u32 v[8:9], s[4:5], s10, v8, 0
	v_add3_u32 v9, v9, v4, v3
	v_lshlrev_b64 v[4:5], 2, v[8:9]
	v_add_co_u32_e32 v3, vcc, v4, v11
	v_addc_co_u32_e32 v5, vcc, 0, v5, vcc
	v_mov_b32_e32 v10, s17
	v_add_co_u32_e32 v4, vcc, s16, v3
	s_lshl_b64 s[2:3], s[18:19], 2
	v_addc_co_u32_e32 v5, vcc, v10, v5, vcc
	s_lshl_b64 s[4:5], s[10:11], 2
	v_lshlrev_b64 v[8:9], 3, v[8:9]
	v_lshlrev_b32_e32 v2, 3, v2
	s_lshl_b64 s[16:17], s[10:11], 3
	s_lshl_b64 s[0:1], s[0:1], 3
	;; [unrolled: 1-line block ×3, first 2 shown]
	v_add_co_u32_e32 v2, vcc, v8, v2
	s_sub_u32 s0, s0, s18
	v_addc_co_u32_e32 v3, vcc, 0, v9, vcc
	s_subb_u32 s1, s1, s19
	v_mov_b32_e32 v8, s27
	v_add_co_u32_e32 v2, vcc, s26, v2
	s_add_u32 s6, s6, s0
	v_addc_co_u32_e32 v3, vcc, v8, v3, vcc
	s_addc_u32 s7, s7, s1
	v_mov_b32_e32 v10, s10
	v_mov_b32_e32 v11, s3
	;; [unrolled: 1-line block ×4, first 2 shown]
	v_pk_mov_b32 v[8:9], s[14:15], s[14:15] op_sel:[0,1]
.LBB152_5:                              ; =>This Inner Loop Header: Depth=1
	global_load_dword v16, v[6:7], off
	s_load_dwordx2 s[0:1], s[6:7], 0x0
	v_add_co_u32_e32 v6, vcc, s2, v6
	v_addc_co_u32_e32 v7, vcc, v7, v11, vcc
	s_waitcnt lgkmcnt(0)
	s_sub_u32 s0, s0, s8
	s_subb_u32 s3, s1, 0
	s_mul_i32 s5, s0, s11
	s_mul_i32 s3, s3, s10
	v_mad_u64_u32 v[14:15], s[0:1], s0, v10, v[0:1]
	s_add_i32 s5, s5, s3
	v_add_u32_e32 v15, s5, v15
	s_add_u32 s12, s12, 1
	global_store_dwordx2 v[2:3], v[14:15], off
	v_add_co_u32_e32 v2, vcc, s16, v2
	s_addc_u32 s13, s13, 0
	v_addc_co_u32_e32 v3, vcc, v3, v13, vcc
	s_add_u32 s6, s6, 8
	v_cmp_lt_i64_e32 vcc, s[12:13], v[8:9]
	s_addc_u32 s7, s7, 0
	s_and_b64 vcc, exec, vcc
	s_waitcnt vmcnt(1)
	global_store_dword v[4:5], v16, off
	v_add_co_u32_e64 v4, s[0:1], s4, v4
	v_addc_co_u32_e64 v5, s[0:1], v5, v12, s[0:1]
	s_cbranch_vccnz .LBB152_5
.LBB152_6:
	s_endpgm
	.section	.rodata,"a",@progbits
	.p2align	6, 0x0
	.amdhsa_kernel _ZN9rocsparseL33bsr2csr_block_per_row_8_32_kernelILj1024ELj32EfllEEv20rocsparse_direction_T3_S2_21rocsparse_index_base_PKT1_PKT2_PKS2_S2_S3_PS4_PS7_PS2_
		.amdhsa_group_segment_fixed_size 0
		.amdhsa_private_segment_fixed_size 0
		.amdhsa_kernarg_size 96
		.amdhsa_user_sgpr_count 6
		.amdhsa_user_sgpr_private_segment_buffer 1
		.amdhsa_user_sgpr_dispatch_ptr 0
		.amdhsa_user_sgpr_queue_ptr 0
		.amdhsa_user_sgpr_kernarg_segment_ptr 1
		.amdhsa_user_sgpr_dispatch_id 0
		.amdhsa_user_sgpr_flat_scratch_init 0
		.amdhsa_user_sgpr_kernarg_preload_length 0
		.amdhsa_user_sgpr_kernarg_preload_offset 0
		.amdhsa_user_sgpr_private_segment_size 0
		.amdhsa_uses_dynamic_stack 0
		.amdhsa_system_sgpr_private_segment_wavefront_offset 0
		.amdhsa_system_sgpr_workgroup_id_x 1
		.amdhsa_system_sgpr_workgroup_id_y 0
		.amdhsa_system_sgpr_workgroup_id_z 0
		.amdhsa_system_sgpr_workgroup_info 0
		.amdhsa_system_vgpr_workitem_id 0
		.amdhsa_next_free_vgpr 17
		.amdhsa_next_free_sgpr 29
		.amdhsa_accum_offset 20
		.amdhsa_reserve_vcc 1
		.amdhsa_reserve_flat_scratch 0
		.amdhsa_float_round_mode_32 0
		.amdhsa_float_round_mode_16_64 0
		.amdhsa_float_denorm_mode_32 3
		.amdhsa_float_denorm_mode_16_64 3
		.amdhsa_dx10_clamp 1
		.amdhsa_ieee_mode 1
		.amdhsa_fp16_overflow 0
		.amdhsa_tg_split 0
		.amdhsa_exception_fp_ieee_invalid_op 0
		.amdhsa_exception_fp_denorm_src 0
		.amdhsa_exception_fp_ieee_div_zero 0
		.amdhsa_exception_fp_ieee_overflow 0
		.amdhsa_exception_fp_ieee_underflow 0
		.amdhsa_exception_fp_ieee_inexact 0
		.amdhsa_exception_int_div_zero 0
	.end_amdhsa_kernel
	.section	.text._ZN9rocsparseL33bsr2csr_block_per_row_8_32_kernelILj1024ELj32EfllEEv20rocsparse_direction_T3_S2_21rocsparse_index_base_PKT1_PKT2_PKS2_S2_S3_PS4_PS7_PS2_,"axG",@progbits,_ZN9rocsparseL33bsr2csr_block_per_row_8_32_kernelILj1024ELj32EfllEEv20rocsparse_direction_T3_S2_21rocsparse_index_base_PKT1_PKT2_PKS2_S2_S3_PS4_PS7_PS2_,comdat
.Lfunc_end152:
	.size	_ZN9rocsparseL33bsr2csr_block_per_row_8_32_kernelILj1024ELj32EfllEEv20rocsparse_direction_T3_S2_21rocsparse_index_base_PKT1_PKT2_PKS2_S2_S3_PS4_PS7_PS2_, .Lfunc_end152-_ZN9rocsparseL33bsr2csr_block_per_row_8_32_kernelILj1024ELj32EfllEEv20rocsparse_direction_T3_S2_21rocsparse_index_base_PKT1_PKT2_PKS2_S2_S3_PS4_PS7_PS2_
                                        ; -- End function
	.section	.AMDGPU.csdata,"",@progbits
; Kernel info:
; codeLenInByte = 888
; NumSgprs: 33
; NumVgprs: 17
; NumAgprs: 0
; TotalNumVgprs: 17
; ScratchSize: 0
; MemoryBound: 0
; FloatMode: 240
; IeeeMode: 1
; LDSByteSize: 0 bytes/workgroup (compile time only)
; SGPRBlocks: 4
; VGPRBlocks: 2
; NumSGPRsForWavesPerEU: 33
; NumVGPRsForWavesPerEU: 17
; AccumOffset: 20
; Occupancy: 8
; WaveLimiterHint : 0
; COMPUTE_PGM_RSRC2:SCRATCH_EN: 0
; COMPUTE_PGM_RSRC2:USER_SGPR: 6
; COMPUTE_PGM_RSRC2:TRAP_HANDLER: 0
; COMPUTE_PGM_RSRC2:TGID_X_EN: 1
; COMPUTE_PGM_RSRC2:TGID_Y_EN: 0
; COMPUTE_PGM_RSRC2:TGID_Z_EN: 0
; COMPUTE_PGM_RSRC2:TIDIG_COMP_CNT: 0
; COMPUTE_PGM_RSRC3_GFX90A:ACCUM_OFFSET: 4
; COMPUTE_PGM_RSRC3_GFX90A:TG_SPLIT: 0
	.section	.text._ZN9rocsparseL35bsr2csr_block_per_row_33_256_kernelILj1024ELj64ELj32EfllEEv20rocsparse_direction_T4_S2_21rocsparse_index_base_PKT2_PKT3_PKS2_S2_S3_PS4_PS7_PS2_,"axG",@progbits,_ZN9rocsparseL35bsr2csr_block_per_row_33_256_kernelILj1024ELj64ELj32EfllEEv20rocsparse_direction_T4_S2_21rocsparse_index_base_PKT2_PKT3_PKS2_S2_S3_PS4_PS7_PS2_,comdat
	.globl	_ZN9rocsparseL35bsr2csr_block_per_row_33_256_kernelILj1024ELj64ELj32EfllEEv20rocsparse_direction_T4_S2_21rocsparse_index_base_PKT2_PKT3_PKS2_S2_S3_PS4_PS7_PS2_ ; -- Begin function _ZN9rocsparseL35bsr2csr_block_per_row_33_256_kernelILj1024ELj64ELj32EfllEEv20rocsparse_direction_T4_S2_21rocsparse_index_base_PKT2_PKT3_PKS2_S2_S3_PS4_PS7_PS2_
	.p2align	8
	.type	_ZN9rocsparseL35bsr2csr_block_per_row_33_256_kernelILj1024ELj64ELj32EfllEEv20rocsparse_direction_T4_S2_21rocsparse_index_base_PKT2_PKT3_PKS2_S2_S3_PS4_PS7_PS2_,@function
_ZN9rocsparseL35bsr2csr_block_per_row_33_256_kernelILj1024ELj64ELj32EfllEEv20rocsparse_direction_T4_S2_21rocsparse_index_base_PKT2_PKT3_PKS2_S2_S3_PS4_PS7_PS2_: ; @_ZN9rocsparseL35bsr2csr_block_per_row_33_256_kernelILj1024ELj64ELj32EfllEEv20rocsparse_direction_T4_S2_21rocsparse_index_base_PKT2_PKT3_PKS2_S2_S3_PS4_PS7_PS2_
; %bb.0:
	s_load_dwordx2 s[2:3], s[4:5], 0x28
	s_load_dword s12, s[4:5], 0x40
	s_load_dwordx2 s[0:1], s[4:5], 0x50
	s_mov_b32 s15, 0
	s_mov_b32 s7, s15
	s_lshl_b64 s[8:9], s[6:7], 3
	s_waitcnt lgkmcnt(0)
	s_add_u32 s2, s2, s8
	s_addc_u32 s3, s3, s9
	s_load_dwordx4 s[8:11], s[2:3], 0x0
	v_or_b32_e32 v1, s6, v0
	v_cmp_eq_u32_e32 vcc, 0, v1
	s_and_saveexec_b64 s[2:3], vcc
	s_cbranch_execz .LBB153_2
; %bb.1:
	s_mov_b32 s13, s15
	v_mov_b32_e32 v1, 0
	v_pk_mov_b32 v[2:3], s[12:13], s[12:13] op_sel:[0,1]
	global_store_dwordx2 v1, v[2:3], s[0:1]
.LBB153_2:
	s_or_b64 exec, exec, s[2:3]
	s_load_dword s14, s[4:5], 0x18
	s_load_dwordx2 s[16:17], s[4:5], 0x38
	v_mov_b32_e32 v13, 0
	v_lshrrev_b32_e32 v12, 5, v0
	v_lshlrev_b32_e32 v1, 3, v12
	s_waitcnt lgkmcnt(0)
	s_sub_u32 s18, s8, s14
	s_subb_u32 s19, s9, 0
	s_mul_i32 s2, s18, s17
	s_sub_u32 s20, s10, s14
	s_mul_hi_u32 s3, s18, s16
	s_subb_u32 s21, s11, 0
	s_add_i32 s2, s3, s2
	s_mul_i32 s3, s19, s16
	s_mul_i32 s30, s18, s16
	s_add_i32 s31, s2, s3
	s_mul_i32 s2, s30, s17
	s_mul_hi_u32 s3, s30, s16
	s_add_i32 s2, s3, s2
	s_mul_i32 s3, s31, s16
	s_add_i32 s2, s2, s3
	s_sub_u32 s33, s20, s18
	s_subb_u32 s13, s21, s19
	s_mul_i32 s7, s33, s17
	s_mul_hi_u32 s22, s33, s16
	s_add_i32 s7, s22, s7
	s_mul_i32 s22, s13, s16
	s_mul_i32 s3, s30, s16
	s_add_i32 s26, s7, s22
	s_add_u32 s3, s3, s12
	s_mul_i32 s27, s33, s16
	s_addc_u32 s2, s2, 0
	s_add_u32 s22, s3, s27
	s_addc_u32 s23, s2, s26
	s_mul_i32 s2, s6, s17
	s_mul_hi_u32 s3, s6, s16
	s_add_i32 s3, s3, s2
	s_mul_i32 s2, s6, s16
	s_lshl_b64 s[2:3], s[2:3], 3
	s_add_u32 s0, s0, s2
	s_addc_u32 s1, s1, s3
	v_cmp_gt_i64_e64 s[2:3], s[16:17], v[12:13]
	s_and_saveexec_b64 s[6:7], s[2:3]
	s_cbranch_execz .LBB153_4
; %bb.3:
	v_pk_mov_b32 v[2:3], s[22:23], s[22:23] op_sel:[0,1]
	v_mad_u64_u32 v[2:3], s[24:25], v12, s27, v[2:3]
	v_mov_b32_e32 v4, v3
	v_mad_u64_u32 v[4:5], s[24:25], v12, s26, v[4:5]
	v_mov_b32_e32 v3, v4
	global_store_dwordx2 v1, v[2:3], s[0:1] offset:8
.LBB153_4:
	s_or_b64 exec, exec, s[6:7]
	v_or_b32_e32 v2, 32, v12
	v_mov_b32_e32 v3, v13
	v_cmp_gt_i64_e64 s[6:7], s[16:17], v[2:3]
	s_and_saveexec_b64 s[24:25], s[6:7]
	s_cbranch_execz .LBB153_6
; %bb.5:
	v_pk_mov_b32 v[4:5], s[22:23], s[22:23] op_sel:[0,1]
	v_mad_u64_u32 v[4:5], s[22:23], v2, s27, v[4:5]
	v_mov_b32_e32 v6, v5
	s_add_u32 s0, s0, 8
	v_mad_u64_u32 v[2:3], s[22:23], v2, s26, v[6:7]
	s_addc_u32 s1, s1, 0
	v_mov_b32_e32 v5, v2
	global_store_dwordx2 v1, v[4:5], s[0:1] offset:256
.LBB153_6:
	s_or_b64 exec, exec, s[24:25]
	v_pk_mov_b32 v[2:3], s[10:11], s[10:11] op_sel:[0,1]
	v_cmp_lt_i64_e32 vcc, s[8:9], v[2:3]
	s_cbranch_vccz .LBB153_17
; %bb.7:
	s_load_dwordx2 s[28:29], s[4:5], 0x30
	s_load_dwordx2 s[34:35], s[4:5], 0x48
	s_load_dword s0, s[4:5], 0x0
	s_load_dwordx2 s[22:23], s[4:5], 0x20
	s_load_dwordx2 s[36:37], s[4:5], 0x58
	v_and_b32_e32 v0, 31, v0
	v_mov_b32_e32 v1, 0
	s_waitcnt lgkmcnt(0)
	s_cmp_eq_u32 s0, 0
	s_cselect_b64 s[0:1], -1, 0
	v_cmp_gt_i64_e32 vcc, s[16:17], v[0:1]
	v_or_b32_e32 v2, 32, v0
	v_mov_b32_e32 v3, v1
	s_lshl_b64 s[38:39], s[30:31], 2
	v_lshlrev_b32_e32 v10, 2, v12
	s_and_b64 s[24:25], s[2:3], vcc
	v_cmp_gt_i64_e64 s[4:5], s[16:17], v[2:3]
	s_and_b64 s[26:27], s[6:7], vcc
	v_mov_b32_e32 v3, s39
	v_add_co_u32_e32 v6, vcc, s38, v10
	v_addc_co_u32_e32 v7, vcc, 0, v3, vcc
	s_movk_i32 s39, 0x80
	v_add_co_u32_e32 v4, vcc, s39, v6
	v_addc_co_u32_e32 v5, vcc, 0, v7, vcc
	v_lshlrev_b32_e32 v16, 2, v0
	v_mov_b32_e32 v17, v1
	s_and_b64 s[2:3], s[2:3], s[4:5]
	s_and_b64 s[4:5], s[6:7], s[4:5]
	v_mov_b32_e32 v11, v1
	v_mul_lo_u32 v1, s16, v5
	v_mul_lo_u32 v8, s17, v4
	v_mad_u64_u32 v[4:5], s[6:7], s16, v4, v[16:17]
	v_add3_u32 v5, v8, v5, v1
	v_mul_lo_u32 v1, s16, v7
	v_mul_lo_u32 v8, s17, v6
	v_mad_u64_u32 v[6:7], s[40:41], s16, v6, v[16:17]
	v_add3_u32 v7, v8, v7, v1
	v_add_co_u32_e32 v1, vcc, s38, v16
	v_addc_co_u32_e32 v3, vcc, 0, v3, vcc
	v_add_co_u32_e32 v8, vcc, s39, v1
	v_addc_co_u32_e32 v9, vcc, 0, v3, vcc
	v_mul_lo_u32 v13, s16, v9
	v_mul_lo_u32 v14, s17, v8
	v_mad_u64_u32 v[8:9], s[38:39], s16, v8, v[10:11]
	v_add3_u32 v9, v14, v9, v13
	v_pk_mov_b32 v[14:15], s[30:31], s[30:31] op_sel:[0,1]
	v_mad_u64_u32 v[14:15], s[30:31], v12, s33, v[14:15]
	v_mul_lo_u32 v3, s16, v3
	v_mul_lo_u32 v13, s17, v1
	v_mad_u64_u32 v[10:11], s[38:39], s16, v1, v[10:11]
	v_mov_b32_e32 v18, v15
	s_mul_i32 s6, s16, s17
	s_mul_hi_u32 s7, s16, s16
	v_add3_u32 v11, v13, v11, v3
	v_mad_u64_u32 v[12:13], s[30:31], v12, s13, v[18:19]
	s_add_i32 s7, s7, s6
	v_mov_b32_e32 v3, v12
	v_mul_lo_u32 v1, s17, v14
	v_mul_lo_u32 v12, s16, v12
	v_mad_u64_u32 v[20:21], s[30:31], s16, v14, 0
	s_add_i32 s7, s7, s6
	s_mul_i32 s6, s16, s16
	v_add3_u32 v21, v21, v12, v1
	s_lshl_b64 s[6:7], s[6:7], 2
	s_lshl_b64 s[38:39], s[8:9], 3
	;; [unrolled: 1-line block ×3, first 2 shown]
	v_lshlrev_b64 v[18:19], 3, v[20:21]
	s_movk_i32 s13, 0x100
	s_sub_u32 s15, s38, s40
	v_add_co_u32_e32 v13, vcc, s13, v18
	s_subb_u32 s38, s39, s41
	v_addc_co_u32_e32 v17, vcc, 0, v19, vcc
	v_lshlrev_b32_e32 v1, 3, v0
	s_add_u32 s28, s28, s15
	v_mov_b32_e32 v15, s37
	v_add_co_u32_e32 v12, vcc, s36, v1
	s_addc_u32 s29, s29, s38
	v_addc_co_u32_e32 v1, vcc, 0, v15, vcc
	s_lshl_b64 s[10:11], s[10:11], 5
	v_mov_b32_e32 v15, s11
	v_add_co_u32_e32 v14, vcc, s10, v14
	v_addc_co_u32_e32 v3, vcc, v3, v15, vcc
	s_lshl_b64 s[8:9], s[8:9], 5
	v_mov_b32_e32 v15, s9
	v_subrev_co_u32_e32 v14, vcc, s8, v14
	v_subb_co_u32_e32 v3, vcc, v3, v15, vcc
	v_mul_lo_u32 v15, s17, v14
	v_mul_lo_u32 v3, s16, v3
	v_mad_u64_u32 v[18:19], s[8:9], s16, v14, 0
	v_add3_u32 v19, v19, v3, v15
	v_mov_b32_e32 v3, s35
	v_add_co_u32_e32 v16, vcc, s34, v16
	v_addc_co_u32_e32 v3, vcc, 0, v3, vcc
	v_lshlrev_b64 v[20:21], 2, v[20:21]
	v_add_co_u32_e32 v20, vcc, 0x80, v20
	s_lshl_b64 s[30:31], s[16:17], 3
	v_lshlrev_b64 v[14:15], 2, v[18:19]
	s_lshl_b64 s[8:9], s[16:17], 2
	v_lshlrev_b64 v[18:19], 3, v[18:19]
	v_addc_co_u32_e32 v21, vcc, 0, v21, vcc
	s_branch .LBB153_9
.LBB153_8:                              ;   in Loop: Header=BB153_9 Depth=1
	s_or_b64 exec, exec, s[10:11]
	s_add_u32 s18, s18, 1
	v_mov_b32_e32 v22, s31
	v_add_co_u32_e32 v12, vcc, s30, v12
	s_addc_u32 s19, s19, 0
	v_addc_co_u32_e32 v1, vcc, v1, v22, vcc
	s_add_u32 s22, s22, s6
	v_mov_b32_e32 v22, s9
	v_add_co_u32_e32 v16, vcc, s8, v16
	s_addc_u32 s23, s23, s7
	v_addc_co_u32_e32 v3, vcc, v3, v22, vcc
	v_pk_mov_b32 v[22:23], s[20:21], s[20:21] op_sel:[0,1]
	s_add_u32 s28, s28, 8
	v_cmp_ge_i64_e32 vcc, s[18:19], v[22:23]
	s_addc_u32 s29, s29, 0
	s_cbranch_vccnz .LBB153_17
.LBB153_9:                              ; =>This Inner Loop Header: Depth=1
	s_load_dwordx2 s[10:11], s[28:29], 0x0
	s_waitcnt lgkmcnt(0)
	s_sub_u32 s10, s10, s14
	s_subb_u32 s11, s11, 0
	s_mul_i32 s13, s10, s17
	s_mul_hi_u32 s15, s10, s16
	s_add_i32 s13, s15, s13
	s_mul_i32 s11, s11, s16
	s_add_i32 s11, s13, s11
	s_mul_i32 s10, s10, s16
	s_add_u32 s13, s10, s12
	s_addc_u32 s15, s11, 0
	s_and_saveexec_b64 s[10:11], s[24:25]
	s_cbranch_execnz .LBB153_13
; %bb.10:                               ;   in Loop: Header=BB153_9 Depth=1
	s_or_b64 exec, exec, s[10:11]
	s_and_saveexec_b64 s[10:11], s[2:3]
	s_cbranch_execnz .LBB153_14
.LBB153_11:                             ;   in Loop: Header=BB153_9 Depth=1
	s_or_b64 exec, exec, s[10:11]
	s_and_saveexec_b64 s[10:11], s[26:27]
	s_cbranch_execnz .LBB153_15
.LBB153_12:                             ;   in Loop: Header=BB153_9 Depth=1
	s_or_b64 exec, exec, s[10:11]
	s_and_saveexec_b64 s[10:11], s[4:5]
	s_cbranch_execz .LBB153_8
	s_branch .LBB153_16
.LBB153_13:                             ;   in Loop: Header=BB153_9 Depth=1
	v_cndmask_b32_e64 v22, v10, v6, s[0:1]
	v_cndmask_b32_e64 v23, v11, v7, s[0:1]
	v_mov_b32_e32 v24, s23
	v_add_co_u32_e32 v22, vcc, s22, v22
	v_addc_co_u32_e32 v23, vcc, v24, v23, vcc
	global_load_dword v26, v[22:23], off
	v_mov_b32_e32 v23, s15
	v_add_co_u32_e32 v22, vcc, s13, v0
	v_addc_co_u32_e32 v23, vcc, 0, v23, vcc
	v_add_co_u32_e32 v24, vcc, v12, v13
	v_addc_co_u32_e32 v25, vcc, v1, v17, vcc
	global_store_dwordx2 v[24:25], v[22:23], off offset:-256
	v_add_co_u32_e32 v22, vcc, v16, v20
	v_addc_co_u32_e32 v23, vcc, v3, v21, vcc
	s_waitcnt vmcnt(1)
	global_store_dword v[22:23], v26, off offset:-128
	s_or_b64 exec, exec, s[10:11]
	s_and_saveexec_b64 s[10:11], s[2:3]
	s_cbranch_execz .LBB153_11
.LBB153_14:                             ;   in Loop: Header=BB153_9 Depth=1
	v_mov_b32_e32 v22, s23
	v_add_co_u32_e32 v23, vcc, s22, v6
	v_addc_co_u32_e32 v24, vcc, v22, v7, vcc
	v_add_co_u32_e32 v25, vcc, 0x80, v23
	v_addc_co_u32_e32 v23, vcc, 0, v24, vcc
	;; [unrolled: 2-line block ×3, first 2 shown]
	v_cndmask_b32_e64 v23, v22, v23, s[0:1]
	v_cndmask_b32_e64 v22, v24, v25, s[0:1]
	global_load_dword v26, v[22:23], off
	v_mov_b32_e32 v23, s15
	v_add_co_u32_e32 v22, vcc, s13, v2
	v_addc_co_u32_e32 v23, vcc, 0, v23, vcc
	v_add_co_u32_e32 v24, vcc, v12, v13
	v_addc_co_u32_e32 v25, vcc, v1, v17, vcc
	global_store_dwordx2 v[24:25], v[22:23], off
	v_add_co_u32_e32 v22, vcc, v16, v20
	v_addc_co_u32_e32 v23, vcc, v3, v21, vcc
	s_waitcnt vmcnt(1)
	global_store_dword v[22:23], v26, off
	s_or_b64 exec, exec, s[10:11]
	s_and_saveexec_b64 s[10:11], s[26:27]
	s_cbranch_execz .LBB153_12
.LBB153_15:                             ;   in Loop: Header=BB153_9 Depth=1
	v_mov_b32_e32 v22, s23
	v_add_co_u32_e32 v24, vcc, s22, v4
	v_addc_co_u32_e32 v23, vcc, v22, v5, vcc
	v_add_co_u32_e32 v25, vcc, s22, v10
	v_addc_co_u32_e32 v22, vcc, v22, v11, vcc
	;; [unrolled: 2-line block ×3, first 2 shown]
	v_cndmask_b32_e64 v23, v22, v23, s[0:1]
	v_cndmask_b32_e64 v22, v25, v24, s[0:1]
	global_load_dword v26, v[22:23], off
	v_mov_b32_e32 v23, s15
	v_add_co_u32_e32 v22, vcc, s13, v0
	v_addc_co_u32_e32 v23, vcc, 0, v23, vcc
	v_add_co_u32_e32 v24, vcc, v12, v18
	v_addc_co_u32_e32 v25, vcc, v1, v19, vcc
	global_store_dwordx2 v[24:25], v[22:23], off
	v_add_co_u32_e32 v22, vcc, v16, v14
	v_addc_co_u32_e32 v23, vcc, v3, v15, vcc
	s_waitcnt vmcnt(1)
	global_store_dword v[22:23], v26, off
	s_or_b64 exec, exec, s[10:11]
	s_and_saveexec_b64 s[10:11], s[4:5]
	s_cbranch_execz .LBB153_8
.LBB153_16:                             ;   in Loop: Header=BB153_9 Depth=1
	v_cndmask_b32_e64 v22, v8, v4, s[0:1]
	v_cndmask_b32_e64 v23, v9, v5, s[0:1]
	v_mov_b32_e32 v24, s23
	v_add_co_u32_e32 v22, vcc, s22, v22
	v_addc_co_u32_e32 v23, vcc, v24, v23, vcc
	global_load_dword v26, v[22:23], off offset:128
	v_mov_b32_e32 v23, s15
	v_add_co_u32_e32 v22, vcc, s13, v2
	v_addc_co_u32_e32 v23, vcc, 0, v23, vcc
	v_add_co_u32_e32 v24, vcc, v12, v18
	v_addc_co_u32_e32 v25, vcc, v1, v19, vcc
	global_store_dwordx2 v[24:25], v[22:23], off offset:256
	v_add_co_u32_e32 v22, vcc, v16, v14
	v_addc_co_u32_e32 v23, vcc, v3, v15, vcc
	s_waitcnt vmcnt(1)
	global_store_dword v[22:23], v26, off offset:128
	s_branch .LBB153_8
.LBB153_17:
	s_endpgm
	.section	.rodata,"a",@progbits
	.p2align	6, 0x0
	.amdhsa_kernel _ZN9rocsparseL35bsr2csr_block_per_row_33_256_kernelILj1024ELj64ELj32EfllEEv20rocsparse_direction_T4_S2_21rocsparse_index_base_PKT2_PKT3_PKS2_S2_S3_PS4_PS7_PS2_
		.amdhsa_group_segment_fixed_size 0
		.amdhsa_private_segment_fixed_size 0
		.amdhsa_kernarg_size 96
		.amdhsa_user_sgpr_count 6
		.amdhsa_user_sgpr_private_segment_buffer 1
		.amdhsa_user_sgpr_dispatch_ptr 0
		.amdhsa_user_sgpr_queue_ptr 0
		.amdhsa_user_sgpr_kernarg_segment_ptr 1
		.amdhsa_user_sgpr_dispatch_id 0
		.amdhsa_user_sgpr_flat_scratch_init 0
		.amdhsa_user_sgpr_kernarg_preload_length 0
		.amdhsa_user_sgpr_kernarg_preload_offset 0
		.amdhsa_user_sgpr_private_segment_size 0
		.amdhsa_uses_dynamic_stack 0
		.amdhsa_system_sgpr_private_segment_wavefront_offset 0
		.amdhsa_system_sgpr_workgroup_id_x 1
		.amdhsa_system_sgpr_workgroup_id_y 0
		.amdhsa_system_sgpr_workgroup_id_z 0
		.amdhsa_system_sgpr_workgroup_info 0
		.amdhsa_system_vgpr_workitem_id 0
		.amdhsa_next_free_vgpr 27
		.amdhsa_next_free_sgpr 42
		.amdhsa_accum_offset 28
		.amdhsa_reserve_vcc 1
		.amdhsa_reserve_flat_scratch 0
		.amdhsa_float_round_mode_32 0
		.amdhsa_float_round_mode_16_64 0
		.amdhsa_float_denorm_mode_32 3
		.amdhsa_float_denorm_mode_16_64 3
		.amdhsa_dx10_clamp 1
		.amdhsa_ieee_mode 1
		.amdhsa_fp16_overflow 0
		.amdhsa_tg_split 0
		.amdhsa_exception_fp_ieee_invalid_op 0
		.amdhsa_exception_fp_denorm_src 0
		.amdhsa_exception_fp_ieee_div_zero 0
		.amdhsa_exception_fp_ieee_overflow 0
		.amdhsa_exception_fp_ieee_underflow 0
		.amdhsa_exception_fp_ieee_inexact 0
		.amdhsa_exception_int_div_zero 0
	.end_amdhsa_kernel
	.section	.text._ZN9rocsparseL35bsr2csr_block_per_row_33_256_kernelILj1024ELj64ELj32EfllEEv20rocsparse_direction_T4_S2_21rocsparse_index_base_PKT2_PKT3_PKS2_S2_S3_PS4_PS7_PS2_,"axG",@progbits,_ZN9rocsparseL35bsr2csr_block_per_row_33_256_kernelILj1024ELj64ELj32EfllEEv20rocsparse_direction_T4_S2_21rocsparse_index_base_PKT2_PKT3_PKS2_S2_S3_PS4_PS7_PS2_,comdat
.Lfunc_end153:
	.size	_ZN9rocsparseL35bsr2csr_block_per_row_33_256_kernelILj1024ELj64ELj32EfllEEv20rocsparse_direction_T4_S2_21rocsparse_index_base_PKT2_PKT3_PKS2_S2_S3_PS4_PS7_PS2_, .Lfunc_end153-_ZN9rocsparseL35bsr2csr_block_per_row_33_256_kernelILj1024ELj64ELj32EfllEEv20rocsparse_direction_T4_S2_21rocsparse_index_base_PKT2_PKT3_PKS2_S2_S3_PS4_PS7_PS2_
                                        ; -- End function
	.section	.AMDGPU.csdata,"",@progbits
; Kernel info:
; codeLenInByte = 1568
; NumSgprs: 46
; NumVgprs: 27
; NumAgprs: 0
; TotalNumVgprs: 27
; ScratchSize: 0
; MemoryBound: 0
; FloatMode: 240
; IeeeMode: 1
; LDSByteSize: 0 bytes/workgroup (compile time only)
; SGPRBlocks: 5
; VGPRBlocks: 3
; NumSGPRsForWavesPerEU: 46
; NumVGPRsForWavesPerEU: 27
; AccumOffset: 28
; Occupancy: 8
; WaveLimiterHint : 1
; COMPUTE_PGM_RSRC2:SCRATCH_EN: 0
; COMPUTE_PGM_RSRC2:USER_SGPR: 6
; COMPUTE_PGM_RSRC2:TRAP_HANDLER: 0
; COMPUTE_PGM_RSRC2:TGID_X_EN: 1
; COMPUTE_PGM_RSRC2:TGID_Y_EN: 0
; COMPUTE_PGM_RSRC2:TGID_Z_EN: 0
; COMPUTE_PGM_RSRC2:TIDIG_COMP_CNT: 0
; COMPUTE_PGM_RSRC3_GFX90A:ACCUM_OFFSET: 6
; COMPUTE_PGM_RSRC3_GFX90A:TG_SPLIT: 0
	.section	.text._ZN9rocsparseL35bsr2csr_block_per_row_33_256_kernelILj1024ELj128ELj32EfllEEv20rocsparse_direction_T4_S2_21rocsparse_index_base_PKT2_PKT3_PKS2_S2_S3_PS4_PS7_PS2_,"axG",@progbits,_ZN9rocsparseL35bsr2csr_block_per_row_33_256_kernelILj1024ELj128ELj32EfllEEv20rocsparse_direction_T4_S2_21rocsparse_index_base_PKT2_PKT3_PKS2_S2_S3_PS4_PS7_PS2_,comdat
	.globl	_ZN9rocsparseL35bsr2csr_block_per_row_33_256_kernelILj1024ELj128ELj32EfllEEv20rocsparse_direction_T4_S2_21rocsparse_index_base_PKT2_PKT3_PKS2_S2_S3_PS4_PS7_PS2_ ; -- Begin function _ZN9rocsparseL35bsr2csr_block_per_row_33_256_kernelILj1024ELj128ELj32EfllEEv20rocsparse_direction_T4_S2_21rocsparse_index_base_PKT2_PKT3_PKS2_S2_S3_PS4_PS7_PS2_
	.p2align	8
	.type	_ZN9rocsparseL35bsr2csr_block_per_row_33_256_kernelILj1024ELj128ELj32EfllEEv20rocsparse_direction_T4_S2_21rocsparse_index_base_PKT2_PKT3_PKS2_S2_S3_PS4_PS7_PS2_,@function
_ZN9rocsparseL35bsr2csr_block_per_row_33_256_kernelILj1024ELj128ELj32EfllEEv20rocsparse_direction_T4_S2_21rocsparse_index_base_PKT2_PKT3_PKS2_S2_S3_PS4_PS7_PS2_: ; @_ZN9rocsparseL35bsr2csr_block_per_row_33_256_kernelILj1024ELj128ELj32EfllEEv20rocsparse_direction_T4_S2_21rocsparse_index_base_PKT2_PKT3_PKS2_S2_S3_PS4_PS7_PS2_
; %bb.0:
	s_load_dwordx2 s[2:3], s[4:5], 0x28
	s_load_dword s20, s[4:5], 0x40
	s_load_dwordx2 s[0:1], s[4:5], 0x50
	s_mov_b32 s23, 0
	s_mov_b32 s7, s23
	s_lshl_b64 s[8:9], s[6:7], 3
	s_waitcnt lgkmcnt(0)
	s_add_u32 s2, s2, s8
	s_addc_u32 s3, s3, s9
	s_load_dwordx4 s[16:19], s[2:3], 0x0
	v_or_b32_e32 v1, s6, v0
	v_cmp_eq_u32_e32 vcc, 0, v1
	s_and_saveexec_b64 s[2:3], vcc
	s_cbranch_execz .LBB154_2
; %bb.1:
	s_mov_b32 s21, s23
	v_mov_b32_e32 v1, 0
	v_pk_mov_b32 v[2:3], s[20:21], s[20:21] op_sel:[0,1]
	global_store_dwordx2 v1, v[2:3], s[0:1]
.LBB154_2:
	s_or_b64 exec, exec, s[2:3]
	s_load_dword s22, s[4:5], 0x18
	s_load_dwordx2 s[24:25], s[4:5], 0x38
	v_mov_b32_e32 v27, 0
	v_lshrrev_b32_e32 v26, 5, v0
	v_lshlrev_b32_e32 v1, 3, v26
	s_waitcnt lgkmcnt(0)
	s_sub_u32 s26, s16, s22
	s_subb_u32 s27, s17, 0
	s_mul_i32 s2, s26, s25
	s_sub_u32 s28, s18, s22
	s_mul_hi_u32 s3, s26, s24
	s_subb_u32 s29, s19, 0
	s_add_i32 s2, s3, s2
	s_mul_i32 s3, s27, s24
	s_mul_i32 s56, s26, s24
	s_add_i32 s57, s2, s3
	s_mul_i32 s2, s56, s25
	s_mul_hi_u32 s3, s56, s24
	s_add_i32 s2, s3, s2
	s_mul_i32 s3, s57, s24
	s_add_i32 s2, s2, s3
	s_sub_u32 s33, s28, s26
	s_subb_u32 s21, s29, s27
	s_mul_i32 s7, s33, s25
	s_mul_hi_u32 s8, s33, s24
	s_add_i32 s7, s8, s7
	s_mul_i32 s8, s21, s24
	s_mul_i32 s3, s56, s24
	s_add_i32 s30, s7, s8
	s_add_u32 s3, s3, s20
	s_mul_i32 s31, s33, s24
	s_addc_u32 s2, s2, 0
	s_add_u32 s12, s3, s31
	s_addc_u32 s13, s2, s30
	s_mul_i32 s2, s6, s25
	s_mul_hi_u32 s3, s6, s24
	s_add_i32 s3, s3, s2
	s_mul_i32 s2, s6, s24
	s_lshl_b64 s[2:3], s[2:3], 3
	s_add_u32 s0, s0, s2
	s_addc_u32 s1, s1, s3
	v_cmp_gt_i64_e64 s[2:3], s[24:25], v[26:27]
	s_and_saveexec_b64 s[6:7], s[2:3]
	s_cbranch_execz .LBB154_4
; %bb.3:
	v_pk_mov_b32 v[2:3], s[12:13], s[12:13] op_sel:[0,1]
	v_mad_u64_u32 v[2:3], s[8:9], v26, s31, v[2:3]
	v_mov_b32_e32 v4, v3
	v_mad_u64_u32 v[4:5], s[8:9], v26, s30, v[4:5]
	v_mov_b32_e32 v3, v4
	global_store_dwordx2 v1, v[2:3], s[0:1] offset:8
.LBB154_4:
	s_or_b64 exec, exec, s[6:7]
	s_add_u32 s0, s0, 8
	v_or_b32_e32 v2, 32, v26
	v_mov_b32_e32 v3, v27
	s_addc_u32 s1, s1, 0
	v_cmp_gt_i64_e64 s[6:7], s[24:25], v[2:3]
	s_and_saveexec_b64 s[8:9], s[6:7]
	s_cbranch_execz .LBB154_6
; %bb.5:
	v_pk_mov_b32 v[4:5], s[12:13], s[12:13] op_sel:[0,1]
	v_mad_u64_u32 v[4:5], s[10:11], v2, s31, v[4:5]
	v_mov_b32_e32 v6, v5
	v_mad_u64_u32 v[2:3], s[10:11], v2, s30, v[6:7]
	v_mov_b32_e32 v5, v2
	global_store_dwordx2 v1, v[4:5], s[0:1] offset:256
.LBB154_6:
	s_or_b64 exec, exec, s[8:9]
	v_or_b32_e32 v2, 64, v26
	v_mov_b32_e32 v3, v27
	v_cmp_gt_i64_e64 s[8:9], s[24:25], v[2:3]
	s_and_saveexec_b64 s[10:11], s[8:9]
	s_cbranch_execz .LBB154_8
; %bb.7:
	v_pk_mov_b32 v[4:5], s[12:13], s[12:13] op_sel:[0,1]
	v_mad_u64_u32 v[4:5], s[14:15], v2, s31, v[4:5]
	v_mov_b32_e32 v6, v5
	v_mad_u64_u32 v[2:3], s[14:15], v2, s30, v[6:7]
	v_mov_b32_e32 v5, v2
	global_store_dwordx2 v1, v[4:5], s[0:1] offset:512
.LBB154_8:
	s_or_b64 exec, exec, s[10:11]
	v_or_b32_e32 v2, 0x60, v26
	v_mov_b32_e32 v3, v27
	v_cmp_gt_i64_e64 s[10:11], s[24:25], v[2:3]
	s_and_saveexec_b64 s[14:15], s[10:11]
	s_cbranch_execz .LBB154_10
; %bb.9:
	v_pk_mov_b32 v[4:5], s[12:13], s[12:13] op_sel:[0,1]
	v_mad_u64_u32 v[4:5], s[12:13], v2, s31, v[4:5]
	v_mov_b32_e32 v6, v5
	v_mad_u64_u32 v[2:3], s[12:13], v2, s30, v[6:7]
	v_mov_b32_e32 v5, v2
	global_store_dwordx2 v1, v[4:5], s[0:1] offset:768
.LBB154_10:
	s_or_b64 exec, exec, s[14:15]
	v_pk_mov_b32 v[2:3], s[18:19], s[18:19] op_sel:[0,1]
	v_cmp_lt_i64_e32 vcc, s[16:17], v[2:3]
	s_cbranch_vccz .LBB154_45
; %bb.11:
	s_load_dwordx2 s[54:55], s[4:5], 0x30
	s_load_dwordx2 s[58:59], s[4:5], 0x48
	s_load_dword s0, s[4:5], 0x0
	s_load_dwordx2 s[30:31], s[4:5], 0x20
	s_load_dwordx2 s[60:61], s[4:5], 0x58
	v_and_b32_e32 v0, 31, v0
	v_mov_b32_e32 v1, 0
	s_waitcnt lgkmcnt(0)
	s_cmp_eq_u32 s0, 0
	s_cselect_b64 s[0:1], -1, 0
	v_cmp_gt_i64_e32 vcc, s[24:25], v[0:1]
	v_or_b32_e32 v2, 32, v0
	v_mov_b32_e32 v3, v1
	v_or_b32_e32 v4, 64, v0
	v_mov_b32_e32 v5, v1
	s_lshl_b64 s[62:63], s[56:57], 2
	v_lshlrev_b32_e32 v24, 2, v26
	s_and_b64 s[34:35], s[2:3], vcc
	v_cmp_gt_i64_e64 s[4:5], s[24:25], v[2:3]
	v_cmp_gt_i64_e64 s[12:13], s[24:25], v[4:5]
	v_or_b32_e32 v6, 0x60, v0
	v_mov_b32_e32 v7, v1
	s_and_b64 s[40:41], s[6:7], vcc
	s_and_b64 s[46:47], s[8:9], vcc
	s_and_b64 s[52:53], s[10:11], vcc
	v_mov_b32_e32 v3, s63
	v_add_co_u32_e32 v5, vcc, s62, v24
	v_cmp_gt_i64_e64 s[14:15], s[24:25], v[6:7]
	v_addc_co_u32_e32 v7, vcc, 0, v3, vcc
	s_movk_i32 s66, 0x180
	v_add_co_u32_e32 v10, vcc, s66, v5
	v_addc_co_u32_e32 v11, vcc, 0, v7, vcc
	v_lshlrev_b32_e32 v8, 2, v0
	v_mov_b32_e32 v9, v1
	s_and_b64 s[36:37], s[2:3], s[4:5]
	s_and_b64 s[38:39], s[2:3], s[12:13]
	;; [unrolled: 1-line block ×12, first 2 shown]
	v_mov_b32_e32 v25, v1
	v_mul_lo_u32 v1, s24, v11
	v_mul_lo_u32 v12, s25, v10
	v_mad_u64_u32 v[10:11], s[14:15], s24, v10, v[8:9]
	s_movk_i32 s67, 0x100
	v_add3_u32 v11, v12, v11, v1
	v_add_co_u32_e32 v1, vcc, s67, v5
	v_addc_co_u32_e32 v12, vcc, 0, v7, vcc
	s_movk_i32 s68, 0x80
	v_mul_lo_u32 v14, s24, v12
	v_mul_lo_u32 v15, s25, v1
	v_mad_u64_u32 v[12:13], s[64:65], s24, v1, v[8:9]
	v_add_co_u32_e32 v1, vcc, s68, v5
	v_add3_u32 v13, v15, v13, v14
	v_addc_co_u32_e32 v14, vcc, 0, v7, vcc
	v_mul_lo_u32 v16, s24, v14
	v_mul_lo_u32 v17, s25, v1
	v_mad_u64_u32 v[14:15], s[64:65], s24, v1, v[8:9]
	v_add3_u32 v15, v17, v15, v16
	v_mul_lo_u32 v1, s24, v7
	v_mul_lo_u32 v7, s25, v5
	v_mad_u64_u32 v[16:17], s[64:65], s24, v5, v[8:9]
	v_add3_u32 v17, v7, v17, v1
	v_add_co_u32_e32 v1, vcc, s62, v8
	v_addc_co_u32_e32 v3, vcc, 0, v3, vcc
	v_mul_lo_u32 v5, s24, v3
	v_mul_lo_u32 v7, s25, v1
	v_mad_u64_u32 v[18:19], s[62:63], s24, v1, v[24:25]
	v_add3_u32 v19, v7, v19, v5
	v_add_co_u32_e32 v5, vcc, s68, v1
	v_addc_co_u32_e32 v7, vcc, 0, v3, vcc
	v_mul_lo_u32 v7, s24, v7
	v_mul_lo_u32 v9, s25, v5
	v_mad_u64_u32 v[20:21], s[62:63], s24, v5, v[24:25]
	v_add_co_u32_e32 v5, vcc, s67, v1
	v_add3_u32 v21, v9, v21, v7
	v_addc_co_u32_e32 v7, vcc, 0, v3, vcc
	v_pk_mov_b32 v[28:29], s[56:57], s[56:57] op_sel:[0,1]
	v_add_co_u32_e32 v1, vcc, s66, v1
	v_mad_u64_u32 v[38:39], s[56:57], v26, s33, v[28:29]
	v_addc_co_u32_e32 v3, vcc, 0, v3, vcc
	v_mov_b32_e32 v28, v39
	s_mul_i32 s14, s24, s25
	s_mul_hi_u32 s15, s24, s24
	v_mul_lo_u32 v9, s25, v5
	v_mad_u64_u32 v[22:23], s[62:63], s24, v5, v[24:25]
	v_mul_lo_u32 v3, s24, v3
	v_mul_lo_u32 v5, s25, v1
	v_mad_u64_u32 v[24:25], s[62:63], s24, v1, v[24:25]
	v_mad_u64_u32 v[26:27], s[56:57], v26, s21, v[28:29]
	s_add_i32 s15, s15, s14
	v_add3_u32 v25, v5, v25, v3
	v_mul_lo_u32 v1, s25, v38
	v_mul_lo_u32 v3, s24, v26
	v_mad_u64_u32 v[28:29], s[56:57], s24, v38, 0
	s_add_i32 s15, s15, s14
	s_mul_i32 s14, s24, s24
	v_add3_u32 v29, v29, v3, v1
	s_lshl_b64 s[14:15], s[14:15], 2
	s_lshl_b64 s[62:63], s[16:17], 3
	s_lshl_b64 s[64:65], s[22:23], 3
	v_mov_b32_e32 v39, v26
	v_lshlrev_b64 v[26:27], 3, v[28:29]
	s_sub_u32 s23, s62, s64
	v_mov_b32_e32 v42, s61
	v_add_co_u32_e32 v26, vcc, s60, v26
	s_subb_u32 s62, s63, s65
	v_addc_co_u32_e32 v1, vcc, v42, v27, vcc
	v_lshlrev_b64 v[28:29], 2, v[28:29]
	s_add_u32 s54, s54, s23
	v_mov_b32_e32 v43, s59
	v_add_co_u32_e32 v28, vcc, s58, v28
	v_mul_lo_u32 v7, s24, v7
	s_addc_u32 s55, s55, s62
	v_addc_co_u32_e32 v3, vcc, v43, v29, vcc
	s_lshl_b64 s[56:57], s[18:19], 5
	v_add3_u32 v23, v9, v23, v7
	v_mov_b32_e32 v5, s57
	v_add_co_u32_e32 v7, vcc, s56, v38
	v_addc_co_u32_e32 v5, vcc, v39, v5, vcc
	s_lshl_b64 s[56:57], s[16:17], 5
	v_mov_b32_e32 v9, s57
	v_subrev_co_u32_e32 v7, vcc, s56, v7
	v_subb_co_u32_e32 v5, vcc, v5, v9, vcc
	v_mul_lo_u32 v9, s25, v7
	v_mul_lo_u32 v5, s24, v5
	v_mad_u64_u32 v[32:33], s[56:57], s24, v7, 0
	v_add3_u32 v33, v33, v5, v9
	v_lshlrev_b64 v[30:31], 2, v[32:33]
	v_add_co_u32_e32 v30, vcc, s58, v30
	v_mov_b32_e32 v9, 0x60
	v_addc_co_u32_e32 v5, vcc, v43, v31, vcc
	v_lshlrev_b64 v[32:33], 3, v[32:33]
	v_mad_u64_u32 v[34:35], s[56:57], s18, v9, v[38:39]
	s_mul_i32 s21, s19, 0x60
	v_add_co_u32_e32 v32, vcc, s60, v32
	v_add_u32_e32 v9, s21, v35
	s_mul_i32 s21, s17, 0x60
	s_mul_hi_u32 s23, s16, 0x60
	v_addc_co_u32_e32 v7, vcc, v42, v33, vcc
	s_add_i32 s21, s23, s21
	s_mul_i32 s23, s16, 0x60
	v_mov_b32_e32 v27, s21
	v_subrev_co_u32_e32 v29, vcc, s23, v34
	v_subb_co_u32_e32 v9, vcc, v9, v27, vcc
	v_mul_lo_u32 v27, s25, v29
	v_mul_lo_u32 v9, s24, v9
	v_mad_u64_u32 v[36:37], s[56:57], s24, v29, 0
	v_add3_u32 v37, v37, v9, v27
	v_lshlrev_b64 v[34:35], 3, v[36:37]
	v_add_co_u32_e32 v34, vcc, s60, v34
	v_addc_co_u32_e32 v9, vcc, v42, v35, vcc
	v_lshlrev_b64 v[36:37], 2, v[36:37]
	v_add_co_u32_e32 v36, vcc, s58, v36
	v_addc_co_u32_e32 v27, vcc, v43, v37, vcc
	s_lshl_b64 s[18:19], s[18:19], 6
	v_mov_b32_e32 v29, s19
	v_add_co_u32_e32 v31, vcc, s18, v38
	v_addc_co_u32_e32 v29, vcc, v39, v29, vcc
	s_lshl_b64 s[16:17], s[16:17], 6
	v_mov_b32_e32 v33, s17
	v_subrev_co_u32_e32 v31, vcc, s16, v31
	v_subb_co_u32_e32 v29, vcc, v29, v33, vcc
	v_mul_lo_u32 v33, s25, v31
	v_mul_lo_u32 v29, s24, v29
	v_mad_u64_u32 v[40:41], s[16:17], s24, v31, 0
	v_add3_u32 v41, v41, v29, v33
	v_lshlrev_b64 v[38:39], 2, v[40:41]
	v_add_co_u32_e32 v38, vcc, s58, v38
	v_addc_co_u32_e32 v29, vcc, v43, v39, vcc
	v_lshlrev_b64 v[40:41], 3, v[40:41]
	v_add_co_u32_e32 v40, vcc, s60, v40
	v_addc_co_u32_e32 v31, vcc, v42, v41, vcc
	v_lshlrev_b32_e32 v42, 3, v0
	s_lshl_b64 s[16:17], s[24:25], 3
	s_lshl_b64 s[18:19], s[24:25], 2
	s_branch .LBB154_13
.LBB154_12:                             ;   in Loop: Header=BB154_13 Depth=1
	s_or_b64 exec, exec, s[56:57]
	v_mov_b32_e32 v33, s17
	v_add_co_u32_e32 v26, vcc, s16, v26
	v_addc_co_u32_e32 v1, vcc, v1, v33, vcc
	v_mov_b32_e32 v35, s19
	v_add_co_u32_e32 v28, vcc, s18, v28
	v_addc_co_u32_e32 v3, vcc, v3, v35, vcc
	v_add_co_u32_e32 v30, vcc, s18, v30
	v_addc_co_u32_e32 v5, vcc, v5, v35, vcc
	;; [unrolled: 2-line block ×5, first 2 shown]
	s_add_u32 s26, s26, 1
	v_add_co_u32_e32 v38, vcc, s18, v38
	s_addc_u32 s27, s27, 0
	v_addc_co_u32_e32 v29, vcc, v29, v35, vcc
	s_add_u32 s30, s30, s14
	v_add_co_u32_e32 v40, vcc, s16, v40
	s_addc_u32 s31, s31, s15
	v_addc_co_u32_e32 v31, vcc, v31, v33, vcc
	v_pk_mov_b32 v[44:45], s[28:29], s[28:29] op_sel:[0,1]
	s_add_u32 s54, s54, 8
	v_cmp_ge_i64_e32 vcc, s[26:27], v[44:45]
	s_addc_u32 s55, s55, 0
	s_cbranch_vccnz .LBB154_45
.LBB154_13:                             ; =>This Inner Loop Header: Depth=1
	s_load_dwordx2 s[56:57], s[54:55], 0x0
	s_waitcnt lgkmcnt(0)
	s_sub_u32 s21, s56, s22
	s_subb_u32 s23, s57, 0
	s_mul_i32 s33, s21, s25
	s_mul_hi_u32 s56, s21, s24
	s_add_i32 s33, s56, s33
	s_mul_i32 s23, s23, s24
	s_add_i32 s33, s33, s23
	s_mul_i32 s21, s21, s24
	s_add_u32 s21, s21, s20
	s_addc_u32 s23, s33, 0
	s_and_saveexec_b64 s[56:57], s[34:35]
	s_cbranch_execnz .LBB154_29
; %bb.14:                               ;   in Loop: Header=BB154_13 Depth=1
	s_or_b64 exec, exec, s[56:57]
	s_and_saveexec_b64 s[56:57], s[36:37]
	s_cbranch_execnz .LBB154_30
.LBB154_15:                             ;   in Loop: Header=BB154_13 Depth=1
	s_or_b64 exec, exec, s[56:57]
	s_and_saveexec_b64 s[56:57], s[38:39]
	s_cbranch_execnz .LBB154_31
.LBB154_16:                             ;   in Loop: Header=BB154_13 Depth=1
	s_or_b64 exec, exec, s[56:57]
	s_and_saveexec_b64 s[56:57], s[2:3]
	s_cbranch_execnz .LBB154_32
.LBB154_17:                             ;   in Loop: Header=BB154_13 Depth=1
	s_or_b64 exec, exec, s[56:57]
	s_and_saveexec_b64 s[56:57], s[40:41]
	s_cbranch_execnz .LBB154_33
.LBB154_18:                             ;   in Loop: Header=BB154_13 Depth=1
	s_or_b64 exec, exec, s[56:57]
	s_and_saveexec_b64 s[56:57], s[42:43]
	s_cbranch_execnz .LBB154_34
.LBB154_19:                             ;   in Loop: Header=BB154_13 Depth=1
	s_or_b64 exec, exec, s[56:57]
	s_and_saveexec_b64 s[56:57], s[44:45]
	s_cbranch_execnz .LBB154_35
.LBB154_20:                             ;   in Loop: Header=BB154_13 Depth=1
	s_or_b64 exec, exec, s[56:57]
	s_and_saveexec_b64 s[56:57], s[6:7]
	s_cbranch_execnz .LBB154_36
.LBB154_21:                             ;   in Loop: Header=BB154_13 Depth=1
	s_or_b64 exec, exec, s[56:57]
	s_and_saveexec_b64 s[56:57], s[46:47]
	s_cbranch_execnz .LBB154_37
.LBB154_22:                             ;   in Loop: Header=BB154_13 Depth=1
	s_or_b64 exec, exec, s[56:57]
	s_and_saveexec_b64 s[56:57], s[48:49]
	s_cbranch_execnz .LBB154_38
.LBB154_23:                             ;   in Loop: Header=BB154_13 Depth=1
	s_or_b64 exec, exec, s[56:57]
	s_and_saveexec_b64 s[56:57], s[50:51]
	s_cbranch_execnz .LBB154_39
.LBB154_24:                             ;   in Loop: Header=BB154_13 Depth=1
	s_or_b64 exec, exec, s[56:57]
	s_and_saveexec_b64 s[56:57], s[8:9]
	s_cbranch_execnz .LBB154_40
.LBB154_25:                             ;   in Loop: Header=BB154_13 Depth=1
	s_or_b64 exec, exec, s[56:57]
	s_and_saveexec_b64 s[56:57], s[52:53]
	s_cbranch_execnz .LBB154_41
.LBB154_26:                             ;   in Loop: Header=BB154_13 Depth=1
	s_or_b64 exec, exec, s[56:57]
	s_and_saveexec_b64 s[56:57], s[4:5]
	s_cbranch_execnz .LBB154_42
.LBB154_27:                             ;   in Loop: Header=BB154_13 Depth=1
	s_or_b64 exec, exec, s[56:57]
	s_and_saveexec_b64 s[56:57], s[12:13]
	s_cbranch_execnz .LBB154_43
.LBB154_28:                             ;   in Loop: Header=BB154_13 Depth=1
	s_or_b64 exec, exec, s[56:57]
	s_and_saveexec_b64 s[56:57], s[10:11]
	s_cbranch_execz .LBB154_12
	s_branch .LBB154_44
.LBB154_29:                             ;   in Loop: Header=BB154_13 Depth=1
	v_cndmask_b32_e64 v35, v18, v16, s[0:1]
	v_cndmask_b32_e64 v33, v19, v17, s[0:1]
	v_mov_b32_e32 v37, s31
	v_add_co_u32_e32 v44, vcc, s30, v35
	v_addc_co_u32_e32 v45, vcc, v37, v33, vcc
	global_load_dword v33, v[44:45], off
	v_mov_b32_e32 v35, s23
	v_add_co_u32_e32 v44, vcc, s21, v0
	v_addc_co_u32_e32 v45, vcc, 0, v35, vcc
	v_add_co_u32_e32 v46, vcc, v26, v42
	v_addc_co_u32_e32 v47, vcc, 0, v1, vcc
	global_store_dwordx2 v[46:47], v[44:45], off
	v_add_co_u32_e32 v44, vcc, v28, v8
	v_addc_co_u32_e32 v45, vcc, 0, v3, vcc
	s_waitcnt vmcnt(1)
	global_store_dword v[44:45], v33, off
	s_or_b64 exec, exec, s[56:57]
	s_and_saveexec_b64 s[56:57], s[36:37]
	s_cbranch_execz .LBB154_15
.LBB154_30:                             ;   in Loop: Header=BB154_13 Depth=1
	v_mov_b32_e32 v33, s31
	v_add_co_u32_e32 v35, vcc, s30, v16
	v_addc_co_u32_e32 v37, vcc, v33, v17, vcc
	v_add_co_u32_e32 v35, vcc, 0x80, v35
	v_addc_co_u32_e32 v37, vcc, 0, v37, vcc
	;; [unrolled: 2-line block ×3, first 2 shown]
	v_cndmask_b32_e64 v45, v33, v37, s[0:1]
	v_cndmask_b32_e64 v44, v39, v35, s[0:1]
	global_load_dword v33, v[44:45], off
	v_mov_b32_e32 v35, s23
	v_add_co_u32_e32 v44, vcc, s21, v2
	v_addc_co_u32_e32 v45, vcc, 0, v35, vcc
	v_add_co_u32_e32 v46, vcc, v26, v42
	v_addc_co_u32_e32 v47, vcc, 0, v1, vcc
	global_store_dwordx2 v[46:47], v[44:45], off offset:256
	v_add_co_u32_e32 v44, vcc, v28, v8
	v_addc_co_u32_e32 v45, vcc, 0, v3, vcc
	s_waitcnt vmcnt(1)
	global_store_dword v[44:45], v33, off offset:128
	s_or_b64 exec, exec, s[56:57]
	s_and_saveexec_b64 s[56:57], s[38:39]
	s_cbranch_execz .LBB154_16
.LBB154_31:                             ;   in Loop: Header=BB154_13 Depth=1
	v_mov_b32_e32 v33, s31
	v_add_co_u32_e32 v35, vcc, s30, v16
	v_addc_co_u32_e32 v37, vcc, v33, v17, vcc
	v_add_co_u32_e32 v35, vcc, 0x100, v35
	v_addc_co_u32_e32 v37, vcc, 0, v37, vcc
	;; [unrolled: 2-line block ×3, first 2 shown]
	v_cndmask_b32_e64 v45, v33, v37, s[0:1]
	v_cndmask_b32_e64 v44, v39, v35, s[0:1]
	global_load_dword v33, v[44:45], off
	v_mov_b32_e32 v35, s23
	v_add_co_u32_e32 v44, vcc, s21, v4
	v_addc_co_u32_e32 v45, vcc, 0, v35, vcc
	v_add_co_u32_e32 v46, vcc, v26, v42
	v_addc_co_u32_e32 v47, vcc, 0, v1, vcc
	global_store_dwordx2 v[46:47], v[44:45], off offset:512
	v_add_co_u32_e32 v44, vcc, v28, v8
	v_addc_co_u32_e32 v45, vcc, 0, v3, vcc
	s_waitcnt vmcnt(1)
	global_store_dword v[44:45], v33, off offset:256
	s_or_b64 exec, exec, s[56:57]
	s_and_saveexec_b64 s[56:57], s[2:3]
	s_cbranch_execz .LBB154_17
.LBB154_32:                             ;   in Loop: Header=BB154_13 Depth=1
	v_mov_b32_e32 v33, s31
	v_add_co_u32_e32 v35, vcc, s30, v16
	v_addc_co_u32_e32 v37, vcc, v33, v17, vcc
	v_add_co_u32_e32 v35, vcc, 0x180, v35
	v_addc_co_u32_e32 v37, vcc, 0, v37, vcc
	;; [unrolled: 2-line block ×3, first 2 shown]
	v_cndmask_b32_e64 v45, v33, v37, s[0:1]
	v_cndmask_b32_e64 v44, v39, v35, s[0:1]
	global_load_dword v33, v[44:45], off
	v_mov_b32_e32 v35, s23
	v_add_co_u32_e32 v44, vcc, s21, v6
	v_addc_co_u32_e32 v45, vcc, 0, v35, vcc
	v_add_co_u32_e32 v46, vcc, v26, v42
	v_addc_co_u32_e32 v47, vcc, 0, v1, vcc
	global_store_dwordx2 v[46:47], v[44:45], off offset:768
	v_add_co_u32_e32 v44, vcc, v28, v8
	v_addc_co_u32_e32 v45, vcc, 0, v3, vcc
	s_waitcnt vmcnt(1)
	global_store_dword v[44:45], v33, off offset:384
	s_or_b64 exec, exec, s[56:57]
	s_and_saveexec_b64 s[56:57], s[40:41]
	s_cbranch_execz .LBB154_18
.LBB154_33:                             ;   in Loop: Header=BB154_13 Depth=1
	v_mov_b32_e32 v33, s31
	v_add_co_u32_e32 v35, vcc, s30, v14
	v_addc_co_u32_e32 v37, vcc, v33, v15, vcc
	v_add_co_u32_e32 v39, vcc, s30, v18
	v_addc_co_u32_e32 v33, vcc, v33, v19, vcc
	;; [unrolled: 2-line block ×3, first 2 shown]
	v_cndmask_b32_e64 v45, v33, v37, s[0:1]
	v_cndmask_b32_e64 v44, v39, v35, s[0:1]
	global_load_dword v33, v[44:45], off
	v_mov_b32_e32 v35, s23
	v_add_co_u32_e32 v44, vcc, s21, v0
	v_addc_co_u32_e32 v45, vcc, 0, v35, vcc
	v_add_co_u32_e32 v46, vcc, v32, v42
	v_addc_co_u32_e32 v47, vcc, 0, v7, vcc
	global_store_dwordx2 v[46:47], v[44:45], off
	v_add_co_u32_e32 v44, vcc, v30, v8
	v_addc_co_u32_e32 v45, vcc, 0, v5, vcc
	s_waitcnt vmcnt(1)
	global_store_dword v[44:45], v33, off
	s_or_b64 exec, exec, s[56:57]
	s_and_saveexec_b64 s[56:57], s[42:43]
	s_cbranch_execz .LBB154_19
.LBB154_34:                             ;   in Loop: Header=BB154_13 Depth=1
	v_cndmask_b32_e64 v35, v20, v14, s[0:1]
	v_cndmask_b32_e64 v33, v21, v15, s[0:1]
	v_mov_b32_e32 v37, s31
	v_add_co_u32_e32 v44, vcc, s30, v35
	v_addc_co_u32_e32 v45, vcc, v37, v33, vcc
	global_load_dword v33, v[44:45], off offset:128
	v_mov_b32_e32 v35, s23
	v_add_co_u32_e32 v44, vcc, s21, v2
	v_addc_co_u32_e32 v45, vcc, 0, v35, vcc
	v_add_co_u32_e32 v46, vcc, v32, v42
	v_addc_co_u32_e32 v47, vcc, 0, v7, vcc
	global_store_dwordx2 v[46:47], v[44:45], off offset:256
	v_add_co_u32_e32 v44, vcc, v30, v8
	v_addc_co_u32_e32 v45, vcc, 0, v5, vcc
	s_waitcnt vmcnt(1)
	global_store_dword v[44:45], v33, off offset:128
	s_or_b64 exec, exec, s[56:57]
	s_and_saveexec_b64 s[56:57], s[44:45]
	s_cbranch_execz .LBB154_20
.LBB154_35:                             ;   in Loop: Header=BB154_13 Depth=1
	v_mov_b32_e32 v33, s31
	v_add_co_u32_e32 v35, vcc, s30, v14
	v_addc_co_u32_e32 v37, vcc, v33, v15, vcc
	v_add_co_u32_e32 v35, vcc, 0x100, v35
	v_addc_co_u32_e32 v37, vcc, 0, v37, vcc
	;; [unrolled: 2-line block ×4, first 2 shown]
	v_cndmask_b32_e64 v45, v33, v37, s[0:1]
	v_cndmask_b32_e64 v44, v39, v35, s[0:1]
	global_load_dword v33, v[44:45], off
	v_mov_b32_e32 v35, s23
	v_add_co_u32_e32 v44, vcc, s21, v4
	v_addc_co_u32_e32 v45, vcc, 0, v35, vcc
	v_add_co_u32_e32 v46, vcc, v32, v42
	v_addc_co_u32_e32 v47, vcc, 0, v7, vcc
	global_store_dwordx2 v[46:47], v[44:45], off offset:512
	v_add_co_u32_e32 v44, vcc, v30, v8
	v_addc_co_u32_e32 v45, vcc, 0, v5, vcc
	s_waitcnt vmcnt(1)
	global_store_dword v[44:45], v33, off offset:256
	s_or_b64 exec, exec, s[56:57]
	s_and_saveexec_b64 s[56:57], s[6:7]
	s_cbranch_execz .LBB154_21
.LBB154_36:                             ;   in Loop: Header=BB154_13 Depth=1
	v_mov_b32_e32 v33, s31
	v_add_co_u32_e32 v35, vcc, s30, v14
	v_addc_co_u32_e32 v37, vcc, v33, v15, vcc
	v_add_co_u32_e32 v35, vcc, 0x180, v35
	v_addc_co_u32_e32 v37, vcc, 0, v37, vcc
	;; [unrolled: 2-line block ×4, first 2 shown]
	v_cndmask_b32_e64 v45, v33, v37, s[0:1]
	v_cndmask_b32_e64 v44, v39, v35, s[0:1]
	global_load_dword v33, v[44:45], off
	v_mov_b32_e32 v35, s23
	v_add_co_u32_e32 v44, vcc, s21, v6
	v_addc_co_u32_e32 v45, vcc, 0, v35, vcc
	v_add_co_u32_e32 v46, vcc, v32, v42
	v_addc_co_u32_e32 v47, vcc, 0, v7, vcc
	global_store_dwordx2 v[46:47], v[44:45], off offset:768
	v_add_co_u32_e32 v44, vcc, v30, v8
	v_addc_co_u32_e32 v45, vcc, 0, v5, vcc
	s_waitcnt vmcnt(1)
	global_store_dword v[44:45], v33, off offset:384
	s_or_b64 exec, exec, s[56:57]
	s_and_saveexec_b64 s[56:57], s[46:47]
	s_cbranch_execz .LBB154_22
.LBB154_37:                             ;   in Loop: Header=BB154_13 Depth=1
	v_mov_b32_e32 v33, s31
	v_add_co_u32_e32 v35, vcc, s30, v12
	v_addc_co_u32_e32 v37, vcc, v33, v13, vcc
	v_add_co_u32_e32 v39, vcc, s30, v18
	v_addc_co_u32_e32 v33, vcc, v33, v19, vcc
	;; [unrolled: 2-line block ×3, first 2 shown]
	v_cndmask_b32_e64 v45, v33, v37, s[0:1]
	v_cndmask_b32_e64 v44, v39, v35, s[0:1]
	global_load_dword v33, v[44:45], off
	v_mov_b32_e32 v35, s23
	v_add_co_u32_e32 v44, vcc, s21, v0
	v_addc_co_u32_e32 v45, vcc, 0, v35, vcc
	v_add_co_u32_e32 v46, vcc, v40, v42
	v_addc_co_u32_e32 v47, vcc, 0, v31, vcc
	global_store_dwordx2 v[46:47], v[44:45], off
	v_add_co_u32_e32 v44, vcc, v38, v8
	v_addc_co_u32_e32 v45, vcc, 0, v29, vcc
	s_waitcnt vmcnt(1)
	global_store_dword v[44:45], v33, off
	s_or_b64 exec, exec, s[56:57]
	s_and_saveexec_b64 s[56:57], s[48:49]
	s_cbranch_execz .LBB154_23
.LBB154_38:                             ;   in Loop: Header=BB154_13 Depth=1
	v_mov_b32_e32 v33, s31
	v_add_co_u32_e32 v35, vcc, s30, v12
	v_addc_co_u32_e32 v37, vcc, v33, v13, vcc
	v_add_co_u32_e32 v35, vcc, 0x80, v35
	v_addc_co_u32_e32 v37, vcc, 0, v37, vcc
	;; [unrolled: 2-line block ×4, first 2 shown]
	v_cndmask_b32_e64 v45, v33, v37, s[0:1]
	v_cndmask_b32_e64 v44, v39, v35, s[0:1]
	global_load_dword v33, v[44:45], off
	v_mov_b32_e32 v35, s23
	v_add_co_u32_e32 v44, vcc, s21, v2
	v_addc_co_u32_e32 v45, vcc, 0, v35, vcc
	v_add_co_u32_e32 v46, vcc, v40, v42
	v_addc_co_u32_e32 v47, vcc, 0, v31, vcc
	global_store_dwordx2 v[46:47], v[44:45], off offset:256
	v_add_co_u32_e32 v44, vcc, v38, v8
	v_addc_co_u32_e32 v45, vcc, 0, v29, vcc
	s_waitcnt vmcnt(1)
	global_store_dword v[44:45], v33, off offset:128
	s_or_b64 exec, exec, s[56:57]
	s_and_saveexec_b64 s[56:57], s[50:51]
	s_cbranch_execz .LBB154_24
.LBB154_39:                             ;   in Loop: Header=BB154_13 Depth=1
	v_cndmask_b32_e64 v35, v22, v12, s[0:1]
	v_cndmask_b32_e64 v33, v23, v13, s[0:1]
	v_mov_b32_e32 v37, s31
	v_add_co_u32_e32 v44, vcc, s30, v35
	v_addc_co_u32_e32 v45, vcc, v37, v33, vcc
	global_load_dword v33, v[44:45], off offset:256
	v_mov_b32_e32 v35, s23
	v_add_co_u32_e32 v44, vcc, s21, v4
	v_addc_co_u32_e32 v45, vcc, 0, v35, vcc
	v_add_co_u32_e32 v46, vcc, v40, v42
	v_addc_co_u32_e32 v47, vcc, 0, v31, vcc
	global_store_dwordx2 v[46:47], v[44:45], off offset:512
	v_add_co_u32_e32 v44, vcc, v38, v8
	v_addc_co_u32_e32 v45, vcc, 0, v29, vcc
	s_waitcnt vmcnt(1)
	global_store_dword v[44:45], v33, off offset:256
	s_or_b64 exec, exec, s[56:57]
	s_and_saveexec_b64 s[56:57], s[8:9]
	s_cbranch_execz .LBB154_25
.LBB154_40:                             ;   in Loop: Header=BB154_13 Depth=1
	v_mov_b32_e32 v33, s31
	v_add_co_u32_e32 v35, vcc, s30, v12
	v_addc_co_u32_e32 v37, vcc, v33, v13, vcc
	v_add_co_u32_e32 v35, vcc, 0x180, v35
	v_addc_co_u32_e32 v37, vcc, 0, v37, vcc
	;; [unrolled: 2-line block ×4, first 2 shown]
	v_cndmask_b32_e64 v45, v33, v37, s[0:1]
	v_cndmask_b32_e64 v44, v39, v35, s[0:1]
	global_load_dword v33, v[44:45], off
	v_mov_b32_e32 v35, s23
	v_add_co_u32_e32 v44, vcc, s21, v6
	v_addc_co_u32_e32 v45, vcc, 0, v35, vcc
	v_add_co_u32_e32 v46, vcc, v40, v42
	v_addc_co_u32_e32 v47, vcc, 0, v31, vcc
	global_store_dwordx2 v[46:47], v[44:45], off offset:768
	v_add_co_u32_e32 v44, vcc, v38, v8
	v_addc_co_u32_e32 v45, vcc, 0, v29, vcc
	s_waitcnt vmcnt(1)
	global_store_dword v[44:45], v33, off offset:384
	s_or_b64 exec, exec, s[56:57]
	s_and_saveexec_b64 s[56:57], s[52:53]
	s_cbranch_execz .LBB154_26
.LBB154_41:                             ;   in Loop: Header=BB154_13 Depth=1
	v_mov_b32_e32 v33, s31
	v_add_co_u32_e32 v35, vcc, s30, v10
	v_addc_co_u32_e32 v37, vcc, v33, v11, vcc
	v_add_co_u32_e32 v39, vcc, s30, v18
	v_addc_co_u32_e32 v33, vcc, v33, v19, vcc
	;; [unrolled: 2-line block ×3, first 2 shown]
	v_cndmask_b32_e64 v45, v33, v37, s[0:1]
	v_cndmask_b32_e64 v44, v39, v35, s[0:1]
	global_load_dword v33, v[44:45], off
	v_mov_b32_e32 v35, s23
	v_add_co_u32_e32 v44, vcc, s21, v0
	v_addc_co_u32_e32 v45, vcc, 0, v35, vcc
	v_add_co_u32_e32 v46, vcc, v34, v42
	v_addc_co_u32_e32 v47, vcc, 0, v9, vcc
	global_store_dwordx2 v[46:47], v[44:45], off
	v_add_co_u32_e32 v44, vcc, v36, v8
	v_addc_co_u32_e32 v45, vcc, 0, v27, vcc
	s_waitcnt vmcnt(1)
	global_store_dword v[44:45], v33, off
	s_or_b64 exec, exec, s[56:57]
	s_and_saveexec_b64 s[56:57], s[4:5]
	s_cbranch_execz .LBB154_27
.LBB154_42:                             ;   in Loop: Header=BB154_13 Depth=1
	v_mov_b32_e32 v33, s31
	v_add_co_u32_e32 v35, vcc, s30, v10
	v_addc_co_u32_e32 v37, vcc, v33, v11, vcc
	v_add_co_u32_e32 v35, vcc, 0x80, v35
	v_addc_co_u32_e32 v37, vcc, 0, v37, vcc
	;; [unrolled: 2-line block ×4, first 2 shown]
	v_cndmask_b32_e64 v45, v33, v37, s[0:1]
	v_cndmask_b32_e64 v44, v39, v35, s[0:1]
	global_load_dword v33, v[44:45], off
	v_mov_b32_e32 v35, s23
	v_add_co_u32_e32 v44, vcc, s21, v2
	v_addc_co_u32_e32 v45, vcc, 0, v35, vcc
	v_add_co_u32_e32 v46, vcc, v34, v42
	v_addc_co_u32_e32 v47, vcc, 0, v9, vcc
	global_store_dwordx2 v[46:47], v[44:45], off offset:256
	v_add_co_u32_e32 v44, vcc, v36, v8
	v_addc_co_u32_e32 v45, vcc, 0, v27, vcc
	s_waitcnt vmcnt(1)
	global_store_dword v[44:45], v33, off offset:128
	s_or_b64 exec, exec, s[56:57]
	s_and_saveexec_b64 s[56:57], s[12:13]
	s_cbranch_execz .LBB154_28
.LBB154_43:                             ;   in Loop: Header=BB154_13 Depth=1
	v_mov_b32_e32 v33, s31
	v_add_co_u32_e32 v35, vcc, s30, v10
	v_addc_co_u32_e32 v37, vcc, v33, v11, vcc
	v_add_co_u32_e32 v35, vcc, 0x100, v35
	v_addc_co_u32_e32 v37, vcc, 0, v37, vcc
	;; [unrolled: 2-line block ×4, first 2 shown]
	v_cndmask_b32_e64 v45, v33, v37, s[0:1]
	v_cndmask_b32_e64 v44, v39, v35, s[0:1]
	global_load_dword v33, v[44:45], off
	v_mov_b32_e32 v35, s23
	v_add_co_u32_e32 v44, vcc, s21, v4
	v_addc_co_u32_e32 v45, vcc, 0, v35, vcc
	v_add_co_u32_e32 v46, vcc, v34, v42
	v_addc_co_u32_e32 v47, vcc, 0, v9, vcc
	global_store_dwordx2 v[46:47], v[44:45], off offset:512
	v_add_co_u32_e32 v44, vcc, v36, v8
	v_addc_co_u32_e32 v45, vcc, 0, v27, vcc
	s_waitcnt vmcnt(1)
	global_store_dword v[44:45], v33, off offset:256
	s_or_b64 exec, exec, s[56:57]
	s_and_saveexec_b64 s[56:57], s[10:11]
	s_cbranch_execz .LBB154_12
.LBB154_44:                             ;   in Loop: Header=BB154_13 Depth=1
	v_cndmask_b32_e64 v35, v24, v10, s[0:1]
	v_cndmask_b32_e64 v33, v25, v11, s[0:1]
	v_mov_b32_e32 v37, s31
	v_add_co_u32_e32 v44, vcc, s30, v35
	v_addc_co_u32_e32 v45, vcc, v37, v33, vcc
	global_load_dword v33, v[44:45], off offset:384
	v_mov_b32_e32 v35, s23
	v_add_co_u32_e32 v44, vcc, s21, v6
	v_addc_co_u32_e32 v45, vcc, 0, v35, vcc
	v_add_co_u32_e32 v46, vcc, v34, v42
	v_addc_co_u32_e32 v47, vcc, 0, v9, vcc
	global_store_dwordx2 v[46:47], v[44:45], off offset:768
	v_add_co_u32_e32 v44, vcc, v36, v8
	v_addc_co_u32_e32 v45, vcc, 0, v27, vcc
	s_waitcnt vmcnt(1)
	global_store_dword v[44:45], v33, off offset:384
	s_branch .LBB154_12
.LBB154_45:
	s_endpgm
	.section	.rodata,"a",@progbits
	.p2align	6, 0x0
	.amdhsa_kernel _ZN9rocsparseL35bsr2csr_block_per_row_33_256_kernelILj1024ELj128ELj32EfllEEv20rocsparse_direction_T4_S2_21rocsparse_index_base_PKT2_PKT3_PKS2_S2_S3_PS4_PS7_PS2_
		.amdhsa_group_segment_fixed_size 0
		.amdhsa_private_segment_fixed_size 0
		.amdhsa_kernarg_size 96
		.amdhsa_user_sgpr_count 6
		.amdhsa_user_sgpr_private_segment_buffer 1
		.amdhsa_user_sgpr_dispatch_ptr 0
		.amdhsa_user_sgpr_queue_ptr 0
		.amdhsa_user_sgpr_kernarg_segment_ptr 1
		.amdhsa_user_sgpr_dispatch_id 0
		.amdhsa_user_sgpr_flat_scratch_init 0
		.amdhsa_user_sgpr_kernarg_preload_length 0
		.amdhsa_user_sgpr_kernarg_preload_offset 0
		.amdhsa_user_sgpr_private_segment_size 0
		.amdhsa_uses_dynamic_stack 0
		.amdhsa_system_sgpr_private_segment_wavefront_offset 0
		.amdhsa_system_sgpr_workgroup_id_x 1
		.amdhsa_system_sgpr_workgroup_id_y 0
		.amdhsa_system_sgpr_workgroup_id_z 0
		.amdhsa_system_sgpr_workgroup_info 0
		.amdhsa_system_vgpr_workitem_id 0
		.amdhsa_next_free_vgpr 48
		.amdhsa_next_free_sgpr 69
		.amdhsa_accum_offset 48
		.amdhsa_reserve_vcc 1
		.amdhsa_reserve_flat_scratch 0
		.amdhsa_float_round_mode_32 0
		.amdhsa_float_round_mode_16_64 0
		.amdhsa_float_denorm_mode_32 3
		.amdhsa_float_denorm_mode_16_64 3
		.amdhsa_dx10_clamp 1
		.amdhsa_ieee_mode 1
		.amdhsa_fp16_overflow 0
		.amdhsa_tg_split 0
		.amdhsa_exception_fp_ieee_invalid_op 0
		.amdhsa_exception_fp_denorm_src 0
		.amdhsa_exception_fp_ieee_div_zero 0
		.amdhsa_exception_fp_ieee_overflow 0
		.amdhsa_exception_fp_ieee_underflow 0
		.amdhsa_exception_fp_ieee_inexact 0
		.amdhsa_exception_int_div_zero 0
	.end_amdhsa_kernel
	.section	.text._ZN9rocsparseL35bsr2csr_block_per_row_33_256_kernelILj1024ELj128ELj32EfllEEv20rocsparse_direction_T4_S2_21rocsparse_index_base_PKT2_PKT3_PKS2_S2_S3_PS4_PS7_PS2_,"axG",@progbits,_ZN9rocsparseL35bsr2csr_block_per_row_33_256_kernelILj1024ELj128ELj32EfllEEv20rocsparse_direction_T4_S2_21rocsparse_index_base_PKT2_PKT3_PKS2_S2_S3_PS4_PS7_PS2_,comdat
.Lfunc_end154:
	.size	_ZN9rocsparseL35bsr2csr_block_per_row_33_256_kernelILj1024ELj128ELj32EfllEEv20rocsparse_direction_T4_S2_21rocsparse_index_base_PKT2_PKT3_PKS2_S2_S3_PS4_PS7_PS2_, .Lfunc_end154-_ZN9rocsparseL35bsr2csr_block_per_row_33_256_kernelILj1024ELj128ELj32EfllEEv20rocsparse_direction_T4_S2_21rocsparse_index_base_PKT2_PKT3_PKS2_S2_S3_PS4_PS7_PS2_
                                        ; -- End function
	.section	.AMDGPU.csdata,"",@progbits
; Kernel info:
; codeLenInByte = 3796
; NumSgprs: 73
; NumVgprs: 48
; NumAgprs: 0
; TotalNumVgprs: 48
; ScratchSize: 0
; MemoryBound: 0
; FloatMode: 240
; IeeeMode: 1
; LDSByteSize: 0 bytes/workgroup (compile time only)
; SGPRBlocks: 9
; VGPRBlocks: 5
; NumSGPRsForWavesPerEU: 73
; NumVGPRsForWavesPerEU: 48
; AccumOffset: 48
; Occupancy: 8
; WaveLimiterHint : 1
; COMPUTE_PGM_RSRC2:SCRATCH_EN: 0
; COMPUTE_PGM_RSRC2:USER_SGPR: 6
; COMPUTE_PGM_RSRC2:TRAP_HANDLER: 0
; COMPUTE_PGM_RSRC2:TGID_X_EN: 1
; COMPUTE_PGM_RSRC2:TGID_Y_EN: 0
; COMPUTE_PGM_RSRC2:TGID_Z_EN: 0
; COMPUTE_PGM_RSRC2:TIDIG_COMP_CNT: 0
; COMPUTE_PGM_RSRC3_GFX90A:ACCUM_OFFSET: 11
; COMPUTE_PGM_RSRC3_GFX90A:TG_SPLIT: 0
	.section	.text._ZN9rocsparseL35bsr2csr_block_per_row_33_256_kernelILj1024ELj256ELj32EfllEEv20rocsparse_direction_T4_S2_21rocsparse_index_base_PKT2_PKT3_PKS2_S2_S3_PS4_PS7_PS2_,"axG",@progbits,_ZN9rocsparseL35bsr2csr_block_per_row_33_256_kernelILj1024ELj256ELj32EfllEEv20rocsparse_direction_T4_S2_21rocsparse_index_base_PKT2_PKT3_PKS2_S2_S3_PS4_PS7_PS2_,comdat
	.globl	_ZN9rocsparseL35bsr2csr_block_per_row_33_256_kernelILj1024ELj256ELj32EfllEEv20rocsparse_direction_T4_S2_21rocsparse_index_base_PKT2_PKT3_PKS2_S2_S3_PS4_PS7_PS2_ ; -- Begin function _ZN9rocsparseL35bsr2csr_block_per_row_33_256_kernelILj1024ELj256ELj32EfllEEv20rocsparse_direction_T4_S2_21rocsparse_index_base_PKT2_PKT3_PKS2_S2_S3_PS4_PS7_PS2_
	.p2align	8
	.type	_ZN9rocsparseL35bsr2csr_block_per_row_33_256_kernelILj1024ELj256ELj32EfllEEv20rocsparse_direction_T4_S2_21rocsparse_index_base_PKT2_PKT3_PKS2_S2_S3_PS4_PS7_PS2_,@function
_ZN9rocsparseL35bsr2csr_block_per_row_33_256_kernelILj1024ELj256ELj32EfllEEv20rocsparse_direction_T4_S2_21rocsparse_index_base_PKT2_PKT3_PKS2_S2_S3_PS4_PS7_PS2_: ; @_ZN9rocsparseL35bsr2csr_block_per_row_33_256_kernelILj1024ELj256ELj32EfllEEv20rocsparse_direction_T4_S2_21rocsparse_index_base_PKT2_PKT3_PKS2_S2_S3_PS4_PS7_PS2_
; %bb.0:
	s_load_dwordx2 s[0:1], s[4:5], 0x28
	s_load_dword s10, s[4:5], 0x40
	s_load_dwordx2 s[2:3], s[4:5], 0x50
	s_mov_b32 s11, 0
	s_mov_b32 s7, s11
	s_lshl_b64 s[8:9], s[6:7], 3
	s_waitcnt lgkmcnt(0)
	s_add_u32 s0, s0, s8
	s_addc_u32 s1, s1, s9
	s_load_dwordx4 s[20:23], s[0:1], 0x0
	v_or_b32_e32 v1, s6, v0
	v_cmp_eq_u32_e32 vcc, 0, v1
	s_and_saveexec_b64 s[0:1], vcc
	s_cbranch_execz .LBB155_2
; %bb.1:
	v_mov_b32_e32 v1, 0
	v_pk_mov_b32 v[2:3], s[10:11], s[10:11] op_sel:[0,1]
	global_store_dwordx2 v1, v[2:3], s[2:3]
.LBB155_2:
	s_or_b64 exec, exec, s[0:1]
	s_load_dword s1, s[4:5], 0x18
	s_load_dwordx2 s[40:41], s[4:5], 0x38
                                        ; implicit-def: $vgpr75 : SGPR spill to VGPR lane
	v_mov_b32_e32 v3, 0
	v_lshrrev_b32_e32 v2, 5, v0
	v_lshlrev_b32_e32 v1, 3, v2
	s_waitcnt lgkmcnt(0)
	s_sub_u32 s50, s20, s1
	s_subb_u32 s51, s21, 0
	s_mul_i32 s0, s50, s41
	v_writelane_b32 v75, s1, 0
	s_sub_u32 s44, s22, s1
	s_mul_hi_u32 s1, s50, s40
	s_subb_u32 s45, s23, 0
	s_add_i32 s0, s1, s0
	s_mul_i32 s1, s51, s40
	s_add_i32 s0, s0, s1
	s_mul_i32 s1, s50, s40
	s_mul_i32 s7, s1, s41
	s_mul_hi_u32 s8, s1, s40
	s_add_i32 s7, s8, s7
	s_mul_i32 s0, s0, s40
	s_add_i32 s7, s7, s0
	s_sub_u32 s38, s44, s50
	s_subb_u32 s39, s45, s51
	s_mul_i32 s0, s38, s41
	s_mul_hi_u32 s8, s38, s40
	s_add_i32 s0, s8, s0
	s_mul_i32 s8, s39, s40
	s_mul_i32 s1, s1, s40
	s_add_i32 s28, s0, s8
	s_mov_b32 s0, s10
	v_writelane_b32 v75, s0, 1
	v_writelane_b32 v75, s1, 2
	s_add_u32 s0, s1, s10
	s_mul_i32 s29, s38, s40
	s_addc_u32 s1, s7, 0
	s_add_u32 s0, s0, s29
	s_mul_i32 s7, s6, s41
	s_mul_hi_u32 s8, s6, s40
	s_addc_u32 s1, s1, s28
	s_add_i32 s7, s8, s7
	s_mul_i32 s6, s6, s40
	s_lshl_b64 s[6:7], s[6:7], 3
	s_add_u32 s2, s2, s6
	s_addc_u32 s3, s3, s7
	v_cmp_gt_i64_e64 s[6:7], s[40:41], v[2:3]
	s_and_saveexec_b64 s[8:9], s[6:7]
	s_cbranch_execz .LBB155_4
; %bb.3:
	v_pk_mov_b32 v[4:5], s[0:1], s[0:1] op_sel:[0,1]
	v_mad_u64_u32 v[4:5], s[10:11], v2, s29, v[4:5]
	v_mov_b32_e32 v6, v5
	v_mad_u64_u32 v[6:7], s[10:11], v2, s28, v[6:7]
	v_mov_b32_e32 v5, v6
	global_store_dwordx2 v1, v[4:5], s[2:3] offset:8
.LBB155_4:
	s_or_b64 exec, exec, s[8:9]
	s_add_u32 s24, s2, 8
	v_or_b32_e32 v4, 32, v2
	v_mov_b32_e32 v5, v3
	s_addc_u32 s25, s3, 0
	v_cmp_gt_i64_e64 s[2:3], s[40:41], v[4:5]
	s_and_saveexec_b64 s[8:9], s[2:3]
	s_cbranch_execz .LBB155_6
; %bb.5:
	v_pk_mov_b32 v[6:7], s[0:1], s[0:1] op_sel:[0,1]
	v_mad_u64_u32 v[6:7], s[10:11], v4, s29, v[6:7]
	v_mov_b32_e32 v8, v7
	v_mad_u64_u32 v[4:5], s[10:11], v4, s28, v[8:9]
	v_mov_b32_e32 v7, v4
	global_store_dwordx2 v1, v[6:7], s[24:25] offset:256
.LBB155_6:
	s_or_b64 exec, exec, s[8:9]
	v_or_b32_e32 v4, 64, v2
	v_mov_b32_e32 v5, v3
	v_cmp_gt_i64_e64 s[8:9], s[40:41], v[4:5]
	s_and_saveexec_b64 s[10:11], s[8:9]
	s_cbranch_execz .LBB155_8
; %bb.7:
	v_pk_mov_b32 v[6:7], s[0:1], s[0:1] op_sel:[0,1]
	v_mad_u64_u32 v[6:7], s[12:13], v4, s29, v[6:7]
	v_mov_b32_e32 v8, v7
	v_mad_u64_u32 v[4:5], s[12:13], v4, s28, v[8:9]
	v_mov_b32_e32 v7, v4
	global_store_dwordx2 v1, v[6:7], s[24:25] offset:512
.LBB155_8:
	s_or_b64 exec, exec, s[10:11]
	v_or_b32_e32 v4, 0x60, v2
	v_mov_b32_e32 v5, v3
	;; [unrolled: 14-line block ×6, first 2 shown]
	v_cmp_gt_i64_e64 s[18:19], s[40:41], v[4:5]
	s_and_saveexec_b64 s[26:27], s[18:19]
	s_cbranch_execz .LBB155_18
; %bb.17:
	v_pk_mov_b32 v[6:7], s[0:1], s[0:1] op_sel:[0,1]
	v_mad_u64_u32 v[6:7], s[0:1], v4, s29, v[6:7]
	v_mov_b32_e32 v8, v7
	v_mad_u64_u32 v[4:5], s[0:1], v4, s28, v[8:9]
	v_mov_b32_e32 v7, v4
	global_store_dwordx2 v1, v[6:7], s[24:25] offset:1792
.LBB155_18:
	s_or_b64 exec, exec, s[26:27]
	v_pk_mov_b32 v[4:5], s[22:23], s[22:23] op_sel:[0,1]
	v_cmp_lt_i64_e32 vcc, s[20:21], v[4:5]
	s_cbranch_vccz .LBB155_149
; %bb.19:
	s_mul_i32 s1, s40, s41
	s_mul_hi_u32 s20, s40, s40
	s_load_dword s0, s[4:5], 0x0
	s_add_i32 s20, s20, s1
	s_add_i32 s1, s20, s1
	s_mul_i32 s33, s40, s40
	v_writelane_b32 v75, s1, 3
	s_mul_i32 s1, s50, s1
	s_mul_hi_u32 s20, s50, s33
	s_add_i32 s1, s20, s1
	s_mul_i32 s20, s51, s33
	s_add_i32 s47, s1, s20
	s_waitcnt lgkmcnt(0)
	s_cmp_eq_u32 s0, 0
	s_cselect_b64 s[0:1], -1, 0
	s_lshl_b64 s[52:53], s[40:41], 5
	v_and_b32_e32 v0, 31, v0
	v_pk_mov_b32 v[6:7], s[52:53], s[52:53] op_sel:[0,1]
	v_mul_lo_u32 v24, v0, s41
	v_mad_u64_u32 v[6:7], s[22:23], v0, s40, v[6:7]
	v_add_u32_e32 v7, v24, v7
	v_mov_b32_e32 v3, s53
	v_add_co_u32_e64 v28, s[24:25], s52, v6
	s_load_dwordx2 s[48:49], s[4:5], 0x48
	s_load_dwordx2 s[20:21], s[4:5], 0x20
	v_addc_co_u32_e64 v29, s[24:25], v7, v3, s[24:25]
	v_add_co_u32_e64 v30, s[26:27], s52, v28
	v_addc_co_u32_e64 v31, s[26:27], v29, v3, s[26:27]
	v_add_co_u32_e64 v32, s[28:29], s52, v30
	v_addc_co_u32_e64 v33, s[28:29], v31, v3, s[28:29]
	v_add_co_u32_e64 v34, s[30:31], s52, v32
	v_addc_co_u32_e64 v35, s[30:31], v33, v3, s[30:31]
	v_add_co_u32_e64 v36, s[34:35], s52, v34
	v_mov_b32_e32 v1, 0
	v_addc_co_u32_e64 v37, s[34:35], v35, v3, s[34:35]
	v_add_co_u32_e64 v38, s[36:37], s52, v36
	s_waitcnt lgkmcnt(0)
	v_writelane_b32 v75, s20, 4
	v_cmp_gt_i64_e32 vcc, s[40:41], v[0:1]
	v_addc_co_u32_e64 v39, s[36:37], v37, v3, s[36:37]
	v_mad_u64_u32 v[20:21], s[36:37], v2, s38, 0
	v_writelane_b32 v75, s21, 5
	v_or_b32_e32 v4, 32, v0
	v_mov_b32_e32 v5, v1
	s_and_b64 s[36:37], s[6:7], vcc
	v_cmp_gt_i64_e64 s[20:21], s[40:41], v[4:5]
	v_writelane_b32 v75, s36, 6
	v_or_b32_e32 v8, 64, v0
	v_mov_b32_e32 v9, v1
	v_writelane_b32 v75, s37, 7
	s_and_b64 s[36:37], s[6:7], s[20:21]
	v_cmp_gt_i64_e64 s[22:23], s[40:41], v[8:9]
	v_writelane_b32 v75, s36, 8
	v_or_b32_e32 v10, 0x60, v0
	v_mov_b32_e32 v11, v1
	v_writelane_b32 v75, s37, 9
	s_and_b64 s[36:37], s[6:7], s[22:23]
	v_cmp_gt_i64_e64 s[24:25], s[40:41], v[10:11]
	v_writelane_b32 v75, s36, 10
	v_or_b32_e32 v12, 0x80, v0
	v_mov_b32_e32 v13, v1
	v_writelane_b32 v75, s37, 11
	s_and_b64 s[36:37], s[6:7], s[24:25]
	v_cmp_gt_i64_e64 s[26:27], s[40:41], v[12:13]
	v_writelane_b32 v75, s36, 12
	v_or_b32_e32 v14, 0xa0, v0
	v_mov_b32_e32 v15, v1
	v_writelane_b32 v75, s37, 13
	s_and_b64 s[36:37], s[6:7], s[26:27]
	v_cmp_gt_i64_e64 s[28:29], s[40:41], v[14:15]
	v_writelane_b32 v75, s36, 14
	v_or_b32_e32 v16, 0xc0, v0
	v_mov_b32_e32 v17, v1
	v_writelane_b32 v75, s37, 15
	s_and_b64 s[36:37], s[6:7], s[28:29]
	v_cmp_gt_i64_e64 s[30:31], s[40:41], v[16:17]
	v_writelane_b32 v75, s36, 16
	v_or_b32_e32 v18, 0xe0, v0
	v_mov_b32_e32 v19, v1
	v_writelane_b32 v75, s37, 17
	s_and_b64 s[36:37], s[6:7], s[30:31]
	v_cmp_gt_i64_e64 s[34:35], s[40:41], v[18:19]
	v_writelane_b32 v75, s36, 18
	v_writelane_b32 v75, s37, 19
	s_and_b64 s[6:7], s[6:7], s[34:35]
	s_lshl_b64 s[36:37], s[38:39], 5
	v_writelane_b32 v75, s6, 20
	v_pk_mov_b32 v[22:23], s[36:37], s[36:37] op_sel:[0,1]
	v_writelane_b32 v75, s7, 21
	v_mad_u64_u32 v[22:23], s[6:7], v2, s38, v[22:23]
	s_and_b64 s[6:7], s[2:3], vcc
	v_writelane_b32 v75, s6, 22
	v_writelane_b32 v75, s7, 23
	s_and_b64 s[6:7], s[2:3], s[20:21]
	v_writelane_b32 v75, s6, 24
	v_writelane_b32 v75, s7, 25
	s_and_b64 s[6:7], s[2:3], s[22:23]
	;; [unrolled: 3-line block ×3, first 2 shown]
	v_mul_lo_u32 v25, v2, s39
	v_writelane_b32 v75, s6, 28
	v_add_u32_e32 v23, v25, v23
	v_writelane_b32 v75, s7, 29
	v_mov_b32_e32 v26, s37
	v_add_co_u32_e64 v1, s[6:7], s36, v22
	v_addc_co_u32_e64 v3, s[6:7], v23, v26, s[6:7]
	v_add_co_u32_e64 v5, s[6:7], s36, v1
	v_addc_co_u32_e64 v9, s[6:7], v3, v26, s[6:7]
	;; [unrolled: 2-line block ×5, first 2 shown]
	s_and_b64 s[6:7], s[2:3], s[26:27]
	v_writelane_b32 v75, s6, 30
	v_writelane_b32 v75, s7, 31
	v_add_co_u32_e64 v61, s[6:7], s36, v19
	v_addc_co_u32_e64 v62, s[6:7], v60, v26, s[6:7]
	s_and_b64 s[6:7], s[2:3], s[28:29]
	v_writelane_b32 v75, s6, 32
	v_writelane_b32 v75, s7, 33
	s_and_b64 s[6:7], s[2:3], s[30:31]
	v_writelane_b32 v75, s6, 34
	v_writelane_b32 v75, s7, 35
	;; [unrolled: 3-line block ×3, first 2 shown]
	s_and_b64 s[2:3], s[8:9], vcc
	v_writelane_b32 v75, s2, 38
	v_writelane_b32 v75, s3, 39
	s_and_b64 s[2:3], s[8:9], s[20:21]
	v_writelane_b32 v75, s2, 40
	v_writelane_b32 v75, s3, 41
	s_and_b64 s[2:3], s[8:9], s[22:23]
	;; [unrolled: 3-line block ×7, first 2 shown]
	v_writelane_b32 v75, s2, 52
	v_writelane_b32 v75, s3, 53
	s_and_b64 s[2:3], s[10:11], vcc
	v_writelane_b32 v75, s2, 54
	v_writelane_b32 v75, s3, 55
	s_and_b64 s[2:3], s[10:11], s[20:21]
	v_writelane_b32 v75, s2, 56
	v_writelane_b32 v75, s3, 57
	s_and_b64 s[2:3], s[10:11], s[22:23]
	;; [unrolled: 3-line block ×5, first 2 shown]
                                        ; implicit-def: $vgpr74 : SGPR spill to VGPR lane
	s_and_b64 s[84:85], s[16:17], vcc
	v_writelane_b32 v74, s2, 0
	v_writelane_b32 v74, s3, 1
	s_and_b64 s[2:3], s[10:11], s[30:31]
	v_writelane_b32 v74, s2, 2
	v_writelane_b32 v74, s3, 3
	s_and_b64 s[2:3], s[10:11], s[34:35]
	v_writelane_b32 v74, s2, 4
	v_writelane_b32 v74, s3, 5
	s_and_b64 s[2:3], s[12:13], vcc
	v_writelane_b32 v74, s2, 6
	v_writelane_b32 v74, s3, 7
	s_and_b64 s[2:3], s[12:13], s[20:21]
	v_writelane_b32 v74, s2, 8
	v_writelane_b32 v74, s3, 9
	s_and_b64 s[2:3], s[12:13], s[22:23]
	;; [unrolled: 3-line block ×7, first 2 shown]
	v_writelane_b32 v74, s2, 20
	v_writelane_b32 v74, s3, 21
	s_and_b64 s[2:3], s[14:15], vcc
	v_writelane_b32 v74, s2, 22
	v_writelane_b32 v74, s3, 23
	s_and_b64 s[2:3], s[14:15], s[20:21]
	v_writelane_b32 v74, s2, 24
	v_writelane_b32 v74, s3, 25
	s_and_b64 s[2:3], s[14:15], s[22:23]
	;; [unrolled: 3-line block ×7, first 2 shown]
	v_writelane_b32 v74, s2, 36
	v_writelane_b32 v74, s3, 37
	s_load_dwordx2 s[2:3], s[4:5], 0x30
	s_and_b64 s[86:87], s[16:17], s[20:21]
	s_load_dwordx2 s[4:5], s[4:5], 0x58
	s_and_b64 s[88:89], s[16:17], s[22:23]
	s_and_b64 s[90:91], s[16:17], s[24:25]
	;; [unrolled: 1-line block ×6, first 2 shown]
	s_and_b64 s[38:39], s[18:19], vcc
	s_and_b64 s[20:21], s[18:19], s[20:21]
	s_and_b64 s[22:23], s[18:19], s[22:23]
	;; [unrolled: 1-line block ×7, first 2 shown]
	s_waitcnt lgkmcnt(0)
	s_add_u32 s55, s4, 0x100
	s_addc_u32 s56, s5, 0
	s_add_u32 s57, s48, 0x80
	s_addc_u32 s58, s49, 0
	;; [unrolled: 2-line block ×10, first 2 shown]
	s_add_u32 s73, s4, 0x600
	v_writelane_b32 v74, s2, 38
	s_addc_u32 s12, s5, 0
	v_writelane_b32 v74, s3, 39
	v_mad_u64_u32 v[26:27], s[2:3], v0, s40, 0
	s_add_u32 s13, s48, 0x300
	v_add_u32_e32 v27, v27, v24
	v_add_u32_e32 v21, v21, v25
	v_mad_u64_u32 v[24:25], s[2:3], v2, s40, 0
	s_addc_u32 s74, s49, 0
	v_mov_b32_e32 v40, v25
	s_add_u32 s75, s4, 0x700
	v_mad_u64_u32 v[40:41], s[2:3], v2, s41, v[40:41]
	s_addc_u32 s76, s5, 0
	v_mov_b32_e32 v25, v40
	s_add_u32 s77, s48, 0x380
	s_mul_i32 s46, s50, s33
	v_lshlrev_b64 v[24:25], 2, v[24:25]
	v_lshlrev_b64 v[26:27], 2, v[26:27]
	;; [unrolled: 1-line block ×8, first 2 shown]
	s_movk_i32 s54, 0x80
	s_addc_u32 s6, s49, 0
	s_movk_i32 s7, 0x100
	s_movk_i32 s78, 0x180
	;; [unrolled: 1-line block ×6, first 2 shown]
	s_mov_b64 s[42:43], s[50:51]
	s_branch .LBB155_21
.LBB155_20:                             ;   in Loop: Header=BB155_21 Depth=1
	s_or_b64 exec, exec, s[34:35]
	s_add_u32 s42, s42, 1
	s_addc_u32 s43, s43, 0
	v_pk_mov_b32 v[40:41], s[44:45], s[44:45] op_sel:[0,1]
	v_cmp_ge_i64_e32 vcc, s[42:43], v[40:41]
	s_cbranch_vccnz .LBB155_149
.LBB155_21:                             ; =>This Inner Loop Header: Depth=1
	s_lshl_b64 s[34:35], s[42:43], 3
	v_readlane_b32 s14, v74, 38
	v_readlane_b32 s15, v74, 39
	s_add_u32 s34, s14, s34
	s_addc_u32 s35, s15, s35
	s_load_dwordx2 s[34:35], s[34:35], 0x0
	v_readlane_b32 s14, v75, 0
	v_lshlrev_b32_e32 v65, 2, v0
	s_waitcnt lgkmcnt(0)
	s_sub_u32 s34, s34, s14
	s_subb_u32 s35, s35, 0
	s_mul_i32 s36, s34, s41
	s_mul_hi_u32 s37, s34, s40
	s_sub_u32 s81, s42, s50
	s_mul_i32 s35, s35, s40
	s_subb_u32 s82, s43, s51
	s_add_i32 s36, s37, s36
	s_add_i32 s35, s36, s35
	s_mul_i32 s34, s34, s40
	v_readlane_b32 s14, v75, 1
	s_add_u32 s36, s34, s14
	s_addc_u32 s37, s35, 0
	v_readlane_b32 s14, v75, 3
	s_mul_i32 s34, s42, s14
	s_mul_hi_u32 s35, s42, s33
	v_mov_b32_e32 v41, s37
	v_add_co_u32_e32 v40, vcc, s36, v0
	s_add_i32 s34, s35, s34
	s_mul_i32 s35, s43, s33
	v_addc_co_u32_e32 v41, vcc, 0, v41, vcc
	v_readlane_b32 s15, v75, 2
	s_add_i32 s35, s34, s35
	s_mul_i32 s34, s42, s33
	v_mov_b32_e32 v42, s82
	v_add_co_u32_e32 v44, vcc, s81, v20
	s_lshl_b64 s[34:35], s[34:35], 2
	v_readlane_b32 s14, v75, 4
	v_addc_co_u32_e32 v42, vcc, v21, v42, vcc
	v_readlane_b32 s15, v75, 5
	s_add_u32 s83, s14, s34
	v_mul_lo_u32 v46, v42, s40
	v_pk_mov_b32 v[42:43], s[46:47], s[46:47] op_sel:[0,1]
	s_addc_u32 s14, s15, s35
	v_mad_u64_u32 v[58:59], s[34:35], v44, s40, v[42:43]
	v_lshlrev_b32_e32 v42, 2, v2
	v_mov_b32_e32 v43, s14
	v_add_co_u32_e32 v63, vcc, s83, v42
	v_addc_co_u32_e32 v64, vcc, 0, v43, vcc
	v_mul_lo_u32 v45, v44, s41
	v_mov_b32_e32 v42, s14
	v_add_co_u32_e32 v66, vcc, s83, v24
	v_readlane_b32 s14, v75, 6
	v_add3_u32 v59, v46, v59, v45
	v_addc_co_u32_e32 v67, vcc, v42, v25, vcc
	v_readlane_b32 s15, v75, 7
	s_and_saveexec_b64 s[34:35], s[14:15]
	s_cbranch_execz .LBB155_23
; %bb.22:                               ;   in Loop: Header=BB155_21 Depth=1
	v_add_co_u32_e32 v42, vcc, v66, v65
	v_addc_co_u32_e32 v43, vcc, 0, v67, vcc
	v_add_co_u32_e32 v44, vcc, v63, v26
	v_addc_co_u32_e32 v45, vcc, v64, v27, vcc
	v_cndmask_b32_e64 v43, v45, v43, s[0:1]
	v_cndmask_b32_e64 v42, v44, v42, s[0:1]
	global_load_dword v46, v[42:43], off
	v_add_co_u32_e32 v42, vcc, v58, v0
	v_addc_co_u32_e32 v43, vcc, 0, v59, vcc
	v_lshlrev_b64 v[44:45], 3, v[42:43]
	v_mov_b32_e32 v47, s5
	v_add_co_u32_e32 v44, vcc, s4, v44
	v_addc_co_u32_e32 v45, vcc, v47, v45, vcc
	v_lshlrev_b64 v[42:43], 2, v[42:43]
	global_store_dwordx2 v[44:45], v[40:41], off
	v_mov_b32_e32 v44, s49
	v_add_co_u32_e32 v42, vcc, s48, v42
	v_addc_co_u32_e32 v43, vcc, v44, v43, vcc
	s_waitcnt vmcnt(1)
	global_store_dword v[42:43], v46, off
.LBB155_23:                             ;   in Loop: Header=BB155_21 Depth=1
	s_or_b64 exec, exec, s[34:35]
	v_mov_b32_e32 v43, s37
	v_add_co_u32_e32 v42, vcc, s36, v4
	v_readlane_b32 s14, v75, 8
	v_addc_co_u32_e32 v43, vcc, 0, v43, vcc
	v_lshlrev_b64 v[52:53], 2, v[6:7]
	v_readlane_b32 s15, v75, 9
	s_and_saveexec_b64 s[34:35], s[14:15]
	s_cbranch_execz .LBB155_25
; %bb.24:                               ;   in Loop: Header=BB155_21 Depth=1
	v_add_co_u32_e32 v44, vcc, v66, v65
	v_addc_co_u32_e32 v45, vcc, 0, v67, vcc
	v_add_co_u32_e32 v44, vcc, s54, v44
	v_addc_co_u32_e32 v45, vcc, 0, v45, vcc
	v_add_co_u32_e32 v46, vcc, v63, v52
	v_addc_co_u32_e32 v47, vcc, v64, v53, vcc
	v_cndmask_b32_e64 v45, v47, v45, s[0:1]
	v_cndmask_b32_e64 v44, v46, v44, s[0:1]
	global_load_dword v48, v[44:45], off
	v_add_co_u32_e32 v44, vcc, v58, v0
	v_addc_co_u32_e32 v45, vcc, 0, v59, vcc
	v_lshlrev_b64 v[46:47], 3, v[44:45]
	v_mov_b32_e32 v49, s56
	v_add_co_u32_e32 v46, vcc, s55, v46
	v_addc_co_u32_e32 v47, vcc, v49, v47, vcc
	v_lshlrev_b64 v[44:45], 2, v[44:45]
	global_store_dwordx2 v[46:47], v[42:43], off
	v_mov_b32_e32 v46, s58
	v_add_co_u32_e32 v44, vcc, s57, v44
	v_addc_co_u32_e32 v45, vcc, v46, v45, vcc
	s_waitcnt vmcnt(1)
	global_store_dword v[44:45], v48, off
.LBB155_25:                             ;   in Loop: Header=BB155_21 Depth=1
	s_or_b64 exec, exec, s[34:35]
	v_mov_b32_e32 v45, s37
	v_add_co_u32_e32 v44, vcc, s36, v8
	v_readlane_b32 s14, v75, 10
	v_addc_co_u32_e32 v45, vcc, 0, v45, vcc
	v_readlane_b32 s15, v75, 11
	s_and_saveexec_b64 s[34:35], s[14:15]
	s_cbranch_execz .LBB155_27
; %bb.26:                               ;   in Loop: Header=BB155_21 Depth=1
	v_add_co_u32_e32 v46, vcc, v66, v65
	v_addc_co_u32_e32 v47, vcc, 0, v67, vcc
	v_add_co_u32_e32 v46, vcc, s7, v46
	v_addc_co_u32_e32 v47, vcc, 0, v47, vcc
	v_add_co_u32_e32 v48, vcc, v63, v28
	v_addc_co_u32_e32 v49, vcc, v64, v29, vcc
	v_cndmask_b32_e64 v47, v49, v47, s[0:1]
	v_cndmask_b32_e64 v46, v48, v46, s[0:1]
	global_load_dword v50, v[46:47], off
	v_add_co_u32_e32 v46, vcc, v58, v0
	v_addc_co_u32_e32 v47, vcc, 0, v59, vcc
	v_lshlrev_b64 v[48:49], 3, v[46:47]
	v_mov_b32_e32 v51, s10
	v_add_co_u32_e32 v48, vcc, s59, v48
	v_addc_co_u32_e32 v49, vcc, v51, v49, vcc
	v_lshlrev_b64 v[46:47], 2, v[46:47]
	global_store_dwordx2 v[48:49], v[44:45], off
	v_mov_b32_e32 v48, s60
	v_add_co_u32_e32 v46, vcc, s11, v46
	v_addc_co_u32_e32 v47, vcc, v48, v47, vcc
	s_waitcnt vmcnt(1)
	global_store_dword v[46:47], v50, off
.LBB155_27:                             ;   in Loop: Header=BB155_21 Depth=1
	s_or_b64 exec, exec, s[34:35]
	v_mov_b32_e32 v47, s37
	v_add_co_u32_e32 v46, vcc, s36, v10
	v_readlane_b32 s14, v75, 12
	v_addc_co_u32_e32 v47, vcc, 0, v47, vcc
	;; [unrolled: 32-line block ×6, first 2 shown]
	v_readlane_b32 s15, v75, 21
	s_and_saveexec_b64 s[34:35], s[14:15]
	s_cbranch_execz .LBB155_37
; %bb.36:                               ;   in Loop: Header=BB155_21 Depth=1
	v_add_co_u32_e32 v68, vcc, v66, v65
	v_addc_co_u32_e32 v69, vcc, 0, v67, vcc
	v_add_co_u32_e32 v68, vcc, s80, v68
	v_addc_co_u32_e32 v69, vcc, 0, v69, vcc
	;; [unrolled: 2-line block ×3, first 2 shown]
	v_cndmask_b32_e64 v69, v71, v69, s[0:1]
	v_cndmask_b32_e64 v68, v70, v68, s[0:1]
	global_load_dword v70, v[68:69], off
	v_add_co_u32_e32 v58, vcc, v58, v0
	v_addc_co_u32_e32 v59, vcc, 0, v59, vcc
	v_lshlrev_b64 v[68:69], 3, v[58:59]
	v_mov_b32_e32 v71, s76
	v_add_co_u32_e32 v68, vcc, s75, v68
	v_addc_co_u32_e32 v69, vcc, v71, v69, vcc
	v_lshlrev_b64 v[58:59], 2, v[58:59]
	global_store_dwordx2 v[68:69], v[56:57], off
	v_mov_b32_e32 v68, s6
	v_add_co_u32_e32 v58, vcc, s77, v58
	v_addc_co_u32_e32 v59, vcc, v68, v59, vcc
	s_waitcnt vmcnt(1)
	global_store_dword v[58:59], v70, off
.LBB155_37:                             ;   in Loop: Header=BB155_21 Depth=1
	s_or_b64 exec, exec, s[34:35]
	v_mov_b32_e32 v58, s82
	v_add_co_u32_e32 v68, vcc, s81, v22
	v_addc_co_u32_e32 v58, vcc, v23, v58, vcc
	v_mul_lo_u32 v70, v58, s40
	v_pk_mov_b32 v[58:59], s[46:47], s[46:47] op_sel:[0,1]
	v_mad_u64_u32 v[58:59], s[34:35], v68, s40, v[58:59]
	s_lshl_b64 s[34:35], s[52:53], 2
	v_mul_lo_u32 v69, v68, s41
	v_mov_b32_e32 v68, s35
	v_add_co_u32_e32 v66, vcc, s34, v66
	v_readlane_b32 s14, v75, 22
	v_add3_u32 v59, v70, v59, v69
	v_addc_co_u32_e32 v67, vcc, v67, v68, vcc
	v_readlane_b32 s15, v75, 23
	s_and_saveexec_b64 s[36:37], s[14:15]
	s_cbranch_execz .LBB155_39
; %bb.38:                               ;   in Loop: Header=BB155_21 Depth=1
	v_add_co_u32_e32 v68, vcc, v66, v65
	v_addc_co_u32_e32 v69, vcc, 0, v67, vcc
	v_add_co_u32_e32 v70, vcc, v63, v26
	v_addc_co_u32_e32 v71, vcc, v64, v27, vcc
	;; [unrolled: 2-line block ×3, first 2 shown]
	v_cndmask_b32_e64 v69, v71, v69, s[0:1]
	v_cndmask_b32_e64 v68, v70, v68, s[0:1]
	global_load_dword v72, v[68:69], off
	v_add_co_u32_e32 v68, vcc, v58, v0
	v_addc_co_u32_e32 v69, vcc, 0, v59, vcc
	v_lshlrev_b64 v[70:71], 3, v[68:69]
	v_mov_b32_e32 v73, s5
	v_add_co_u32_e32 v70, vcc, s4, v70
	v_addc_co_u32_e32 v71, vcc, v73, v71, vcc
	v_lshlrev_b64 v[68:69], 2, v[68:69]
	global_store_dwordx2 v[70:71], v[40:41], off
	v_mov_b32_e32 v70, s49
	v_add_co_u32_e32 v68, vcc, s48, v68
	v_addc_co_u32_e32 v69, vcc, v70, v69, vcc
	s_waitcnt vmcnt(1)
	global_store_dword v[68:69], v72, off
.LBB155_39:                             ;   in Loop: Header=BB155_21 Depth=1
	s_or_b64 exec, exec, s[36:37]
	v_readlane_b32 s14, v75, 24
	v_readlane_b32 s15, v75, 25
	s_and_saveexec_b64 s[36:37], s[14:15]
	s_cbranch_execz .LBB155_41
; %bb.40:                               ;   in Loop: Header=BB155_21 Depth=1
	v_add_co_u32_e32 v68, vcc, v66, v65
	v_addc_co_u32_e32 v69, vcc, 0, v67, vcc
	v_add_co_u32_e32 v70, vcc, v63, v52
	v_addc_co_u32_e32 v71, vcc, v64, v53, vcc
	v_cndmask_b32_e64 v69, v71, v69, s[0:1]
	v_cndmask_b32_e64 v68, v70, v68, s[0:1]
	global_load_dword v72, v[68:69], off offset:128
	v_add_co_u32_e32 v68, vcc, v58, v0
	v_addc_co_u32_e32 v69, vcc, 0, v59, vcc
	v_lshlrev_b64 v[70:71], 3, v[68:69]
	v_mov_b32_e32 v73, s56
	v_add_co_u32_e32 v70, vcc, s55, v70
	v_addc_co_u32_e32 v71, vcc, v73, v71, vcc
	v_lshlrev_b64 v[68:69], 2, v[68:69]
	global_store_dwordx2 v[70:71], v[42:43], off
	v_mov_b32_e32 v70, s58
	v_add_co_u32_e32 v68, vcc, s57, v68
	v_addc_co_u32_e32 v69, vcc, v70, v69, vcc
	s_waitcnt vmcnt(1)
	global_store_dword v[68:69], v72, off
.LBB155_41:                             ;   in Loop: Header=BB155_21 Depth=1
	s_or_b64 exec, exec, s[36:37]
	v_readlane_b32 s14, v75, 26
	v_readlane_b32 s15, v75, 27
	s_and_saveexec_b64 s[36:37], s[14:15]
	s_cbranch_execz .LBB155_43
; %bb.42:                               ;   in Loop: Header=BB155_21 Depth=1
	v_add_co_u32_e32 v68, vcc, v66, v65
	v_addc_co_u32_e32 v69, vcc, 0, v67, vcc
	v_add_co_u32_e32 v68, vcc, s7, v68
	v_addc_co_u32_e32 v69, vcc, 0, v69, vcc
	v_add_co_u32_e32 v70, vcc, v63, v28
	v_addc_co_u32_e32 v71, vcc, v64, v29, vcc
	v_add_co_u32_e32 v70, vcc, 0x80, v70
	v_addc_co_u32_e32 v71, vcc, 0, v71, vcc
	v_cndmask_b32_e64 v69, v71, v69, s[0:1]
	v_cndmask_b32_e64 v68, v70, v68, s[0:1]
	global_load_dword v72, v[68:69], off
	v_add_co_u32_e32 v68, vcc, v58, v0
	v_addc_co_u32_e32 v69, vcc, 0, v59, vcc
	v_lshlrev_b64 v[70:71], 3, v[68:69]
	v_mov_b32_e32 v73, s10
	v_add_co_u32_e32 v70, vcc, s59, v70
	v_addc_co_u32_e32 v71, vcc, v73, v71, vcc
	v_lshlrev_b64 v[68:69], 2, v[68:69]
	global_store_dwordx2 v[70:71], v[44:45], off
	v_mov_b32_e32 v70, s60
	v_add_co_u32_e32 v68, vcc, s11, v68
	v_addc_co_u32_e32 v69, vcc, v70, v69, vcc
	s_waitcnt vmcnt(1)
	global_store_dword v[68:69], v72, off
.LBB155_43:                             ;   in Loop: Header=BB155_21 Depth=1
	s_or_b64 exec, exec, s[36:37]
	v_readlane_b32 s14, v75, 28
	v_readlane_b32 s15, v75, 29
	s_and_saveexec_b64 s[36:37], s[14:15]
	s_cbranch_execz .LBB155_45
; %bb.44:                               ;   in Loop: Header=BB155_21 Depth=1
	v_add_co_u32_e32 v68, vcc, v66, v65
	v_addc_co_u32_e32 v69, vcc, 0, v67, vcc
	v_add_co_u32_e32 v68, vcc, s78, v68
	v_addc_co_u32_e32 v69, vcc, 0, v69, vcc
	v_add_co_u32_e32 v70, vcc, v63, v30
	v_addc_co_u32_e32 v71, vcc, v64, v31, vcc
	v_add_co_u32_e32 v70, vcc, 0x80, v70
	v_addc_co_u32_e32 v71, vcc, 0, v71, vcc
	v_cndmask_b32_e64 v69, v71, v69, s[0:1]
	v_cndmask_b32_e64 v68, v70, v68, s[0:1]
	global_load_dword v72, v[68:69], off
	v_add_co_u32_e32 v68, vcc, v58, v0
	v_addc_co_u32_e32 v69, vcc, 0, v59, vcc
	v_lshlrev_b64 v[70:71], 3, v[68:69]
	v_mov_b32_e32 v73, s62
	v_add_co_u32_e32 v70, vcc, s61, v70
	v_addc_co_u32_e32 v71, vcc, v73, v71, vcc
	v_lshlrev_b64 v[68:69], 2, v[68:69]
	global_store_dwordx2 v[70:71], v[46:47], off
	v_mov_b32_e32 v70, s64
	v_add_co_u32_e32 v68, vcc, s63, v68
	v_addc_co_u32_e32 v69, vcc, v70, v69, vcc
	s_waitcnt vmcnt(1)
	global_store_dword v[68:69], v72, off
.LBB155_45:                             ;   in Loop: Header=BB155_21 Depth=1
	;; [unrolled: 31-line block ×6, first 2 shown]
	s_or_b64 exec, exec, s[36:37]
	v_mov_b32_e32 v58, s82
	v_add_co_u32_e32 v68, vcc, s81, v1
	v_addc_co_u32_e32 v58, vcc, v3, v58, vcc
	v_mul_lo_u32 v70, v58, s40
	v_pk_mov_b32 v[58:59], s[46:47], s[46:47] op_sel:[0,1]
	v_mul_lo_u32 v69, v68, s41
	v_mad_u64_u32 v[58:59], s[36:37], v68, s40, v[58:59]
	v_mov_b32_e32 v68, s35
	v_add_co_u32_e32 v66, vcc, s34, v66
	v_readlane_b32 s14, v75, 38
	v_add3_u32 v59, v70, v59, v69
	v_addc_co_u32_e32 v67, vcc, v67, v68, vcc
	v_readlane_b32 s15, v75, 39
	s_and_saveexec_b64 s[36:37], s[14:15]
	s_cbranch_execz .LBB155_55
; %bb.54:                               ;   in Loop: Header=BB155_21 Depth=1
	v_add_co_u32_e32 v68, vcc, v66, v65
	v_addc_co_u32_e32 v69, vcc, 0, v67, vcc
	v_add_co_u32_e32 v70, vcc, v63, v26
	v_addc_co_u32_e32 v71, vcc, v64, v27, vcc
	;; [unrolled: 2-line block ×3, first 2 shown]
	v_cndmask_b32_e64 v69, v71, v69, s[0:1]
	v_cndmask_b32_e64 v68, v70, v68, s[0:1]
	global_load_dword v72, v[68:69], off
	v_add_co_u32_e32 v68, vcc, v58, v0
	v_addc_co_u32_e32 v69, vcc, 0, v59, vcc
	v_lshlrev_b64 v[70:71], 3, v[68:69]
	v_mov_b32_e32 v73, s5
	v_add_co_u32_e32 v70, vcc, s4, v70
	v_addc_co_u32_e32 v71, vcc, v73, v71, vcc
	v_lshlrev_b64 v[68:69], 2, v[68:69]
	global_store_dwordx2 v[70:71], v[40:41], off
	v_mov_b32_e32 v70, s49
	v_add_co_u32_e32 v68, vcc, s48, v68
	v_addc_co_u32_e32 v69, vcc, v70, v69, vcc
	s_waitcnt vmcnt(1)
	global_store_dword v[68:69], v72, off
.LBB155_55:                             ;   in Loop: Header=BB155_21 Depth=1
	s_or_b64 exec, exec, s[36:37]
	v_readlane_b32 s14, v75, 40
	v_readlane_b32 s15, v75, 41
	s_and_saveexec_b64 s[36:37], s[14:15]
	s_cbranch_execz .LBB155_57
; %bb.56:                               ;   in Loop: Header=BB155_21 Depth=1
	v_add_co_u32_e32 v68, vcc, v66, v65
	v_addc_co_u32_e32 v69, vcc, 0, v67, vcc
	v_add_co_u32_e32 v68, vcc, s54, v68
	v_addc_co_u32_e32 v69, vcc, 0, v69, vcc
	;; [unrolled: 2-line block ×4, first 2 shown]
	v_cndmask_b32_e64 v69, v71, v69, s[0:1]
	v_cndmask_b32_e64 v68, v70, v68, s[0:1]
	global_load_dword v72, v[68:69], off
	v_add_co_u32_e32 v68, vcc, v58, v0
	v_addc_co_u32_e32 v69, vcc, 0, v59, vcc
	v_lshlrev_b64 v[70:71], 3, v[68:69]
	v_mov_b32_e32 v73, s56
	v_add_co_u32_e32 v70, vcc, s55, v70
	v_addc_co_u32_e32 v71, vcc, v73, v71, vcc
	v_lshlrev_b64 v[68:69], 2, v[68:69]
	global_store_dwordx2 v[70:71], v[42:43], off
	v_mov_b32_e32 v70, s58
	v_add_co_u32_e32 v68, vcc, s57, v68
	v_addc_co_u32_e32 v69, vcc, v70, v69, vcc
	s_waitcnt vmcnt(1)
	global_store_dword v[68:69], v72, off
.LBB155_57:                             ;   in Loop: Header=BB155_21 Depth=1
	s_or_b64 exec, exec, s[36:37]
	v_readlane_b32 s14, v75, 42
	v_readlane_b32 s15, v75, 43
	s_and_saveexec_b64 s[36:37], s[14:15]
	s_cbranch_execz .LBB155_59
; %bb.58:                               ;   in Loop: Header=BB155_21 Depth=1
	v_add_co_u32_e32 v68, vcc, v66, v65
	v_addc_co_u32_e32 v69, vcc, 0, v67, vcc
	v_add_co_u32_e32 v70, vcc, v63, v28
	v_addc_co_u32_e32 v71, vcc, v64, v29, vcc
	v_cndmask_b32_e64 v69, v71, v69, s[0:1]
	v_cndmask_b32_e64 v68, v70, v68, s[0:1]
	global_load_dword v72, v[68:69], off offset:256
	v_add_co_u32_e32 v68, vcc, v58, v0
	v_addc_co_u32_e32 v69, vcc, 0, v59, vcc
	v_lshlrev_b64 v[70:71], 3, v[68:69]
	v_mov_b32_e32 v73, s10
	v_add_co_u32_e32 v70, vcc, s59, v70
	v_addc_co_u32_e32 v71, vcc, v73, v71, vcc
	v_lshlrev_b64 v[68:69], 2, v[68:69]
	global_store_dwordx2 v[70:71], v[44:45], off
	v_mov_b32_e32 v70, s60
	v_add_co_u32_e32 v68, vcc, s11, v68
	v_addc_co_u32_e32 v69, vcc, v70, v69, vcc
	s_waitcnt vmcnt(1)
	global_store_dword v[68:69], v72, off
.LBB155_59:                             ;   in Loop: Header=BB155_21 Depth=1
	s_or_b64 exec, exec, s[36:37]
	v_readlane_b32 s14, v75, 44
	v_readlane_b32 s15, v75, 45
	s_and_saveexec_b64 s[36:37], s[14:15]
	s_cbranch_execz .LBB155_61
; %bb.60:                               ;   in Loop: Header=BB155_21 Depth=1
	v_add_co_u32_e32 v68, vcc, v66, v65
	v_addc_co_u32_e32 v69, vcc, 0, v67, vcc
	v_add_co_u32_e32 v68, vcc, s78, v68
	v_addc_co_u32_e32 v69, vcc, 0, v69, vcc
	v_add_co_u32_e32 v70, vcc, v63, v30
	v_addc_co_u32_e32 v71, vcc, v64, v31, vcc
	v_add_co_u32_e32 v70, vcc, 0x100, v70
	v_addc_co_u32_e32 v71, vcc, 0, v71, vcc
	v_cndmask_b32_e64 v69, v71, v69, s[0:1]
	v_cndmask_b32_e64 v68, v70, v68, s[0:1]
	global_load_dword v72, v[68:69], off
	v_add_co_u32_e32 v68, vcc, v58, v0
	v_addc_co_u32_e32 v69, vcc, 0, v59, vcc
	v_lshlrev_b64 v[70:71], 3, v[68:69]
	v_mov_b32_e32 v73, s62
	v_add_co_u32_e32 v70, vcc, s61, v70
	v_addc_co_u32_e32 v71, vcc, v73, v71, vcc
	v_lshlrev_b64 v[68:69], 2, v[68:69]
	global_store_dwordx2 v[70:71], v[46:47], off
	v_mov_b32_e32 v70, s64
	v_add_co_u32_e32 v68, vcc, s63, v68
	v_addc_co_u32_e32 v69, vcc, v70, v69, vcc
	s_waitcnt vmcnt(1)
	global_store_dword v[68:69], v72, off
.LBB155_61:                             ;   in Loop: Header=BB155_21 Depth=1
	s_or_b64 exec, exec, s[36:37]
	v_readlane_b32 s14, v75, 46
	v_readlane_b32 s15, v75, 47
	s_and_saveexec_b64 s[36:37], s[14:15]
	s_cbranch_execz .LBB155_63
; %bb.62:                               ;   in Loop: Header=BB155_21 Depth=1
	v_add_co_u32_e32 v68, vcc, v66, v65
	v_addc_co_u32_e32 v69, vcc, 0, v67, vcc
	v_add_co_u32_e32 v68, vcc, s79, v68
	v_addc_co_u32_e32 v69, vcc, 0, v69, vcc
	v_add_co_u32_e32 v70, vcc, v63, v32
	v_addc_co_u32_e32 v71, vcc, v64, v33, vcc
	v_add_co_u32_e32 v70, vcc, 0x100, v70
	v_addc_co_u32_e32 v71, vcc, 0, v71, vcc
	v_cndmask_b32_e64 v69, v71, v69, s[0:1]
	v_cndmask_b32_e64 v68, v70, v68, s[0:1]
	global_load_dword v72, v[68:69], off
	v_add_co_u32_e32 v68, vcc, v58, v0
	v_addc_co_u32_e32 v69, vcc, 0, v59, vcc
	v_lshlrev_b64 v[70:71], 3, v[68:69]
	v_mov_b32_e32 v73, s66
	v_add_co_u32_e32 v70, vcc, s65, v70
	v_addc_co_u32_e32 v71, vcc, v73, v71, vcc
	v_lshlrev_b64 v[68:69], 2, v[68:69]
	global_store_dwordx2 v[70:71], v[48:49], off
	v_mov_b32_e32 v70, s68
	v_add_co_u32_e32 v68, vcc, s67, v68
	v_addc_co_u32_e32 v69, vcc, v70, v69, vcc
	s_waitcnt vmcnt(1)
	global_store_dword v[68:69], v72, off
.LBB155_63:                             ;   in Loop: Header=BB155_21 Depth=1
	;; [unrolled: 31-line block ×5, first 2 shown]
	s_or_b64 exec, exec, s[36:37]
	v_mov_b32_e32 v58, s82
	v_add_co_u32_e32 v68, vcc, s81, v5
	v_addc_co_u32_e32 v58, vcc, v9, v58, vcc
	v_mul_lo_u32 v70, v58, s40
	v_pk_mov_b32 v[58:59], s[46:47], s[46:47] op_sel:[0,1]
	v_mul_lo_u32 v69, v68, s41
	v_mad_u64_u32 v[58:59], s[36:37], v68, s40, v[58:59]
	v_mov_b32_e32 v68, s35
	v_add_co_u32_e32 v66, vcc, s34, v66
	v_readlane_b32 s14, v75, 54
	v_add3_u32 v59, v70, v59, v69
	v_addc_co_u32_e32 v67, vcc, v67, v68, vcc
	v_readlane_b32 s15, v75, 55
	s_and_saveexec_b64 s[36:37], s[14:15]
	s_cbranch_execz .LBB155_71
; %bb.70:                               ;   in Loop: Header=BB155_21 Depth=1
	v_add_co_u32_e32 v68, vcc, v66, v65
	v_addc_co_u32_e32 v69, vcc, 0, v67, vcc
	v_add_co_u32_e32 v70, vcc, v63, v26
	v_addc_co_u32_e32 v71, vcc, v64, v27, vcc
	;; [unrolled: 2-line block ×3, first 2 shown]
	v_cndmask_b32_e64 v69, v71, v69, s[0:1]
	v_cndmask_b32_e64 v68, v70, v68, s[0:1]
	global_load_dword v72, v[68:69], off
	v_add_co_u32_e32 v68, vcc, v58, v0
	v_addc_co_u32_e32 v69, vcc, 0, v59, vcc
	v_lshlrev_b64 v[70:71], 3, v[68:69]
	v_mov_b32_e32 v73, s5
	v_add_co_u32_e32 v70, vcc, s4, v70
	v_addc_co_u32_e32 v71, vcc, v73, v71, vcc
	v_lshlrev_b64 v[68:69], 2, v[68:69]
	global_store_dwordx2 v[70:71], v[40:41], off
	v_mov_b32_e32 v70, s49
	v_add_co_u32_e32 v68, vcc, s48, v68
	v_addc_co_u32_e32 v69, vcc, v70, v69, vcc
	s_waitcnt vmcnt(1)
	global_store_dword v[68:69], v72, off
.LBB155_71:                             ;   in Loop: Header=BB155_21 Depth=1
	s_or_b64 exec, exec, s[36:37]
	v_readlane_b32 s14, v75, 56
	v_readlane_b32 s15, v75, 57
	s_and_saveexec_b64 s[36:37], s[14:15]
	s_cbranch_execz .LBB155_73
; %bb.72:                               ;   in Loop: Header=BB155_21 Depth=1
	v_add_co_u32_e32 v68, vcc, v66, v65
	v_addc_co_u32_e32 v69, vcc, 0, v67, vcc
	v_add_co_u32_e32 v68, vcc, s54, v68
	v_addc_co_u32_e32 v69, vcc, 0, v69, vcc
	;; [unrolled: 2-line block ×4, first 2 shown]
	v_cndmask_b32_e64 v69, v71, v69, s[0:1]
	v_cndmask_b32_e64 v68, v70, v68, s[0:1]
	global_load_dword v72, v[68:69], off
	v_add_co_u32_e32 v68, vcc, v58, v0
	v_addc_co_u32_e32 v69, vcc, 0, v59, vcc
	v_lshlrev_b64 v[70:71], 3, v[68:69]
	v_mov_b32_e32 v73, s56
	v_add_co_u32_e32 v70, vcc, s55, v70
	v_addc_co_u32_e32 v71, vcc, v73, v71, vcc
	v_lshlrev_b64 v[68:69], 2, v[68:69]
	global_store_dwordx2 v[70:71], v[42:43], off
	v_mov_b32_e32 v70, s58
	v_add_co_u32_e32 v68, vcc, s57, v68
	v_addc_co_u32_e32 v69, vcc, v70, v69, vcc
	s_waitcnt vmcnt(1)
	global_store_dword v[68:69], v72, off
.LBB155_73:                             ;   in Loop: Header=BB155_21 Depth=1
	s_or_b64 exec, exec, s[36:37]
	v_readlane_b32 s14, v75, 58
	v_readlane_b32 s15, v75, 59
	s_and_saveexec_b64 s[36:37], s[14:15]
	s_cbranch_execz .LBB155_75
; %bb.74:                               ;   in Loop: Header=BB155_21 Depth=1
	v_add_co_u32_e32 v68, vcc, v66, v65
	v_addc_co_u32_e32 v69, vcc, 0, v67, vcc
	v_add_co_u32_e32 v68, vcc, s7, v68
	v_addc_co_u32_e32 v69, vcc, 0, v69, vcc
	;; [unrolled: 2-line block ×4, first 2 shown]
	v_cndmask_b32_e64 v69, v71, v69, s[0:1]
	v_cndmask_b32_e64 v68, v70, v68, s[0:1]
	global_load_dword v72, v[68:69], off
	v_add_co_u32_e32 v68, vcc, v58, v0
	v_addc_co_u32_e32 v69, vcc, 0, v59, vcc
	v_lshlrev_b64 v[70:71], 3, v[68:69]
	v_mov_b32_e32 v73, s10
	v_add_co_u32_e32 v70, vcc, s59, v70
	v_addc_co_u32_e32 v71, vcc, v73, v71, vcc
	v_lshlrev_b64 v[68:69], 2, v[68:69]
	global_store_dwordx2 v[70:71], v[44:45], off
	v_mov_b32_e32 v70, s60
	v_add_co_u32_e32 v68, vcc, s11, v68
	v_addc_co_u32_e32 v69, vcc, v70, v69, vcc
	s_waitcnt vmcnt(1)
	global_store_dword v[68:69], v72, off
.LBB155_75:                             ;   in Loop: Header=BB155_21 Depth=1
	s_or_b64 exec, exec, s[36:37]
	v_readlane_b32 s14, v75, 60
	v_readlane_b32 s15, v75, 61
	s_and_saveexec_b64 s[36:37], s[14:15]
	s_cbranch_execz .LBB155_77
; %bb.76:                               ;   in Loop: Header=BB155_21 Depth=1
	v_add_co_u32_e32 v68, vcc, v66, v65
	v_addc_co_u32_e32 v69, vcc, 0, v67, vcc
	v_add_co_u32_e32 v70, vcc, v63, v30
	v_addc_co_u32_e32 v71, vcc, v64, v31, vcc
	v_cndmask_b32_e64 v69, v71, v69, s[0:1]
	v_cndmask_b32_e64 v68, v70, v68, s[0:1]
	global_load_dword v72, v[68:69], off offset:384
	v_add_co_u32_e32 v68, vcc, v58, v0
	v_addc_co_u32_e32 v69, vcc, 0, v59, vcc
	v_lshlrev_b64 v[70:71], 3, v[68:69]
	v_mov_b32_e32 v73, s62
	v_add_co_u32_e32 v70, vcc, s61, v70
	v_addc_co_u32_e32 v71, vcc, v73, v71, vcc
	v_lshlrev_b64 v[68:69], 2, v[68:69]
	global_store_dwordx2 v[70:71], v[46:47], off
	v_mov_b32_e32 v70, s64
	v_add_co_u32_e32 v68, vcc, s63, v68
	v_addc_co_u32_e32 v69, vcc, v70, v69, vcc
	s_waitcnt vmcnt(1)
	global_store_dword v[68:69], v72, off
.LBB155_77:                             ;   in Loop: Header=BB155_21 Depth=1
	s_or_b64 exec, exec, s[36:37]
	v_readlane_b32 s14, v75, 62
	v_readlane_b32 s15, v75, 63
	s_and_saveexec_b64 s[36:37], s[14:15]
	s_cbranch_execz .LBB155_79
; %bb.78:                               ;   in Loop: Header=BB155_21 Depth=1
	v_add_co_u32_e32 v68, vcc, v66, v65
	v_addc_co_u32_e32 v69, vcc, 0, v67, vcc
	v_add_co_u32_e32 v68, vcc, s79, v68
	v_addc_co_u32_e32 v69, vcc, 0, v69, vcc
	v_add_co_u32_e32 v70, vcc, v63, v32
	v_addc_co_u32_e32 v71, vcc, v64, v33, vcc
	v_add_co_u32_e32 v70, vcc, 0x180, v70
	v_addc_co_u32_e32 v71, vcc, 0, v71, vcc
	v_cndmask_b32_e64 v69, v71, v69, s[0:1]
	v_cndmask_b32_e64 v68, v70, v68, s[0:1]
	global_load_dword v72, v[68:69], off
	v_add_co_u32_e32 v68, vcc, v58, v0
	v_addc_co_u32_e32 v69, vcc, 0, v59, vcc
	v_lshlrev_b64 v[70:71], 3, v[68:69]
	v_mov_b32_e32 v73, s66
	v_add_co_u32_e32 v70, vcc, s65, v70
	v_addc_co_u32_e32 v71, vcc, v73, v71, vcc
	v_lshlrev_b64 v[68:69], 2, v[68:69]
	global_store_dwordx2 v[70:71], v[48:49], off
	v_mov_b32_e32 v70, s68
	v_add_co_u32_e32 v68, vcc, s67, v68
	v_addc_co_u32_e32 v69, vcc, v70, v69, vcc
	s_waitcnt vmcnt(1)
	global_store_dword v[68:69], v72, off
.LBB155_79:                             ;   in Loop: Header=BB155_21 Depth=1
	s_or_b64 exec, exec, s[36:37]
	v_readlane_b32 s14, v74, 0
	v_readlane_b32 s15, v74, 1
	s_and_saveexec_b64 s[36:37], s[14:15]
	s_cbranch_execz .LBB155_81
; %bb.80:                               ;   in Loop: Header=BB155_21 Depth=1
	v_add_co_u32_e32 v68, vcc, v66, v65
	v_addc_co_u32_e32 v69, vcc, 0, v67, vcc
	v_add_co_u32_e32 v68, vcc, s2, v68
	v_addc_co_u32_e32 v69, vcc, 0, v69, vcc
	v_add_co_u32_e32 v70, vcc, v63, v34
	v_addc_co_u32_e32 v71, vcc, v64, v35, vcc
	v_add_co_u32_e32 v70, vcc, 0x180, v70
	v_addc_co_u32_e32 v71, vcc, 0, v71, vcc
	v_cndmask_b32_e64 v69, v71, v69, s[0:1]
	v_cndmask_b32_e64 v68, v70, v68, s[0:1]
	global_load_dword v72, v[68:69], off
	v_add_co_u32_e32 v68, vcc, v58, v0
	v_addc_co_u32_e32 v69, vcc, 0, v59, vcc
	v_lshlrev_b64 v[70:71], 3, v[68:69]
	v_mov_b32_e32 v73, s70
	v_add_co_u32_e32 v70, vcc, s69, v70
	v_addc_co_u32_e32 v71, vcc, v73, v71, vcc
	v_lshlrev_b64 v[68:69], 2, v[68:69]
	global_store_dwordx2 v[70:71], v[50:51], off
	v_mov_b32_e32 v70, s72
	v_add_co_u32_e32 v68, vcc, s71, v68
	v_addc_co_u32_e32 v69, vcc, v70, v69, vcc
	s_waitcnt vmcnt(1)
	global_store_dword v[68:69], v72, off
.LBB155_81:                             ;   in Loop: Header=BB155_21 Depth=1
	;; [unrolled: 31-line block ×4, first 2 shown]
	s_or_b64 exec, exec, s[36:37]
	v_mov_b32_e32 v58, s82
	v_add_co_u32_e32 v68, vcc, s81, v11
	v_addc_co_u32_e32 v58, vcc, v13, v58, vcc
	v_mul_lo_u32 v70, v58, s40
	v_pk_mov_b32 v[58:59], s[46:47], s[46:47] op_sel:[0,1]
	v_mul_lo_u32 v69, v68, s41
	v_mad_u64_u32 v[58:59], s[36:37], v68, s40, v[58:59]
	v_mov_b32_e32 v68, s35
	v_add_co_u32_e32 v66, vcc, s34, v66
	v_readlane_b32 s14, v74, 6
	v_add3_u32 v59, v70, v59, v69
	v_addc_co_u32_e32 v67, vcc, v67, v68, vcc
	v_readlane_b32 s15, v74, 7
	s_and_saveexec_b64 s[36:37], s[14:15]
	s_cbranch_execz .LBB155_87
; %bb.86:                               ;   in Loop: Header=BB155_21 Depth=1
	v_add_co_u32_e32 v68, vcc, v66, v65
	v_addc_co_u32_e32 v69, vcc, 0, v67, vcc
	v_add_co_u32_e32 v70, vcc, v63, v26
	v_addc_co_u32_e32 v71, vcc, v64, v27, vcc
	v_add_co_u32_e32 v70, vcc, 0x200, v70
	v_addc_co_u32_e32 v71, vcc, 0, v71, vcc
	v_cndmask_b32_e64 v69, v71, v69, s[0:1]
	v_cndmask_b32_e64 v68, v70, v68, s[0:1]
	global_load_dword v72, v[68:69], off
	v_add_co_u32_e32 v68, vcc, v58, v0
	v_addc_co_u32_e32 v69, vcc, 0, v59, vcc
	v_lshlrev_b64 v[70:71], 3, v[68:69]
	v_mov_b32_e32 v73, s5
	v_add_co_u32_e32 v70, vcc, s4, v70
	v_addc_co_u32_e32 v71, vcc, v73, v71, vcc
	v_lshlrev_b64 v[68:69], 2, v[68:69]
	global_store_dwordx2 v[70:71], v[40:41], off
	v_mov_b32_e32 v70, s49
	v_add_co_u32_e32 v68, vcc, s48, v68
	v_addc_co_u32_e32 v69, vcc, v70, v69, vcc
	s_waitcnt vmcnt(1)
	global_store_dword v[68:69], v72, off
.LBB155_87:                             ;   in Loop: Header=BB155_21 Depth=1
	s_or_b64 exec, exec, s[36:37]
	v_readlane_b32 s14, v74, 8
	v_readlane_b32 s15, v74, 9
	s_and_saveexec_b64 s[36:37], s[14:15]
	s_cbranch_execz .LBB155_89
; %bb.88:                               ;   in Loop: Header=BB155_21 Depth=1
	v_add_co_u32_e32 v68, vcc, v66, v65
	v_addc_co_u32_e32 v69, vcc, 0, v67, vcc
	v_add_co_u32_e32 v68, vcc, s54, v68
	v_addc_co_u32_e32 v69, vcc, 0, v69, vcc
	v_add_co_u32_e32 v70, vcc, v63, v52
	v_addc_co_u32_e32 v71, vcc, v64, v53, vcc
	v_add_co_u32_e32 v70, vcc, 0x200, v70
	v_addc_co_u32_e32 v71, vcc, 0, v71, vcc
	v_cndmask_b32_e64 v69, v71, v69, s[0:1]
	v_cndmask_b32_e64 v68, v70, v68, s[0:1]
	global_load_dword v72, v[68:69], off
	v_add_co_u32_e32 v68, vcc, v58, v0
	v_addc_co_u32_e32 v69, vcc, 0, v59, vcc
	v_lshlrev_b64 v[70:71], 3, v[68:69]
	v_mov_b32_e32 v73, s56
	v_add_co_u32_e32 v70, vcc, s55, v70
	v_addc_co_u32_e32 v71, vcc, v73, v71, vcc
	v_lshlrev_b64 v[68:69], 2, v[68:69]
	global_store_dwordx2 v[70:71], v[42:43], off
	v_mov_b32_e32 v70, s58
	v_add_co_u32_e32 v68, vcc, s57, v68
	v_addc_co_u32_e32 v69, vcc, v70, v69, vcc
	s_waitcnt vmcnt(1)
	global_store_dword v[68:69], v72, off
.LBB155_89:                             ;   in Loop: Header=BB155_21 Depth=1
	s_or_b64 exec, exec, s[36:37]
	v_readlane_b32 s14, v74, 10
	v_readlane_b32 s15, v74, 11
	s_and_saveexec_b64 s[36:37], s[14:15]
	s_cbranch_execz .LBB155_91
; %bb.90:                               ;   in Loop: Header=BB155_21 Depth=1
	v_add_co_u32_e32 v68, vcc, v66, v65
	v_addc_co_u32_e32 v69, vcc, 0, v67, vcc
	v_add_co_u32_e32 v68, vcc, s7, v68
	v_addc_co_u32_e32 v69, vcc, 0, v69, vcc
	v_add_co_u32_e32 v70, vcc, v63, v28
	v_addc_co_u32_e32 v71, vcc, v64, v29, vcc
	v_add_co_u32_e32 v70, vcc, 0x200, v70
	v_addc_co_u32_e32 v71, vcc, 0, v71, vcc
	v_cndmask_b32_e64 v69, v71, v69, s[0:1]
	v_cndmask_b32_e64 v68, v70, v68, s[0:1]
	global_load_dword v72, v[68:69], off
	v_add_co_u32_e32 v68, vcc, v58, v0
	v_addc_co_u32_e32 v69, vcc, 0, v59, vcc
	v_lshlrev_b64 v[70:71], 3, v[68:69]
	v_mov_b32_e32 v73, s10
	v_add_co_u32_e32 v70, vcc, s59, v70
	v_addc_co_u32_e32 v71, vcc, v73, v71, vcc
	v_lshlrev_b64 v[68:69], 2, v[68:69]
	global_store_dwordx2 v[70:71], v[44:45], off
	v_mov_b32_e32 v70, s60
	v_add_co_u32_e32 v68, vcc, s11, v68
	v_addc_co_u32_e32 v69, vcc, v70, v69, vcc
	s_waitcnt vmcnt(1)
	global_store_dword v[68:69], v72, off
.LBB155_91:                             ;   in Loop: Header=BB155_21 Depth=1
	;; [unrolled: 31-line block ×3, first 2 shown]
	s_or_b64 exec, exec, s[36:37]
	v_readlane_b32 s14, v74, 14
	v_readlane_b32 s15, v74, 15
	s_and_saveexec_b64 s[36:37], s[14:15]
	s_cbranch_execz .LBB155_95
; %bb.94:                               ;   in Loop: Header=BB155_21 Depth=1
	v_add_co_u32_e32 v68, vcc, v66, v65
	v_addc_co_u32_e32 v69, vcc, 0, v67, vcc
	v_add_co_u32_e32 v70, vcc, v63, v32
	v_addc_co_u32_e32 v71, vcc, v64, v33, vcc
	v_cndmask_b32_e64 v69, v71, v69, s[0:1]
	v_cndmask_b32_e64 v68, v70, v68, s[0:1]
	global_load_dword v72, v[68:69], off offset:512
	v_add_co_u32_e32 v68, vcc, v58, v0
	v_addc_co_u32_e32 v69, vcc, 0, v59, vcc
	v_lshlrev_b64 v[70:71], 3, v[68:69]
	v_mov_b32_e32 v73, s66
	v_add_co_u32_e32 v70, vcc, s65, v70
	v_addc_co_u32_e32 v71, vcc, v73, v71, vcc
	v_lshlrev_b64 v[68:69], 2, v[68:69]
	global_store_dwordx2 v[70:71], v[48:49], off
	v_mov_b32_e32 v70, s68
	v_add_co_u32_e32 v68, vcc, s67, v68
	v_addc_co_u32_e32 v69, vcc, v70, v69, vcc
	s_waitcnt vmcnt(1)
	global_store_dword v[68:69], v72, off
.LBB155_95:                             ;   in Loop: Header=BB155_21 Depth=1
	s_or_b64 exec, exec, s[36:37]
	v_readlane_b32 s14, v74, 16
	v_readlane_b32 s15, v74, 17
	s_and_saveexec_b64 s[36:37], s[14:15]
	s_cbranch_execz .LBB155_97
; %bb.96:                               ;   in Loop: Header=BB155_21 Depth=1
	v_add_co_u32_e32 v68, vcc, v66, v65
	v_addc_co_u32_e32 v69, vcc, 0, v67, vcc
	v_add_co_u32_e32 v68, vcc, s2, v68
	v_addc_co_u32_e32 v69, vcc, 0, v69, vcc
	;; [unrolled: 2-line block ×4, first 2 shown]
	v_cndmask_b32_e64 v69, v71, v69, s[0:1]
	v_cndmask_b32_e64 v68, v70, v68, s[0:1]
	global_load_dword v72, v[68:69], off
	v_add_co_u32_e32 v68, vcc, v58, v0
	v_addc_co_u32_e32 v69, vcc, 0, v59, vcc
	v_lshlrev_b64 v[70:71], 3, v[68:69]
	v_mov_b32_e32 v73, s70
	v_add_co_u32_e32 v70, vcc, s69, v70
	v_addc_co_u32_e32 v71, vcc, v73, v71, vcc
	v_lshlrev_b64 v[68:69], 2, v[68:69]
	global_store_dwordx2 v[70:71], v[50:51], off
	v_mov_b32_e32 v70, s72
	v_add_co_u32_e32 v68, vcc, s71, v68
	v_addc_co_u32_e32 v69, vcc, v70, v69, vcc
	s_waitcnt vmcnt(1)
	global_store_dword v[68:69], v72, off
.LBB155_97:                             ;   in Loop: Header=BB155_21 Depth=1
	s_or_b64 exec, exec, s[36:37]
	v_readlane_b32 s14, v74, 18
	v_readlane_b32 s15, v74, 19
	s_and_saveexec_b64 s[36:37], s[14:15]
	s_cbranch_execz .LBB155_99
; %bb.98:                               ;   in Loop: Header=BB155_21 Depth=1
	v_add_co_u32_e32 v68, vcc, v66, v65
	v_addc_co_u32_e32 v69, vcc, 0, v67, vcc
	v_add_co_u32_e32 v68, vcc, s3, v68
	v_addc_co_u32_e32 v69, vcc, 0, v69, vcc
	;; [unrolled: 2-line block ×4, first 2 shown]
	v_cndmask_b32_e64 v69, v71, v69, s[0:1]
	v_cndmask_b32_e64 v68, v70, v68, s[0:1]
	global_load_dword v72, v[68:69], off
	v_add_co_u32_e32 v68, vcc, v58, v0
	v_addc_co_u32_e32 v69, vcc, 0, v59, vcc
	v_lshlrev_b64 v[70:71], 3, v[68:69]
	v_mov_b32_e32 v73, s12
	v_add_co_u32_e32 v70, vcc, s73, v70
	v_addc_co_u32_e32 v71, vcc, v73, v71, vcc
	v_lshlrev_b64 v[68:69], 2, v[68:69]
	global_store_dwordx2 v[70:71], v[54:55], off
	v_mov_b32_e32 v70, s74
	v_add_co_u32_e32 v68, vcc, s13, v68
	v_addc_co_u32_e32 v69, vcc, v70, v69, vcc
	s_waitcnt vmcnt(1)
	global_store_dword v[68:69], v72, off
.LBB155_99:                             ;   in Loop: Header=BB155_21 Depth=1
	s_or_b64 exec, exec, s[36:37]
	v_readlane_b32 s14, v74, 20
	v_readlane_b32 s15, v74, 21
	s_and_saveexec_b64 s[36:37], s[14:15]
	s_cbranch_execz .LBB155_101
; %bb.100:                              ;   in Loop: Header=BB155_21 Depth=1
	v_add_co_u32_e32 v68, vcc, v66, v65
	v_addc_co_u32_e32 v69, vcc, 0, v67, vcc
	v_add_co_u32_e32 v68, vcc, s80, v68
	v_addc_co_u32_e32 v69, vcc, 0, v69, vcc
	;; [unrolled: 2-line block ×4, first 2 shown]
	v_cndmask_b32_e64 v69, v71, v69, s[0:1]
	v_cndmask_b32_e64 v68, v70, v68, s[0:1]
	global_load_dword v70, v[68:69], off
	v_add_co_u32_e32 v58, vcc, v58, v0
	v_addc_co_u32_e32 v59, vcc, 0, v59, vcc
	v_lshlrev_b64 v[68:69], 3, v[58:59]
	v_mov_b32_e32 v71, s76
	v_add_co_u32_e32 v68, vcc, s75, v68
	v_addc_co_u32_e32 v69, vcc, v71, v69, vcc
	v_lshlrev_b64 v[58:59], 2, v[58:59]
	global_store_dwordx2 v[68:69], v[56:57], off
	v_mov_b32_e32 v68, s6
	v_add_co_u32_e32 v58, vcc, s77, v58
	v_addc_co_u32_e32 v59, vcc, v68, v59, vcc
	s_waitcnt vmcnt(1)
	global_store_dword v[58:59], v70, off
.LBB155_101:                            ;   in Loop: Header=BB155_21 Depth=1
	s_or_b64 exec, exec, s[36:37]
	v_mov_b32_e32 v58, s82
	v_add_co_u32_e32 v68, vcc, s81, v15
	v_addc_co_u32_e32 v58, vcc, v17, v58, vcc
	v_mul_lo_u32 v70, v58, s40
	v_pk_mov_b32 v[58:59], s[46:47], s[46:47] op_sel:[0,1]
	v_mul_lo_u32 v69, v68, s41
	v_mad_u64_u32 v[58:59], s[36:37], v68, s40, v[58:59]
	v_mov_b32_e32 v68, s35
	v_add_co_u32_e32 v66, vcc, s34, v66
	v_readlane_b32 s14, v74, 22
	v_add3_u32 v59, v70, v59, v69
	v_addc_co_u32_e32 v67, vcc, v67, v68, vcc
	v_readlane_b32 s15, v74, 23
	s_and_saveexec_b64 s[36:37], s[14:15]
	s_cbranch_execz .LBB155_103
; %bb.102:                              ;   in Loop: Header=BB155_21 Depth=1
	v_add_co_u32_e32 v68, vcc, v66, v65
	v_addc_co_u32_e32 v69, vcc, 0, v67, vcc
	v_add_co_u32_e32 v70, vcc, v63, v26
	v_addc_co_u32_e32 v71, vcc, v64, v27, vcc
	;; [unrolled: 2-line block ×3, first 2 shown]
	v_cndmask_b32_e64 v69, v71, v69, s[0:1]
	v_cndmask_b32_e64 v68, v70, v68, s[0:1]
	global_load_dword v72, v[68:69], off
	v_add_co_u32_e32 v68, vcc, v58, v0
	v_addc_co_u32_e32 v69, vcc, 0, v59, vcc
	v_lshlrev_b64 v[70:71], 3, v[68:69]
	v_mov_b32_e32 v73, s5
	v_add_co_u32_e32 v70, vcc, s4, v70
	v_addc_co_u32_e32 v71, vcc, v73, v71, vcc
	v_lshlrev_b64 v[68:69], 2, v[68:69]
	global_store_dwordx2 v[70:71], v[40:41], off
	v_mov_b32_e32 v70, s49
	v_add_co_u32_e32 v68, vcc, s48, v68
	v_addc_co_u32_e32 v69, vcc, v70, v69, vcc
	s_waitcnt vmcnt(1)
	global_store_dword v[68:69], v72, off
.LBB155_103:                            ;   in Loop: Header=BB155_21 Depth=1
	s_or_b64 exec, exec, s[36:37]
	v_readlane_b32 s14, v74, 24
	v_readlane_b32 s15, v74, 25
	s_and_saveexec_b64 s[36:37], s[14:15]
	s_cbranch_execz .LBB155_105
; %bb.104:                              ;   in Loop: Header=BB155_21 Depth=1
	v_add_co_u32_e32 v68, vcc, v66, v65
	v_addc_co_u32_e32 v69, vcc, 0, v67, vcc
	v_add_co_u32_e32 v68, vcc, s54, v68
	v_addc_co_u32_e32 v69, vcc, 0, v69, vcc
	v_add_co_u32_e32 v70, vcc, v63, v52
	v_addc_co_u32_e32 v71, vcc, v64, v53, vcc
	v_add_co_u32_e32 v70, vcc, 0x280, v70
	v_addc_co_u32_e32 v71, vcc, 0, v71, vcc
	v_cndmask_b32_e64 v69, v71, v69, s[0:1]
	v_cndmask_b32_e64 v68, v70, v68, s[0:1]
	global_load_dword v72, v[68:69], off
	v_add_co_u32_e32 v68, vcc, v58, v0
	v_addc_co_u32_e32 v69, vcc, 0, v59, vcc
	v_lshlrev_b64 v[70:71], 3, v[68:69]
	v_mov_b32_e32 v73, s56
	v_add_co_u32_e32 v70, vcc, s55, v70
	v_addc_co_u32_e32 v71, vcc, v73, v71, vcc
	v_lshlrev_b64 v[68:69], 2, v[68:69]
	global_store_dwordx2 v[70:71], v[42:43], off
	v_mov_b32_e32 v70, s58
	v_add_co_u32_e32 v68, vcc, s57, v68
	v_addc_co_u32_e32 v69, vcc, v70, v69, vcc
	s_waitcnt vmcnt(1)
	global_store_dword v[68:69], v72, off
.LBB155_105:                            ;   in Loop: Header=BB155_21 Depth=1
	s_or_b64 exec, exec, s[36:37]
	v_readlane_b32 s14, v74, 26
	v_readlane_b32 s15, v74, 27
	s_and_saveexec_b64 s[36:37], s[14:15]
	s_cbranch_execz .LBB155_107
; %bb.106:                              ;   in Loop: Header=BB155_21 Depth=1
	v_add_co_u32_e32 v68, vcc, v66, v65
	v_addc_co_u32_e32 v69, vcc, 0, v67, vcc
	v_add_co_u32_e32 v68, vcc, s7, v68
	v_addc_co_u32_e32 v69, vcc, 0, v69, vcc
	v_add_co_u32_e32 v70, vcc, v63, v28
	v_addc_co_u32_e32 v71, vcc, v64, v29, vcc
	v_add_co_u32_e32 v70, vcc, 0x280, v70
	v_addc_co_u32_e32 v71, vcc, 0, v71, vcc
	v_cndmask_b32_e64 v69, v71, v69, s[0:1]
	v_cndmask_b32_e64 v68, v70, v68, s[0:1]
	global_load_dword v72, v[68:69], off
	v_add_co_u32_e32 v68, vcc, v58, v0
	v_addc_co_u32_e32 v69, vcc, 0, v59, vcc
	v_lshlrev_b64 v[70:71], 3, v[68:69]
	v_mov_b32_e32 v73, s10
	v_add_co_u32_e32 v70, vcc, s59, v70
	v_addc_co_u32_e32 v71, vcc, v73, v71, vcc
	v_lshlrev_b64 v[68:69], 2, v[68:69]
	global_store_dwordx2 v[70:71], v[44:45], off
	v_mov_b32_e32 v70, s60
	v_add_co_u32_e32 v68, vcc, s11, v68
	v_addc_co_u32_e32 v69, vcc, v70, v69, vcc
	s_waitcnt vmcnt(1)
	global_store_dword v[68:69], v72, off
.LBB155_107:                            ;   in Loop: Header=BB155_21 Depth=1
	;; [unrolled: 31-line block ×4, first 2 shown]
	s_or_b64 exec, exec, s[36:37]
	v_readlane_b32 s14, v74, 32
	v_readlane_b32 s15, v74, 33
	s_and_saveexec_b64 s[36:37], s[14:15]
	s_cbranch_execz .LBB155_113
; %bb.112:                              ;   in Loop: Header=BB155_21 Depth=1
	v_add_co_u32_e32 v68, vcc, v66, v65
	v_addc_co_u32_e32 v69, vcc, 0, v67, vcc
	v_add_co_u32_e32 v70, vcc, v63, v34
	v_addc_co_u32_e32 v71, vcc, v64, v35, vcc
	v_cndmask_b32_e64 v69, v71, v69, s[0:1]
	v_cndmask_b32_e64 v68, v70, v68, s[0:1]
	global_load_dword v72, v[68:69], off offset:640
	v_add_co_u32_e32 v68, vcc, v58, v0
	v_addc_co_u32_e32 v69, vcc, 0, v59, vcc
	v_lshlrev_b64 v[70:71], 3, v[68:69]
	v_mov_b32_e32 v73, s70
	v_add_co_u32_e32 v70, vcc, s69, v70
	v_addc_co_u32_e32 v71, vcc, v73, v71, vcc
	v_lshlrev_b64 v[68:69], 2, v[68:69]
	global_store_dwordx2 v[70:71], v[50:51], off
	v_mov_b32_e32 v70, s72
	v_add_co_u32_e32 v68, vcc, s71, v68
	v_addc_co_u32_e32 v69, vcc, v70, v69, vcc
	s_waitcnt vmcnt(1)
	global_store_dword v[68:69], v72, off
.LBB155_113:                            ;   in Loop: Header=BB155_21 Depth=1
	s_or_b64 exec, exec, s[36:37]
	v_readlane_b32 s14, v74, 34
	v_readlane_b32 s15, v74, 35
	s_and_saveexec_b64 s[36:37], s[14:15]
	s_cbranch_execz .LBB155_115
; %bb.114:                              ;   in Loop: Header=BB155_21 Depth=1
	v_add_co_u32_e32 v68, vcc, v66, v65
	v_addc_co_u32_e32 v69, vcc, 0, v67, vcc
	v_add_co_u32_e32 v68, vcc, s3, v68
	v_addc_co_u32_e32 v69, vcc, 0, v69, vcc
	;; [unrolled: 2-line block ×4, first 2 shown]
	v_cndmask_b32_e64 v69, v71, v69, s[0:1]
	v_cndmask_b32_e64 v68, v70, v68, s[0:1]
	global_load_dword v72, v[68:69], off
	v_add_co_u32_e32 v68, vcc, v58, v0
	v_addc_co_u32_e32 v69, vcc, 0, v59, vcc
	v_lshlrev_b64 v[70:71], 3, v[68:69]
	v_mov_b32_e32 v73, s12
	v_add_co_u32_e32 v70, vcc, s73, v70
	v_addc_co_u32_e32 v71, vcc, v73, v71, vcc
	v_lshlrev_b64 v[68:69], 2, v[68:69]
	global_store_dwordx2 v[70:71], v[54:55], off
	v_mov_b32_e32 v70, s74
	v_add_co_u32_e32 v68, vcc, s13, v68
	v_addc_co_u32_e32 v69, vcc, v70, v69, vcc
	s_waitcnt vmcnt(1)
	global_store_dword v[68:69], v72, off
.LBB155_115:                            ;   in Loop: Header=BB155_21 Depth=1
	s_or_b64 exec, exec, s[36:37]
	v_readlane_b32 s14, v74, 36
	v_readlane_b32 s15, v74, 37
	s_and_saveexec_b64 s[36:37], s[14:15]
	s_cbranch_execz .LBB155_117
; %bb.116:                              ;   in Loop: Header=BB155_21 Depth=1
	v_add_co_u32_e32 v68, vcc, v66, v65
	v_addc_co_u32_e32 v69, vcc, 0, v67, vcc
	v_add_co_u32_e32 v68, vcc, s80, v68
	v_addc_co_u32_e32 v69, vcc, 0, v69, vcc
	;; [unrolled: 2-line block ×4, first 2 shown]
	v_cndmask_b32_e64 v69, v71, v69, s[0:1]
	v_cndmask_b32_e64 v68, v70, v68, s[0:1]
	global_load_dword v70, v[68:69], off
	v_add_co_u32_e32 v58, vcc, v58, v0
	v_addc_co_u32_e32 v59, vcc, 0, v59, vcc
	v_lshlrev_b64 v[68:69], 3, v[58:59]
	v_mov_b32_e32 v71, s76
	v_add_co_u32_e32 v68, vcc, s75, v68
	v_addc_co_u32_e32 v69, vcc, v71, v69, vcc
	v_lshlrev_b64 v[58:59], 2, v[58:59]
	global_store_dwordx2 v[68:69], v[56:57], off
	v_mov_b32_e32 v68, s6
	v_add_co_u32_e32 v58, vcc, s77, v58
	v_addc_co_u32_e32 v59, vcc, v68, v59, vcc
	s_waitcnt vmcnt(1)
	global_store_dword v[58:59], v70, off
.LBB155_117:                            ;   in Loop: Header=BB155_21 Depth=1
	s_or_b64 exec, exec, s[36:37]
	v_mov_b32_e32 v58, s82
	v_add_co_u32_e32 v68, vcc, s81, v19
	v_addc_co_u32_e32 v58, vcc, v60, v58, vcc
	v_mul_lo_u32 v70, v58, s40
	v_pk_mov_b32 v[58:59], s[46:47], s[46:47] op_sel:[0,1]
	v_mul_lo_u32 v69, v68, s41
	v_mad_u64_u32 v[58:59], s[36:37], v68, s40, v[58:59]
	v_mov_b32_e32 v68, s35
	v_add_co_u32_e32 v66, vcc, s34, v66
	v_add3_u32 v59, v70, v59, v69
	v_addc_co_u32_e32 v67, vcc, v67, v68, vcc
	s_and_saveexec_b64 s[36:37], s[84:85]
	s_cbranch_execnz .LBB155_134
; %bb.118:                              ;   in Loop: Header=BB155_21 Depth=1
	s_or_b64 exec, exec, s[36:37]
	s_and_saveexec_b64 s[36:37], s[86:87]
	s_cbranch_execnz .LBB155_135
.LBB155_119:                            ;   in Loop: Header=BB155_21 Depth=1
	s_or_b64 exec, exec, s[36:37]
	s_and_saveexec_b64 s[36:37], s[88:89]
	s_cbranch_execnz .LBB155_136
.LBB155_120:                            ;   in Loop: Header=BB155_21 Depth=1
	s_or_b64 exec, exec, s[36:37]
	s_and_saveexec_b64 s[36:37], s[90:91]
	s_cbranch_execnz .LBB155_137
.LBB155_121:                            ;   in Loop: Header=BB155_21 Depth=1
	s_or_b64 exec, exec, s[36:37]
	s_and_saveexec_b64 s[36:37], s[92:93]
	s_cbranch_execnz .LBB155_138
.LBB155_122:                            ;   in Loop: Header=BB155_21 Depth=1
	s_or_b64 exec, exec, s[36:37]
	s_and_saveexec_b64 s[36:37], s[8:9]
	s_cbranch_execnz .LBB155_139
.LBB155_123:                            ;   in Loop: Header=BB155_21 Depth=1
	s_or_b64 exec, exec, s[36:37]
	s_and_saveexec_b64 s[36:37], s[94:95]
	s_cbranch_execnz .LBB155_140
.LBB155_124:                            ;   in Loop: Header=BB155_21 Depth=1
	s_or_b64 exec, exec, s[36:37]
	s_and_saveexec_b64 s[36:37], s[16:17]
	s_cbranch_execz .LBB155_126
.LBB155_125:                            ;   in Loop: Header=BB155_21 Depth=1
	v_add_co_u32_e32 v68, vcc, v66, v65
	v_addc_co_u32_e32 v69, vcc, 0, v67, vcc
	v_add_co_u32_e32 v68, vcc, s80, v68
	v_addc_co_u32_e32 v69, vcc, 0, v69, vcc
	;; [unrolled: 2-line block ×4, first 2 shown]
	v_cndmask_b32_e64 v69, v71, v69, s[0:1]
	v_cndmask_b32_e64 v68, v70, v68, s[0:1]
	global_load_dword v70, v[68:69], off
	v_add_co_u32_e32 v58, vcc, v58, v0
	v_addc_co_u32_e32 v59, vcc, 0, v59, vcc
	v_lshlrev_b64 v[68:69], 3, v[58:59]
	v_mov_b32_e32 v71, s76
	v_add_co_u32_e32 v68, vcc, s75, v68
	v_addc_co_u32_e32 v69, vcc, v71, v69, vcc
	v_lshlrev_b64 v[58:59], 2, v[58:59]
	global_store_dwordx2 v[68:69], v[56:57], off
	v_mov_b32_e32 v68, s6
	v_add_co_u32_e32 v58, vcc, s77, v58
	v_addc_co_u32_e32 v59, vcc, v68, v59, vcc
	s_waitcnt vmcnt(1)
	global_store_dword v[58:59], v70, off
.LBB155_126:                            ;   in Loop: Header=BB155_21 Depth=1
	s_or_b64 exec, exec, s[36:37]
	v_mov_b32_e32 v58, s82
	v_add_co_u32_e32 v68, vcc, s81, v61
	v_addc_co_u32_e32 v58, vcc, v62, v58, vcc
	v_mul_lo_u32 v70, v58, s40
	v_pk_mov_b32 v[58:59], s[46:47], s[46:47] op_sel:[0,1]
	v_mul_lo_u32 v69, v68, s41
	v_mad_u64_u32 v[58:59], s[36:37], v68, s40, v[58:59]
	v_mov_b32_e32 v68, s35
	v_add_co_u32_e32 v66, vcc, s34, v66
	v_add3_u32 v59, v70, v59, v69
	v_addc_co_u32_e32 v67, vcc, v67, v68, vcc
	s_and_saveexec_b64 s[34:35], s[38:39]
	s_cbranch_execnz .LBB155_141
; %bb.127:                              ;   in Loop: Header=BB155_21 Depth=1
	s_or_b64 exec, exec, s[34:35]
	s_and_saveexec_b64 s[34:35], s[20:21]
	s_cbranch_execnz .LBB155_142
.LBB155_128:                            ;   in Loop: Header=BB155_21 Depth=1
	s_or_b64 exec, exec, s[34:35]
	s_and_saveexec_b64 s[34:35], s[22:23]
	s_cbranch_execnz .LBB155_143
.LBB155_129:                            ;   in Loop: Header=BB155_21 Depth=1
	s_or_b64 exec, exec, s[34:35]
	s_and_saveexec_b64 s[34:35], s[24:25]
	s_cbranch_execnz .LBB155_144
.LBB155_130:                            ;   in Loop: Header=BB155_21 Depth=1
	s_or_b64 exec, exec, s[34:35]
	s_and_saveexec_b64 s[34:35], s[26:27]
	s_cbranch_execnz .LBB155_145
.LBB155_131:                            ;   in Loop: Header=BB155_21 Depth=1
	s_or_b64 exec, exec, s[34:35]
	s_and_saveexec_b64 s[34:35], s[28:29]
	s_cbranch_execnz .LBB155_146
.LBB155_132:                            ;   in Loop: Header=BB155_21 Depth=1
	s_or_b64 exec, exec, s[34:35]
	s_and_saveexec_b64 s[34:35], s[30:31]
	s_cbranch_execnz .LBB155_147
.LBB155_133:                            ;   in Loop: Header=BB155_21 Depth=1
	s_or_b64 exec, exec, s[34:35]
	s_and_saveexec_b64 s[34:35], s[18:19]
	s_cbranch_execz .LBB155_20
	s_branch .LBB155_148
.LBB155_134:                            ;   in Loop: Header=BB155_21 Depth=1
	v_add_co_u32_e32 v68, vcc, v66, v65
	v_addc_co_u32_e32 v69, vcc, 0, v67, vcc
	v_add_co_u32_e32 v70, vcc, v63, v26
	v_addc_co_u32_e32 v71, vcc, v64, v27, vcc
	;; [unrolled: 2-line block ×3, first 2 shown]
	v_cndmask_b32_e64 v69, v71, v69, s[0:1]
	v_cndmask_b32_e64 v68, v70, v68, s[0:1]
	global_load_dword v72, v[68:69], off
	v_add_co_u32_e32 v68, vcc, v58, v0
	v_addc_co_u32_e32 v69, vcc, 0, v59, vcc
	v_lshlrev_b64 v[70:71], 3, v[68:69]
	v_mov_b32_e32 v73, s5
	v_add_co_u32_e32 v70, vcc, s4, v70
	v_addc_co_u32_e32 v71, vcc, v73, v71, vcc
	v_lshlrev_b64 v[68:69], 2, v[68:69]
	global_store_dwordx2 v[70:71], v[40:41], off
	v_mov_b32_e32 v70, s49
	v_add_co_u32_e32 v68, vcc, s48, v68
	v_addc_co_u32_e32 v69, vcc, v70, v69, vcc
	s_waitcnt vmcnt(1)
	global_store_dword v[68:69], v72, off
	s_or_b64 exec, exec, s[36:37]
	s_and_saveexec_b64 s[36:37], s[86:87]
	s_cbranch_execz .LBB155_119
.LBB155_135:                            ;   in Loop: Header=BB155_21 Depth=1
	v_add_co_u32_e32 v68, vcc, v66, v65
	v_addc_co_u32_e32 v69, vcc, 0, v67, vcc
	v_add_co_u32_e32 v68, vcc, s54, v68
	v_addc_co_u32_e32 v69, vcc, 0, v69, vcc
	;; [unrolled: 2-line block ×4, first 2 shown]
	v_cndmask_b32_e64 v69, v71, v69, s[0:1]
	v_cndmask_b32_e64 v68, v70, v68, s[0:1]
	global_load_dword v72, v[68:69], off
	v_add_co_u32_e32 v68, vcc, v58, v0
	v_addc_co_u32_e32 v69, vcc, 0, v59, vcc
	v_lshlrev_b64 v[70:71], 3, v[68:69]
	v_mov_b32_e32 v73, s56
	v_add_co_u32_e32 v70, vcc, s55, v70
	v_addc_co_u32_e32 v71, vcc, v73, v71, vcc
	v_lshlrev_b64 v[68:69], 2, v[68:69]
	global_store_dwordx2 v[70:71], v[42:43], off
	v_mov_b32_e32 v70, s58
	v_add_co_u32_e32 v68, vcc, s57, v68
	v_addc_co_u32_e32 v69, vcc, v70, v69, vcc
	s_waitcnt vmcnt(1)
	global_store_dword v[68:69], v72, off
	s_or_b64 exec, exec, s[36:37]
	s_and_saveexec_b64 s[36:37], s[88:89]
	s_cbranch_execz .LBB155_120
.LBB155_136:                            ;   in Loop: Header=BB155_21 Depth=1
	v_add_co_u32_e32 v68, vcc, v66, v65
	v_addc_co_u32_e32 v69, vcc, 0, v67, vcc
	v_add_co_u32_e32 v68, vcc, s7, v68
	v_addc_co_u32_e32 v69, vcc, 0, v69, vcc
	;; [unrolled: 2-line block ×4, first 2 shown]
	v_cndmask_b32_e64 v69, v71, v69, s[0:1]
	v_cndmask_b32_e64 v68, v70, v68, s[0:1]
	global_load_dword v72, v[68:69], off
	v_add_co_u32_e32 v68, vcc, v58, v0
	v_addc_co_u32_e32 v69, vcc, 0, v59, vcc
	v_lshlrev_b64 v[70:71], 3, v[68:69]
	v_mov_b32_e32 v73, s10
	v_add_co_u32_e32 v70, vcc, s59, v70
	v_addc_co_u32_e32 v71, vcc, v73, v71, vcc
	v_lshlrev_b64 v[68:69], 2, v[68:69]
	global_store_dwordx2 v[70:71], v[44:45], off
	v_mov_b32_e32 v70, s60
	v_add_co_u32_e32 v68, vcc, s11, v68
	v_addc_co_u32_e32 v69, vcc, v70, v69, vcc
	s_waitcnt vmcnt(1)
	global_store_dword v[68:69], v72, off
	s_or_b64 exec, exec, s[36:37]
	s_and_saveexec_b64 s[36:37], s[90:91]
	s_cbranch_execz .LBB155_121
.LBB155_137:                            ;   in Loop: Header=BB155_21 Depth=1
	v_add_co_u32_e32 v68, vcc, v66, v65
	v_addc_co_u32_e32 v69, vcc, 0, v67, vcc
	v_add_co_u32_e32 v68, vcc, s78, v68
	v_addc_co_u32_e32 v69, vcc, 0, v69, vcc
	;; [unrolled: 2-line block ×4, first 2 shown]
	v_cndmask_b32_e64 v69, v71, v69, s[0:1]
	v_cndmask_b32_e64 v68, v70, v68, s[0:1]
	global_load_dword v72, v[68:69], off
	v_add_co_u32_e32 v68, vcc, v58, v0
	v_addc_co_u32_e32 v69, vcc, 0, v59, vcc
	v_lshlrev_b64 v[70:71], 3, v[68:69]
	v_mov_b32_e32 v73, s62
	v_add_co_u32_e32 v70, vcc, s61, v70
	v_addc_co_u32_e32 v71, vcc, v73, v71, vcc
	v_lshlrev_b64 v[68:69], 2, v[68:69]
	global_store_dwordx2 v[70:71], v[46:47], off
	v_mov_b32_e32 v70, s64
	v_add_co_u32_e32 v68, vcc, s63, v68
	v_addc_co_u32_e32 v69, vcc, v70, v69, vcc
	s_waitcnt vmcnt(1)
	global_store_dword v[68:69], v72, off
	s_or_b64 exec, exec, s[36:37]
	s_and_saveexec_b64 s[36:37], s[92:93]
	s_cbranch_execz .LBB155_122
.LBB155_138:                            ;   in Loop: Header=BB155_21 Depth=1
	v_add_co_u32_e32 v68, vcc, v66, v65
	v_addc_co_u32_e32 v69, vcc, 0, v67, vcc
	v_add_co_u32_e32 v68, vcc, s79, v68
	v_addc_co_u32_e32 v69, vcc, 0, v69, vcc
	;; [unrolled: 2-line block ×4, first 2 shown]
	v_cndmask_b32_e64 v69, v71, v69, s[0:1]
	v_cndmask_b32_e64 v68, v70, v68, s[0:1]
	global_load_dword v72, v[68:69], off
	v_add_co_u32_e32 v68, vcc, v58, v0
	v_addc_co_u32_e32 v69, vcc, 0, v59, vcc
	v_lshlrev_b64 v[70:71], 3, v[68:69]
	v_mov_b32_e32 v73, s66
	v_add_co_u32_e32 v70, vcc, s65, v70
	v_addc_co_u32_e32 v71, vcc, v73, v71, vcc
	v_lshlrev_b64 v[68:69], 2, v[68:69]
	global_store_dwordx2 v[70:71], v[48:49], off
	v_mov_b32_e32 v70, s68
	v_add_co_u32_e32 v68, vcc, s67, v68
	v_addc_co_u32_e32 v69, vcc, v70, v69, vcc
	s_waitcnt vmcnt(1)
	global_store_dword v[68:69], v72, off
	s_or_b64 exec, exec, s[36:37]
	s_and_saveexec_b64 s[36:37], s[8:9]
	s_cbranch_execz .LBB155_123
.LBB155_139:                            ;   in Loop: Header=BB155_21 Depth=1
	v_add_co_u32_e32 v68, vcc, v66, v65
	v_addc_co_u32_e32 v69, vcc, 0, v67, vcc
	v_add_co_u32_e32 v68, vcc, s2, v68
	v_addc_co_u32_e32 v69, vcc, 0, v69, vcc
	v_add_co_u32_e32 v70, vcc, v63, v34
	v_addc_co_u32_e32 v71, vcc, v64, v35, vcc
	v_add_co_u32_e32 v70, vcc, 0x300, v70
	v_addc_co_u32_e32 v71, vcc, 0, v71, vcc
	v_cndmask_b32_e64 v69, v71, v69, s[0:1]
	v_cndmask_b32_e64 v68, v70, v68, s[0:1]
	global_load_dword v72, v[68:69], off
	v_add_co_u32_e32 v68, vcc, v58, v0
	v_addc_co_u32_e32 v69, vcc, 0, v59, vcc
	v_lshlrev_b64 v[70:71], 3, v[68:69]
	v_mov_b32_e32 v73, s70
	v_add_co_u32_e32 v70, vcc, s69, v70
	v_addc_co_u32_e32 v71, vcc, v73, v71, vcc
	v_lshlrev_b64 v[68:69], 2, v[68:69]
	global_store_dwordx2 v[70:71], v[50:51], off
	v_mov_b32_e32 v70, s72
	v_add_co_u32_e32 v68, vcc, s71, v68
	v_addc_co_u32_e32 v69, vcc, v70, v69, vcc
	s_waitcnt vmcnt(1)
	global_store_dword v[68:69], v72, off
	s_or_b64 exec, exec, s[36:37]
	s_and_saveexec_b64 s[36:37], s[94:95]
	s_cbranch_execz .LBB155_124
.LBB155_140:                            ;   in Loop: Header=BB155_21 Depth=1
	v_add_co_u32_e32 v68, vcc, v66, v65
	v_addc_co_u32_e32 v69, vcc, 0, v67, vcc
	v_add_co_u32_e32 v70, vcc, v63, v36
	v_addc_co_u32_e32 v71, vcc, v64, v37, vcc
	v_cndmask_b32_e64 v69, v71, v69, s[0:1]
	v_cndmask_b32_e64 v68, v70, v68, s[0:1]
	global_load_dword v72, v[68:69], off offset:768
	v_add_co_u32_e32 v68, vcc, v58, v0
	v_addc_co_u32_e32 v69, vcc, 0, v59, vcc
	v_lshlrev_b64 v[70:71], 3, v[68:69]
	v_mov_b32_e32 v73, s12
	v_add_co_u32_e32 v70, vcc, s73, v70
	v_addc_co_u32_e32 v71, vcc, v73, v71, vcc
	v_lshlrev_b64 v[68:69], 2, v[68:69]
	global_store_dwordx2 v[70:71], v[54:55], off
	v_mov_b32_e32 v70, s74
	v_add_co_u32_e32 v68, vcc, s13, v68
	v_addc_co_u32_e32 v69, vcc, v70, v69, vcc
	s_waitcnt vmcnt(1)
	global_store_dword v[68:69], v72, off
	s_or_b64 exec, exec, s[36:37]
	s_and_saveexec_b64 s[36:37], s[16:17]
	s_cbranch_execnz .LBB155_125
	s_branch .LBB155_126
.LBB155_141:                            ;   in Loop: Header=BB155_21 Depth=1
	v_add_co_u32_e32 v68, vcc, v66, v65
	v_addc_co_u32_e32 v69, vcc, 0, v67, vcc
	v_add_co_u32_e32 v70, vcc, v63, v26
	v_addc_co_u32_e32 v71, vcc, v64, v27, vcc
	;; [unrolled: 2-line block ×3, first 2 shown]
	v_cndmask_b32_e64 v69, v71, v69, s[0:1]
	v_cndmask_b32_e64 v68, v70, v68, s[0:1]
	global_load_dword v72, v[68:69], off
	v_add_co_u32_e32 v68, vcc, v58, v0
	v_addc_co_u32_e32 v69, vcc, 0, v59, vcc
	v_lshlrev_b64 v[70:71], 3, v[68:69]
	v_mov_b32_e32 v73, s5
	v_add_co_u32_e32 v70, vcc, s4, v70
	v_addc_co_u32_e32 v71, vcc, v73, v71, vcc
	global_store_dwordx2 v[70:71], v[40:41], off
	v_lshlrev_b64 v[40:41], 2, v[68:69]
	v_mov_b32_e32 v68, s49
	v_add_co_u32_e32 v40, vcc, s48, v40
	v_addc_co_u32_e32 v41, vcc, v68, v41, vcc
	s_waitcnt vmcnt(1)
	global_store_dword v[40:41], v72, off
	s_or_b64 exec, exec, s[34:35]
	s_and_saveexec_b64 s[34:35], s[20:21]
	s_cbranch_execz .LBB155_128
.LBB155_142:                            ;   in Loop: Header=BB155_21 Depth=1
	v_add_co_u32_e32 v40, vcc, v66, v65
	v_addc_co_u32_e32 v41, vcc, 0, v67, vcc
	v_add_co_u32_e32 v40, vcc, s54, v40
	v_addc_co_u32_e32 v41, vcc, 0, v41, vcc
	;; [unrolled: 2-line block ×4, first 2 shown]
	v_cndmask_b32_e64 v41, v53, v41, s[0:1]
	v_cndmask_b32_e64 v40, v52, v40, s[0:1]
	global_load_dword v68, v[40:41], off
	v_add_co_u32_e32 v40, vcc, v58, v0
	v_addc_co_u32_e32 v41, vcc, 0, v59, vcc
	v_lshlrev_b64 v[52:53], 3, v[40:41]
	v_mov_b32_e32 v69, s56
	v_add_co_u32_e32 v52, vcc, s55, v52
	v_addc_co_u32_e32 v53, vcc, v69, v53, vcc
	v_lshlrev_b64 v[40:41], 2, v[40:41]
	global_store_dwordx2 v[52:53], v[42:43], off
	v_mov_b32_e32 v42, s58
	v_add_co_u32_e32 v40, vcc, s57, v40
	v_addc_co_u32_e32 v41, vcc, v42, v41, vcc
	s_waitcnt vmcnt(1)
	global_store_dword v[40:41], v68, off
	s_or_b64 exec, exec, s[34:35]
	s_and_saveexec_b64 s[34:35], s[22:23]
	s_cbranch_execz .LBB155_129
.LBB155_143:                            ;   in Loop: Header=BB155_21 Depth=1
	v_add_co_u32_e32 v40, vcc, v66, v65
	v_addc_co_u32_e32 v41, vcc, 0, v67, vcc
	v_add_co_u32_e32 v40, vcc, s7, v40
	v_addc_co_u32_e32 v41, vcc, 0, v41, vcc
	;; [unrolled: 2-line block ×4, first 2 shown]
	v_cndmask_b32_e64 v41, v43, v41, s[0:1]
	v_cndmask_b32_e64 v40, v42, v40, s[0:1]
	global_load_dword v52, v[40:41], off
	v_add_co_u32_e32 v40, vcc, v58, v0
	v_addc_co_u32_e32 v41, vcc, 0, v59, vcc
	v_lshlrev_b64 v[42:43], 3, v[40:41]
	v_mov_b32_e32 v53, s10
	v_add_co_u32_e32 v42, vcc, s59, v42
	v_addc_co_u32_e32 v43, vcc, v53, v43, vcc
	v_lshlrev_b64 v[40:41], 2, v[40:41]
	global_store_dwordx2 v[42:43], v[44:45], off
	v_mov_b32_e32 v42, s60
	v_add_co_u32_e32 v40, vcc, s11, v40
	v_addc_co_u32_e32 v41, vcc, v42, v41, vcc
	s_waitcnt vmcnt(1)
	global_store_dword v[40:41], v52, off
	s_or_b64 exec, exec, s[34:35]
	s_and_saveexec_b64 s[34:35], s[24:25]
	s_cbranch_execz .LBB155_130
.LBB155_144:                            ;   in Loop: Header=BB155_21 Depth=1
	v_add_co_u32_e32 v40, vcc, v66, v65
	v_addc_co_u32_e32 v41, vcc, 0, v67, vcc
	v_add_co_u32_e32 v40, vcc, s78, v40
	v_addc_co_u32_e32 v41, vcc, 0, v41, vcc
	;; [unrolled: 2-line block ×4, first 2 shown]
	v_cndmask_b32_e64 v41, v43, v41, s[0:1]
	v_cndmask_b32_e64 v40, v42, v40, s[0:1]
	global_load_dword v44, v[40:41], off
	v_add_co_u32_e32 v40, vcc, v58, v0
	v_addc_co_u32_e32 v41, vcc, 0, v59, vcc
	v_lshlrev_b64 v[42:43], 3, v[40:41]
	v_mov_b32_e32 v45, s62
	v_add_co_u32_e32 v42, vcc, s61, v42
	v_addc_co_u32_e32 v43, vcc, v45, v43, vcc
	v_lshlrev_b64 v[40:41], 2, v[40:41]
	global_store_dwordx2 v[42:43], v[46:47], off
	v_mov_b32_e32 v42, s64
	v_add_co_u32_e32 v40, vcc, s63, v40
	v_addc_co_u32_e32 v41, vcc, v42, v41, vcc
	s_waitcnt vmcnt(1)
	global_store_dword v[40:41], v44, off
	s_or_b64 exec, exec, s[34:35]
	s_and_saveexec_b64 s[34:35], s[26:27]
	s_cbranch_execz .LBB155_131
.LBB155_145:                            ;   in Loop: Header=BB155_21 Depth=1
	v_add_co_u32_e32 v40, vcc, v66, v65
	v_addc_co_u32_e32 v41, vcc, 0, v67, vcc
	v_add_co_u32_e32 v40, vcc, s79, v40
	v_addc_co_u32_e32 v41, vcc, 0, v41, vcc
	;; [unrolled: 2-line block ×4, first 2 shown]
	v_cndmask_b32_e64 v41, v43, v41, s[0:1]
	v_cndmask_b32_e64 v40, v42, v40, s[0:1]
	global_load_dword v44, v[40:41], off
	v_add_co_u32_e32 v40, vcc, v58, v0
	v_addc_co_u32_e32 v41, vcc, 0, v59, vcc
	v_lshlrev_b64 v[42:43], 3, v[40:41]
	v_mov_b32_e32 v45, s66
	v_add_co_u32_e32 v42, vcc, s65, v42
	v_addc_co_u32_e32 v43, vcc, v45, v43, vcc
	v_lshlrev_b64 v[40:41], 2, v[40:41]
	global_store_dwordx2 v[42:43], v[48:49], off
	v_mov_b32_e32 v42, s68
	v_add_co_u32_e32 v40, vcc, s67, v40
	v_addc_co_u32_e32 v41, vcc, v42, v41, vcc
	s_waitcnt vmcnt(1)
	global_store_dword v[40:41], v44, off
	s_or_b64 exec, exec, s[34:35]
	s_and_saveexec_b64 s[34:35], s[28:29]
	s_cbranch_execz .LBB155_132
.LBB155_146:                            ;   in Loop: Header=BB155_21 Depth=1
	v_add_co_u32_e32 v40, vcc, v66, v65
	v_addc_co_u32_e32 v41, vcc, 0, v67, vcc
	v_add_co_u32_e32 v40, vcc, s2, v40
	v_addc_co_u32_e32 v41, vcc, 0, v41, vcc
	;; [unrolled: 2-line block ×4, first 2 shown]
	v_cndmask_b32_e64 v41, v43, v41, s[0:1]
	v_cndmask_b32_e64 v40, v42, v40, s[0:1]
	global_load_dword v44, v[40:41], off
	v_add_co_u32_e32 v40, vcc, v58, v0
	v_addc_co_u32_e32 v41, vcc, 0, v59, vcc
	v_lshlrev_b64 v[42:43], 3, v[40:41]
	v_mov_b32_e32 v45, s70
	v_add_co_u32_e32 v42, vcc, s69, v42
	v_addc_co_u32_e32 v43, vcc, v45, v43, vcc
	v_lshlrev_b64 v[40:41], 2, v[40:41]
	global_store_dwordx2 v[42:43], v[50:51], off
	v_mov_b32_e32 v42, s72
	v_add_co_u32_e32 v40, vcc, s71, v40
	v_addc_co_u32_e32 v41, vcc, v42, v41, vcc
	s_waitcnt vmcnt(1)
	global_store_dword v[40:41], v44, off
	s_or_b64 exec, exec, s[34:35]
	s_and_saveexec_b64 s[34:35], s[30:31]
	s_cbranch_execz .LBB155_133
.LBB155_147:                            ;   in Loop: Header=BB155_21 Depth=1
	v_add_co_u32_e32 v40, vcc, v66, v65
	v_addc_co_u32_e32 v41, vcc, 0, v67, vcc
	v_add_co_u32_e32 v40, vcc, s3, v40
	v_addc_co_u32_e32 v41, vcc, 0, v41, vcc
	;; [unrolled: 2-line block ×4, first 2 shown]
	v_cndmask_b32_e64 v41, v43, v41, s[0:1]
	v_cndmask_b32_e64 v40, v42, v40, s[0:1]
	global_load_dword v44, v[40:41], off
	v_add_co_u32_e32 v40, vcc, v58, v0
	v_addc_co_u32_e32 v41, vcc, 0, v59, vcc
	v_lshlrev_b64 v[42:43], 3, v[40:41]
	v_mov_b32_e32 v45, s12
	v_add_co_u32_e32 v42, vcc, s73, v42
	v_addc_co_u32_e32 v43, vcc, v45, v43, vcc
	v_lshlrev_b64 v[40:41], 2, v[40:41]
	global_store_dwordx2 v[42:43], v[54:55], off
	v_mov_b32_e32 v42, s74
	v_add_co_u32_e32 v40, vcc, s13, v40
	v_addc_co_u32_e32 v41, vcc, v42, v41, vcc
	s_waitcnt vmcnt(1)
	global_store_dword v[40:41], v44, off
	s_or_b64 exec, exec, s[34:35]
	s_and_saveexec_b64 s[34:35], s[18:19]
	s_cbranch_execz .LBB155_20
.LBB155_148:                            ;   in Loop: Header=BB155_21 Depth=1
	v_add_co_u32_e32 v40, vcc, v66, v65
	v_addc_co_u32_e32 v41, vcc, 0, v67, vcc
	v_add_co_u32_e32 v42, vcc, v63, v38
	v_addc_co_u32_e32 v43, vcc, v64, v39, vcc
	v_cndmask_b32_e64 v41, v43, v41, s[0:1]
	v_cndmask_b32_e64 v40, v42, v40, s[0:1]
	global_load_dword v44, v[40:41], off offset:896
	v_add_co_u32_e32 v40, vcc, v58, v0
	v_addc_co_u32_e32 v41, vcc, 0, v59, vcc
	v_lshlrev_b64 v[42:43], 3, v[40:41]
	v_mov_b32_e32 v45, s76
	v_add_co_u32_e32 v42, vcc, s75, v42
	v_addc_co_u32_e32 v43, vcc, v45, v43, vcc
	v_lshlrev_b64 v[40:41], 2, v[40:41]
	global_store_dwordx2 v[42:43], v[56:57], off
	v_mov_b32_e32 v42, s6
	v_add_co_u32_e32 v40, vcc, s77, v40
	v_addc_co_u32_e32 v41, vcc, v42, v41, vcc
	s_waitcnt vmcnt(1)
	global_store_dword v[40:41], v44, off
	s_branch .LBB155_20
.LBB155_149:
	s_endpgm
	.section	.rodata,"a",@progbits
	.p2align	6, 0x0
	.amdhsa_kernel _ZN9rocsparseL35bsr2csr_block_per_row_33_256_kernelILj1024ELj256ELj32EfllEEv20rocsparse_direction_T4_S2_21rocsparse_index_base_PKT2_PKT3_PKS2_S2_S3_PS4_PS7_PS2_
		.amdhsa_group_segment_fixed_size 0
		.amdhsa_private_segment_fixed_size 0
		.amdhsa_kernarg_size 96
		.amdhsa_user_sgpr_count 6
		.amdhsa_user_sgpr_private_segment_buffer 1
		.amdhsa_user_sgpr_dispatch_ptr 0
		.amdhsa_user_sgpr_queue_ptr 0
		.amdhsa_user_sgpr_kernarg_segment_ptr 1
		.amdhsa_user_sgpr_dispatch_id 0
		.amdhsa_user_sgpr_flat_scratch_init 0
		.amdhsa_user_sgpr_kernarg_preload_length 0
		.amdhsa_user_sgpr_kernarg_preload_offset 0
		.amdhsa_user_sgpr_private_segment_size 0
		.amdhsa_uses_dynamic_stack 0
		.amdhsa_system_sgpr_private_segment_wavefront_offset 0
		.amdhsa_system_sgpr_workgroup_id_x 1
		.amdhsa_system_sgpr_workgroup_id_y 0
		.amdhsa_system_sgpr_workgroup_id_z 0
		.amdhsa_system_sgpr_workgroup_info 0
		.amdhsa_system_vgpr_workitem_id 0
		.amdhsa_next_free_vgpr 76
		.amdhsa_next_free_sgpr 96
		.amdhsa_accum_offset 76
		.amdhsa_reserve_vcc 1
		.amdhsa_reserve_flat_scratch 0
		.amdhsa_float_round_mode_32 0
		.amdhsa_float_round_mode_16_64 0
		.amdhsa_float_denorm_mode_32 3
		.amdhsa_float_denorm_mode_16_64 3
		.amdhsa_dx10_clamp 1
		.amdhsa_ieee_mode 1
		.amdhsa_fp16_overflow 0
		.amdhsa_tg_split 0
		.amdhsa_exception_fp_ieee_invalid_op 0
		.amdhsa_exception_fp_denorm_src 0
		.amdhsa_exception_fp_ieee_div_zero 0
		.amdhsa_exception_fp_ieee_overflow 0
		.amdhsa_exception_fp_ieee_underflow 0
		.amdhsa_exception_fp_ieee_inexact 0
		.amdhsa_exception_int_div_zero 0
	.end_amdhsa_kernel
	.section	.text._ZN9rocsparseL35bsr2csr_block_per_row_33_256_kernelILj1024ELj256ELj32EfllEEv20rocsparse_direction_T4_S2_21rocsparse_index_base_PKT2_PKT3_PKS2_S2_S3_PS4_PS7_PS2_,"axG",@progbits,_ZN9rocsparseL35bsr2csr_block_per_row_33_256_kernelILj1024ELj256ELj32EfllEEv20rocsparse_direction_T4_S2_21rocsparse_index_base_PKT2_PKT3_PKS2_S2_S3_PS4_PS7_PS2_,comdat
.Lfunc_end155:
	.size	_ZN9rocsparseL35bsr2csr_block_per_row_33_256_kernelILj1024ELj256ELj32EfllEEv20rocsparse_direction_T4_S2_21rocsparse_index_base_PKT2_PKT3_PKS2_S2_S3_PS4_PS7_PS2_, .Lfunc_end155-_ZN9rocsparseL35bsr2csr_block_per_row_33_256_kernelILj1024ELj256ELj32EfllEEv20rocsparse_direction_T4_S2_21rocsparse_index_base_PKT2_PKT3_PKS2_S2_S3_PS4_PS7_PS2_
                                        ; -- End function
	.section	.AMDGPU.csdata,"",@progbits
; Kernel info:
; codeLenInByte = 13216
; NumSgprs: 100
; NumVgprs: 76
; NumAgprs: 0
; TotalNumVgprs: 76
; ScratchSize: 0
; MemoryBound: 0
; FloatMode: 240
; IeeeMode: 1
; LDSByteSize: 0 bytes/workgroup (compile time only)
; SGPRBlocks: 12
; VGPRBlocks: 9
; NumSGPRsForWavesPerEU: 100
; NumVGPRsForWavesPerEU: 76
; AccumOffset: 76
; Occupancy: 6
; WaveLimiterHint : 1
; COMPUTE_PGM_RSRC2:SCRATCH_EN: 0
; COMPUTE_PGM_RSRC2:USER_SGPR: 6
; COMPUTE_PGM_RSRC2:TRAP_HANDLER: 0
; COMPUTE_PGM_RSRC2:TGID_X_EN: 1
; COMPUTE_PGM_RSRC2:TGID_Y_EN: 0
; COMPUTE_PGM_RSRC2:TGID_Z_EN: 0
; COMPUTE_PGM_RSRC2:TIDIG_COMP_CNT: 0
; COMPUTE_PGM_RSRC3_GFX90A:ACCUM_OFFSET: 18
; COMPUTE_PGM_RSRC3_GFX90A:TG_SPLIT: 0
	.section	.text._ZN9rocsparseL35bsr2csr_block_dim_equals_one_kernelILj1024E21rocsparse_complex_numIfEiiEEvT2_S3_21rocsparse_index_base_PKT0_PKT1_PKS3_S4_PS5_PS8_PS3_,"axG",@progbits,_ZN9rocsparseL35bsr2csr_block_dim_equals_one_kernelILj1024E21rocsparse_complex_numIfEiiEEvT2_S3_21rocsparse_index_base_PKT0_PKT1_PKS3_S4_PS5_PS8_PS3_,comdat
	.globl	_ZN9rocsparseL35bsr2csr_block_dim_equals_one_kernelILj1024E21rocsparse_complex_numIfEiiEEvT2_S3_21rocsparse_index_base_PKT0_PKT1_PKS3_S4_PS5_PS8_PS3_ ; -- Begin function _ZN9rocsparseL35bsr2csr_block_dim_equals_one_kernelILj1024E21rocsparse_complex_numIfEiiEEvT2_S3_21rocsparse_index_base_PKT0_PKT1_PKS3_S4_PS5_PS8_PS3_
	.p2align	8
	.type	_ZN9rocsparseL35bsr2csr_block_dim_equals_one_kernelILj1024E21rocsparse_complex_numIfEiiEEvT2_S3_21rocsparse_index_base_PKT0_PKT1_PKS3_S4_PS5_PS8_PS3_,@function
_ZN9rocsparseL35bsr2csr_block_dim_equals_one_kernelILj1024E21rocsparse_complex_numIfEiiEEvT2_S3_21rocsparse_index_base_PKT0_PKT1_PKS3_S4_PS5_PS8_PS3_: ; @_ZN9rocsparseL35bsr2csr_block_dim_equals_one_kernelILj1024E21rocsparse_complex_numIfEiiEEvT2_S3_21rocsparse_index_base_PKT0_PKT1_PKS3_S4_PS5_PS8_PS3_
; %bb.0:
	v_lshl_or_b32 v0, s6, 10, v0
	s_load_dword s14, s[4:5], 0x0
	s_load_dword s20, s[4:5], 0x8
	s_load_dwordx4 s[0:3], s[4:5], 0x10
	s_load_dwordx2 s[8:9], s[4:5], 0x20
	s_load_dword s21, s[4:5], 0x28
	s_load_dwordx2 s[10:11], s[4:5], 0x40
	s_load_dwordx2 s[12:13], s[4:5], 0x30
	s_waitcnt lgkmcnt(0)
	v_cmp_gt_i32_e32 vcc, s14, v0
	s_and_saveexec_b64 s[6:7], vcc
	s_cbranch_execz .LBB156_6
; %bb.1:
	s_load_dwordx2 s[16:17], s[4:5], 0x38
	v_cmp_ne_u32_e32 vcc, 0, v0
                                        ; implicit-def: $sgpr15
	s_and_saveexec_b64 s[18:19], vcc
	s_xor_b64 s[18:19], exec, s[18:19]
; %bb.2:
	s_sub_i32 s15, s21, s20
; %bb.3:
	s_or_saveexec_b64 s[18:19], s[18:19]
	v_mov_b32_e32 v2, s15
	s_xor_b64 exec, exec, s[18:19]
	s_cbranch_execz .LBB156_5
; %bb.4:
	s_load_dword s15, s[2:3], 0x0
	s_sub_i32 s22, s21, s20
	v_mov_b32_e32 v1, 0
	s_waitcnt lgkmcnt(0)
	s_add_i32 s15, s22, s15
	v_mov_b32_e32 v2, s15
	global_store_dword v1, v2, s[16:17]
	v_mov_b32_e32 v2, s22
.LBB156_5:
	s_or_b64 exec, exec, s[18:19]
	v_ashrrev_i32_e32 v1, 31, v0
	v_lshlrev_b64 v[4:5], 2, v[0:1]
	v_mov_b32_e32 v1, s3
	v_add_co_u32_e32 v6, vcc, s2, v4
	v_addc_co_u32_e32 v7, vcc, v1, v5, vcc
	global_load_dword v1, v[6:7], off offset:4
	s_waitcnt lgkmcnt(0)
	v_mov_b32_e32 v3, s17
	s_waitcnt vmcnt(0)
	v_add_u32_e32 v1, v2, v1
	v_add_co_u32_e32 v2, vcc, s16, v4
	v_addc_co_u32_e32 v3, vcc, v3, v5, vcc
	global_store_dword v[2:3], v1, off offset:4
.LBB156_6:
	s_or_b64 exec, exec, s[6:7]
	s_ashr_i32 s15, s14, 31
	s_lshl_b64 s[6:7], s[14:15], 2
	s_add_u32 s6, s2, s6
	s_addc_u32 s7, s3, s7
	s_load_dword s14, s[6:7], 0x0
	s_load_dword s15, s[2:3], 0x0
	s_waitcnt lgkmcnt(0)
	s_sub_i32 s6, s14, s15
	v_cmp_gt_i32_e32 vcc, s6, v0
	s_and_saveexec_b64 s[2:3], vcc
	s_cbranch_execz .LBB156_9
; %bb.7:
	s_load_dword s5, s[4:5], 0x48
	s_sub_i32 s4, s21, s20
	s_mov_b64 s[2:3], 0
	v_mov_b32_e32 v2, s9
	v_mov_b32_e32 v3, s11
	s_waitcnt lgkmcnt(0)
	s_lshl_b32 s5, s5, 10
	v_mov_b32_e32 v4, s1
	v_mov_b32_e32 v5, s13
.LBB156_8:                              ; =>This Inner Loop Header: Depth=1
	v_ashrrev_i32_e32 v1, 31, v0
	v_lshlrev_b64 v[6:7], 2, v[0:1]
	v_add_co_u32_e32 v8, vcc, s8, v6
	v_addc_co_u32_e32 v9, vcc, v2, v7, vcc
	global_load_dword v12, v[8:9], off
	v_lshlrev_b64 v[8:9], 3, v[0:1]
	v_add_co_u32_e32 v10, vcc, s0, v8
	v_addc_co_u32_e32 v11, vcc, v4, v9, vcc
	global_load_dwordx2 v[10:11], v[10:11], off
	v_add_co_u32_e32 v6, vcc, s10, v6
	v_addc_co_u32_e32 v7, vcc, v3, v7, vcc
	v_add_co_u32_e32 v8, vcc, s12, v8
	v_add_u32_e32 v0, s5, v0
	v_addc_co_u32_e32 v9, vcc, v5, v9, vcc
	v_cmp_le_i32_e32 vcc, s6, v0
	s_or_b64 s[2:3], vcc, s[2:3]
	s_waitcnt vmcnt(1)
	v_add_u32_e32 v1, s4, v12
	global_store_dword v[6:7], v1, off
	s_waitcnt vmcnt(1)
	global_store_dwordx2 v[8:9], v[10:11], off
	s_andn2_b64 exec, exec, s[2:3]
	s_cbranch_execnz .LBB156_8
.LBB156_9:
	s_endpgm
	.section	.rodata,"a",@progbits
	.p2align	6, 0x0
	.amdhsa_kernel _ZN9rocsparseL35bsr2csr_block_dim_equals_one_kernelILj1024E21rocsparse_complex_numIfEiiEEvT2_S3_21rocsparse_index_base_PKT0_PKT1_PKS3_S4_PS5_PS8_PS3_
		.amdhsa_group_segment_fixed_size 0
		.amdhsa_private_segment_fixed_size 0
		.amdhsa_kernarg_size 328
		.amdhsa_user_sgpr_count 6
		.amdhsa_user_sgpr_private_segment_buffer 1
		.amdhsa_user_sgpr_dispatch_ptr 0
		.amdhsa_user_sgpr_queue_ptr 0
		.amdhsa_user_sgpr_kernarg_segment_ptr 1
		.amdhsa_user_sgpr_dispatch_id 0
		.amdhsa_user_sgpr_flat_scratch_init 0
		.amdhsa_user_sgpr_kernarg_preload_length 0
		.amdhsa_user_sgpr_kernarg_preload_offset 0
		.amdhsa_user_sgpr_private_segment_size 0
		.amdhsa_uses_dynamic_stack 0
		.amdhsa_system_sgpr_private_segment_wavefront_offset 0
		.amdhsa_system_sgpr_workgroup_id_x 1
		.amdhsa_system_sgpr_workgroup_id_y 0
		.amdhsa_system_sgpr_workgroup_id_z 0
		.amdhsa_system_sgpr_workgroup_info 0
		.amdhsa_system_vgpr_workitem_id 0
		.amdhsa_next_free_vgpr 13
		.amdhsa_next_free_sgpr 23
		.amdhsa_accum_offset 16
		.amdhsa_reserve_vcc 1
		.amdhsa_reserve_flat_scratch 0
		.amdhsa_float_round_mode_32 0
		.amdhsa_float_round_mode_16_64 0
		.amdhsa_float_denorm_mode_32 3
		.amdhsa_float_denorm_mode_16_64 3
		.amdhsa_dx10_clamp 1
		.amdhsa_ieee_mode 1
		.amdhsa_fp16_overflow 0
		.amdhsa_tg_split 0
		.amdhsa_exception_fp_ieee_invalid_op 0
		.amdhsa_exception_fp_denorm_src 0
		.amdhsa_exception_fp_ieee_div_zero 0
		.amdhsa_exception_fp_ieee_overflow 0
		.amdhsa_exception_fp_ieee_underflow 0
		.amdhsa_exception_fp_ieee_inexact 0
		.amdhsa_exception_int_div_zero 0
	.end_amdhsa_kernel
	.section	.text._ZN9rocsparseL35bsr2csr_block_dim_equals_one_kernelILj1024E21rocsparse_complex_numIfEiiEEvT2_S3_21rocsparse_index_base_PKT0_PKT1_PKS3_S4_PS5_PS8_PS3_,"axG",@progbits,_ZN9rocsparseL35bsr2csr_block_dim_equals_one_kernelILj1024E21rocsparse_complex_numIfEiiEEvT2_S3_21rocsparse_index_base_PKT0_PKT1_PKS3_S4_PS5_PS8_PS3_,comdat
.Lfunc_end156:
	.size	_ZN9rocsparseL35bsr2csr_block_dim_equals_one_kernelILj1024E21rocsparse_complex_numIfEiiEEvT2_S3_21rocsparse_index_base_PKT0_PKT1_PKS3_S4_PS5_PS8_PS3_, .Lfunc_end156-_ZN9rocsparseL35bsr2csr_block_dim_equals_one_kernelILj1024E21rocsparse_complex_numIfEiiEEvT2_S3_21rocsparse_index_base_PKT0_PKT1_PKS3_S4_PS5_PS8_PS3_
                                        ; -- End function
	.section	.AMDGPU.csdata,"",@progbits
; Kernel info:
; codeLenInByte = 444
; NumSgprs: 27
; NumVgprs: 13
; NumAgprs: 0
; TotalNumVgprs: 13
; ScratchSize: 0
; MemoryBound: 0
; FloatMode: 240
; IeeeMode: 1
; LDSByteSize: 0 bytes/workgroup (compile time only)
; SGPRBlocks: 3
; VGPRBlocks: 1
; NumSGPRsForWavesPerEU: 27
; NumVGPRsForWavesPerEU: 13
; AccumOffset: 16
; Occupancy: 8
; WaveLimiterHint : 0
; COMPUTE_PGM_RSRC2:SCRATCH_EN: 0
; COMPUTE_PGM_RSRC2:USER_SGPR: 6
; COMPUTE_PGM_RSRC2:TRAP_HANDLER: 0
; COMPUTE_PGM_RSRC2:TGID_X_EN: 1
; COMPUTE_PGM_RSRC2:TGID_Y_EN: 0
; COMPUTE_PGM_RSRC2:TGID_Z_EN: 0
; COMPUTE_PGM_RSRC2:TIDIG_COMP_CNT: 0
; COMPUTE_PGM_RSRC3_GFX90A:ACCUM_OFFSET: 3
; COMPUTE_PGM_RSRC3_GFX90A:TG_SPLIT: 0
	.section	.text._ZN9rocsparseL32bsr2csr_block_per_row_2_7_kernelILj256ELj2E21rocsparse_complex_numIfEiiEEv20rocsparse_direction_T3_S4_21rocsparse_index_base_PKT1_PKT2_PKS4_S4_S5_PS6_PS9_PS4_,"axG",@progbits,_ZN9rocsparseL32bsr2csr_block_per_row_2_7_kernelILj256ELj2E21rocsparse_complex_numIfEiiEEv20rocsparse_direction_T3_S4_21rocsparse_index_base_PKT1_PKT2_PKS4_S4_S5_PS6_PS9_PS4_,comdat
	.globl	_ZN9rocsparseL32bsr2csr_block_per_row_2_7_kernelILj256ELj2E21rocsparse_complex_numIfEiiEEv20rocsparse_direction_T3_S4_21rocsparse_index_base_PKT1_PKT2_PKS4_S4_S5_PS6_PS9_PS4_ ; -- Begin function _ZN9rocsparseL32bsr2csr_block_per_row_2_7_kernelILj256ELj2E21rocsparse_complex_numIfEiiEEv20rocsparse_direction_T3_S4_21rocsparse_index_base_PKT1_PKT2_PKS4_S4_S5_PS6_PS9_PS4_
	.p2align	8
	.type	_ZN9rocsparseL32bsr2csr_block_per_row_2_7_kernelILj256ELj2E21rocsparse_complex_numIfEiiEEv20rocsparse_direction_T3_S4_21rocsparse_index_base_PKT1_PKT2_PKS4_S4_S5_PS6_PS9_PS4_,@function
_ZN9rocsparseL32bsr2csr_block_per_row_2_7_kernelILj256ELj2E21rocsparse_complex_numIfEiiEEv20rocsparse_direction_T3_S4_21rocsparse_index_base_PKT1_PKT2_PKS4_S4_S5_PS6_PS9_PS4_: ; @_ZN9rocsparseL32bsr2csr_block_per_row_2_7_kernelILj256ELj2E21rocsparse_complex_numIfEiiEEv20rocsparse_direction_T3_S4_21rocsparse_index_base_PKT1_PKT2_PKS4_S4_S5_PS6_PS9_PS4_
; %bb.0:
	s_load_dwordx2 s[0:1], s[4:5], 0x18
	s_load_dword s12, s[4:5], 0x2c
	s_load_dwordx2 s[2:3], s[4:5], 0x38
	s_ashr_i32 s7, s6, 31
	s_lshl_b64 s[8:9], s[6:7], 2
	s_waitcnt lgkmcnt(0)
	s_add_u32 s0, s0, s8
	s_addc_u32 s1, s1, s9
	s_load_dwordx2 s[0:1], s[0:1], 0x0
	v_or_b32_e32 v1, s6, v0
	v_cmp_eq_u32_e32 vcc, 0, v1
	s_and_saveexec_b64 s[8:9], vcc
	s_cbranch_execz .LBB157_2
; %bb.1:
	v_mov_b32_e32 v1, 0
	v_mov_b32_e32 v2, s12
	global_store_dword v1, v2, s[2:3]
.LBB157_2:
	s_or_b64 exec, exec, s[8:9]
	s_load_dword s13, s[4:5], 0xc
	v_and_b32_e32 v3, 1, v0
	v_lshrrev_b32_e32 v4, 1, v0
	v_lshl_or_b32 v0, s6, 1, v3
	v_add_u32_e32 v0, 1, v0
	s_waitcnt lgkmcnt(0)
	s_sub_i32 s7, s0, s13
	s_sub_i32 s14, s1, s13
	s_sub_i32 s8, s14, s7
	s_lshl_b32 s8, s8, 1
	v_mov_b32_e32 v1, 0
	s_lshl_b32 s1, s7, 2
	v_mul_lo_u32 v5, s8, v3
	s_add_i32 s8, s8, s12
	v_lshlrev_b64 v[6:7], 2, v[0:1]
	s_add_i32 s8, s8, s1
	v_mov_b32_e32 v0, s3
	v_add_co_u32_e32 v6, vcc, s2, v6
	v_add_u32_e32 v2, s8, v5
	v_addc_co_u32_e32 v7, vcc, v0, v7, vcc
	global_store_dword v[6:7], v2, off
	v_add_u32_e32 v2, s7, v4
	v_cmp_gt_i32_e32 vcc, s14, v2
	s_and_saveexec_b64 s[2:3], vcc
	s_cbranch_execz .LBB157_5
; %bb.3:
	s_load_dwordx2 s[2:3], s[4:5], 0x20
	s_load_dwordx2 s[6:7], s[4:5], 0x30
	s_load_dword s1, s[4:5], 0x0
	s_load_dwordx2 s[8:9], s[4:5], 0x10
	s_load_dwordx2 s[10:11], s[4:5], 0x40
	v_lshlrev_b32_e32 v0, 1, v4
	s_mov_b64 s[4:5], 0
	s_waitcnt lgkmcnt(0)
	s_cmp_eq_u32 s1, 0
	s_cselect_b64 vcc, -1, 0
	s_lshl_b32 s0, s0, 2
	v_add3_u32 v0, v5, s0, v0
	s_lshl_b32 s0, s13, 2
	v_subrev_u32_e32 v4, s0, v0
	v_lshlrev_b32_e32 v0, 2, v2
	v_lshl_or_b32 v6, v3, 1, v0
	v_or_b32_e32 v7, v0, v3
	v_mov_b32_e32 v8, s3
	v_mov_b32_e32 v9, s11
	;; [unrolled: 1-line block ×4, first 2 shown]
.LBB157_4:                              ; =>This Inner Loop Header: Depth=1
	v_ashrrev_i32_e32 v3, 31, v2
	v_lshlrev_b64 v[12:13], 2, v[2:3]
	v_cndmask_b32_e32 v0, v7, v6, vcc
	v_add_co_u32_e64 v12, s[0:1], s2, v12
	v_add_u32_e32 v5, 1, v6
	v_add_u32_e32 v16, 2, v7
	v_lshlrev_b64 v[14:15], 3, v[0:1]
	v_addc_co_u32_e64 v13, s[0:1], v8, v13, s[0:1]
	v_cndmask_b32_e32 v0, v16, v5, vcc
	v_add_co_u32_e64 v16, s[0:1], s8, v14
	v_addc_co_u32_e64 v17, s[0:1], v10, v15, s[0:1]
	v_lshlrev_b64 v[14:15], 3, v[0:1]
	global_load_dword v0, v[12:13], off
	v_add_co_u32_e64 v18, s[0:1], s8, v14
	v_addc_co_u32_e64 v19, s[0:1], v10, v15, s[0:1]
	global_load_dwordx2 v[12:13], v[16:17], off
	global_load_dwordx2 v[14:15], v[18:19], off
	v_ashrrev_i32_e32 v5, 31, v4
	v_lshlrev_b64 v[16:17], 2, v[4:5]
	v_add_co_u32_e64 v16, s[0:1], s10, v16
	v_lshlrev_b64 v[18:19], 3, v[4:5]
	v_addc_co_u32_e64 v17, s[0:1], v9, v17, s[0:1]
	v_add_co_u32_e64 v18, s[0:1], s6, v18
	v_add_u32_e32 v2, 0x80, v2
	v_addc_co_u32_e64 v19, s[0:1], v11, v19, s[0:1]
	v_cmp_le_i32_e64 s[0:1], s14, v2
	v_add_u32_e32 v6, 0x200, v6
	v_add_u32_e32 v7, 0x200, v7
	;; [unrolled: 1-line block ×3, first 2 shown]
	s_or_b64 s[4:5], s[0:1], s[4:5]
	s_waitcnt vmcnt(2)
	v_subrev_u32_e32 v0, s13, v0
	v_lshl_add_u32 v20, v0, 1, s12
	v_add_u32_e32 v21, 1, v20
	global_store_dwordx2 v[16:17], v[20:21], off
	s_waitcnt vmcnt(1)
	global_store_dwordx4 v[18:19], v[12:15], off
	s_andn2_b64 exec, exec, s[4:5]
	s_cbranch_execnz .LBB157_4
.LBB157_5:
	s_endpgm
	.section	.rodata,"a",@progbits
	.p2align	6, 0x0
	.amdhsa_kernel _ZN9rocsparseL32bsr2csr_block_per_row_2_7_kernelILj256ELj2E21rocsparse_complex_numIfEiiEEv20rocsparse_direction_T3_S4_21rocsparse_index_base_PKT1_PKT2_PKS4_S4_S5_PS6_PS9_PS4_
		.amdhsa_group_segment_fixed_size 0
		.amdhsa_private_segment_fixed_size 0
		.amdhsa_kernarg_size 72
		.amdhsa_user_sgpr_count 6
		.amdhsa_user_sgpr_private_segment_buffer 1
		.amdhsa_user_sgpr_dispatch_ptr 0
		.amdhsa_user_sgpr_queue_ptr 0
		.amdhsa_user_sgpr_kernarg_segment_ptr 1
		.amdhsa_user_sgpr_dispatch_id 0
		.amdhsa_user_sgpr_flat_scratch_init 0
		.amdhsa_user_sgpr_kernarg_preload_length 0
		.amdhsa_user_sgpr_kernarg_preload_offset 0
		.amdhsa_user_sgpr_private_segment_size 0
		.amdhsa_uses_dynamic_stack 0
		.amdhsa_system_sgpr_private_segment_wavefront_offset 0
		.amdhsa_system_sgpr_workgroup_id_x 1
		.amdhsa_system_sgpr_workgroup_id_y 0
		.amdhsa_system_sgpr_workgroup_id_z 0
		.amdhsa_system_sgpr_workgroup_info 0
		.amdhsa_system_vgpr_workitem_id 0
		.amdhsa_next_free_vgpr 22
		.amdhsa_next_free_sgpr 15
		.amdhsa_accum_offset 24
		.amdhsa_reserve_vcc 1
		.amdhsa_reserve_flat_scratch 0
		.amdhsa_float_round_mode_32 0
		.amdhsa_float_round_mode_16_64 0
		.amdhsa_float_denorm_mode_32 3
		.amdhsa_float_denorm_mode_16_64 3
		.amdhsa_dx10_clamp 1
		.amdhsa_ieee_mode 1
		.amdhsa_fp16_overflow 0
		.amdhsa_tg_split 0
		.amdhsa_exception_fp_ieee_invalid_op 0
		.amdhsa_exception_fp_denorm_src 0
		.amdhsa_exception_fp_ieee_div_zero 0
		.amdhsa_exception_fp_ieee_overflow 0
		.amdhsa_exception_fp_ieee_underflow 0
		.amdhsa_exception_fp_ieee_inexact 0
		.amdhsa_exception_int_div_zero 0
	.end_amdhsa_kernel
	.section	.text._ZN9rocsparseL32bsr2csr_block_per_row_2_7_kernelILj256ELj2E21rocsparse_complex_numIfEiiEEv20rocsparse_direction_T3_S4_21rocsparse_index_base_PKT1_PKT2_PKS4_S4_S5_PS6_PS9_PS4_,"axG",@progbits,_ZN9rocsparseL32bsr2csr_block_per_row_2_7_kernelILj256ELj2E21rocsparse_complex_numIfEiiEEv20rocsparse_direction_T3_S4_21rocsparse_index_base_PKT1_PKT2_PKS4_S4_S5_PS6_PS9_PS4_,comdat
.Lfunc_end157:
	.size	_ZN9rocsparseL32bsr2csr_block_per_row_2_7_kernelILj256ELj2E21rocsparse_complex_numIfEiiEEv20rocsparse_direction_T3_S4_21rocsparse_index_base_PKT1_PKT2_PKS4_S4_S5_PS6_PS9_PS4_, .Lfunc_end157-_ZN9rocsparseL32bsr2csr_block_per_row_2_7_kernelILj256ELj2E21rocsparse_complex_numIfEiiEEv20rocsparse_direction_T3_S4_21rocsparse_index_base_PKT1_PKT2_PKS4_S4_S5_PS6_PS9_PS4_
                                        ; -- End function
	.section	.AMDGPU.csdata,"",@progbits
; Kernel info:
; codeLenInByte = 584
; NumSgprs: 19
; NumVgprs: 22
; NumAgprs: 0
; TotalNumVgprs: 22
; ScratchSize: 0
; MemoryBound: 0
; FloatMode: 240
; IeeeMode: 1
; LDSByteSize: 0 bytes/workgroup (compile time only)
; SGPRBlocks: 2
; VGPRBlocks: 2
; NumSGPRsForWavesPerEU: 19
; NumVGPRsForWavesPerEU: 22
; AccumOffset: 24
; Occupancy: 8
; WaveLimiterHint : 0
; COMPUTE_PGM_RSRC2:SCRATCH_EN: 0
; COMPUTE_PGM_RSRC2:USER_SGPR: 6
; COMPUTE_PGM_RSRC2:TRAP_HANDLER: 0
; COMPUTE_PGM_RSRC2:TGID_X_EN: 1
; COMPUTE_PGM_RSRC2:TGID_Y_EN: 0
; COMPUTE_PGM_RSRC2:TGID_Z_EN: 0
; COMPUTE_PGM_RSRC2:TIDIG_COMP_CNT: 0
; COMPUTE_PGM_RSRC3_GFX90A:ACCUM_OFFSET: 5
; COMPUTE_PGM_RSRC3_GFX90A:TG_SPLIT: 0
	.section	.text._ZN9rocsparseL32bsr2csr_block_per_row_2_7_kernelILj256ELj3E21rocsparse_complex_numIfEiiEEv20rocsparse_direction_T3_S4_21rocsparse_index_base_PKT1_PKT2_PKS4_S4_S5_PS6_PS9_PS4_,"axG",@progbits,_ZN9rocsparseL32bsr2csr_block_per_row_2_7_kernelILj256ELj3E21rocsparse_complex_numIfEiiEEv20rocsparse_direction_T3_S4_21rocsparse_index_base_PKT1_PKT2_PKS4_S4_S5_PS6_PS9_PS4_,comdat
	.globl	_ZN9rocsparseL32bsr2csr_block_per_row_2_7_kernelILj256ELj3E21rocsparse_complex_numIfEiiEEv20rocsparse_direction_T3_S4_21rocsparse_index_base_PKT1_PKT2_PKS4_S4_S5_PS6_PS9_PS4_ ; -- Begin function _ZN9rocsparseL32bsr2csr_block_per_row_2_7_kernelILj256ELj3E21rocsparse_complex_numIfEiiEEv20rocsparse_direction_T3_S4_21rocsparse_index_base_PKT1_PKT2_PKS4_S4_S5_PS6_PS9_PS4_
	.p2align	8
	.type	_ZN9rocsparseL32bsr2csr_block_per_row_2_7_kernelILj256ELj3E21rocsparse_complex_numIfEiiEEv20rocsparse_direction_T3_S4_21rocsparse_index_base_PKT1_PKT2_PKS4_S4_S5_PS6_PS9_PS4_,@function
_ZN9rocsparseL32bsr2csr_block_per_row_2_7_kernelILj256ELj3E21rocsparse_complex_numIfEiiEEv20rocsparse_direction_T3_S4_21rocsparse_index_base_PKT1_PKT2_PKS4_S4_S5_PS6_PS9_PS4_: ; @_ZN9rocsparseL32bsr2csr_block_per_row_2_7_kernelILj256ELj3E21rocsparse_complex_numIfEiiEEv20rocsparse_direction_T3_S4_21rocsparse_index_base_PKT1_PKT2_PKS4_S4_S5_PS6_PS9_PS4_
; %bb.0:
	s_load_dwordx2 s[0:1], s[4:5], 0x18
	s_load_dword s15, s[4:5], 0x2c
	s_load_dwordx2 s[2:3], s[4:5], 0x38
	s_ashr_i32 s7, s6, 31
	s_lshl_b64 s[8:9], s[6:7], 2
	s_waitcnt lgkmcnt(0)
	s_add_u32 s8, s0, s8
	v_or_b32_e32 v1, s6, v0
	s_addc_u32 s9, s1, s9
	v_cmp_eq_u32_e32 vcc, 0, v1
	s_and_saveexec_b64 s[0:1], vcc
	s_cbranch_execz .LBB158_2
; %bb.1:
	v_mov_b32_e32 v1, 0
	v_mov_b32_e32 v2, s15
	global_store_dword v1, v2, s[2:3]
.LBB158_2:
	s_or_b64 exec, exec, s[0:1]
	v_and_b32_e32 v4, 3, v0
	v_cmp_ne_u32_e32 vcc, 3, v4
	s_and_saveexec_b64 s[0:1], vcc
	s_cbranch_execz .LBB158_6
; %bb.3:
	s_load_dwordx2 s[0:1], s[8:9], 0x0
	s_load_dword s12, s[4:5], 0xc
	v_lshrrev_b32_e32 v3, 2, v0
	v_mov_b32_e32 v1, 0
	s_waitcnt lgkmcnt(0)
	s_sub_i32 s7, s0, s12
	s_sub_i32 s13, s1, s12
	s_sub_i32 s8, s13, s7
	s_mul_i32 s8, s8, 3
	s_mul_i32 s1, s7, 9
	v_mul_lo_u32 v6, s8, v4
	s_add_i32 s8, s8, s15
	s_add_i32 s8, s8, s1
	s_mul_i32 s1, s6, 3
	v_add3_u32 v0, v4, s1, 1
	v_lshlrev_b64 v[8:9], 2, v[0:1]
	v_mov_b32_e32 v0, s3
	v_add_co_u32_e32 v8, vcc, s2, v8
	v_add_u32_e32 v2, s8, v6
	v_addc_co_u32_e32 v9, vcc, v0, v9, vcc
	global_store_dword v[8:9], v2, off
	v_add_u32_e32 v2, s7, v3
	v_cmp_gt_i32_e32 vcc, s13, v2
	s_and_b64 exec, exec, vcc
	s_cbranch_execz .LBB158_6
; %bb.4:
	s_load_dwordx2 s[2:3], s[4:5], 0x20
	s_load_dwordx2 s[6:7], s[4:5], 0x30
	s_load_dword s1, s[4:5], 0x0
	s_load_dwordx2 s[8:9], s[4:5], 0x10
	s_load_dwordx2 s[10:11], s[4:5], 0x40
	v_add_u32_e32 v0, s0, v3
	v_lshl_add_u32 v0, v0, 3, v0
	s_waitcnt lgkmcnt(0)
	s_cmp_eq_u32 s1, 0
	v_mad_u32_u24 v0, v4, 3, v0
	s_mul_i32 s1, s12, 9
	v_subrev_u32_e32 v9, s1, v0
	s_mul_i32 s0, s0, 9
	v_mul_u32_u24_e32 v0, 3, v3
	v_mad_u64_u32 v[4:5], s[4:5], v2, 9, v[4:5]
	v_add3_u32 v0, v6, s0, v0
	s_mov_b32 s14, 0
	s_cselect_b64 vcc, -1, 0
	v_subrev_u32_e32 v6, s1, v0
	s_mov_b64 s[4:5], 0
	v_mov_b32_e32 v5, s3
	v_mov_b32_e32 v8, s15
	;; [unrolled: 1-line block ×5, first 2 shown]
.LBB158_5:                              ; =>This Inner Loop Header: Depth=1
	v_ashrrev_i32_e32 v3, 31, v2
	v_add_u32_e32 v7, s14, v4
	v_add_u32_e32 v13, s14, v9
	v_lshlrev_b64 v[14:15], 2, v[2:3]
	v_cndmask_b32_e32 v0, v7, v13, vcc
	v_add_co_u32_e64 v14, s[0:1], s2, v14
	v_add_u32_e32 v3, 1, v13
	v_add_u32_e32 v18, 3, v7
	v_addc_co_u32_e64 v15, s[0:1], v5, v15, s[0:1]
	v_lshlrev_b64 v[16:17], 3, v[0:1]
	v_cndmask_b32_e32 v0, v18, v3, vcc
	v_add_co_u32_e64 v18, s[0:1], s8, v16
	v_add_u32_e32 v13, 2, v13
	v_add_u32_e32 v7, 6, v7
	global_load_dword v3, v[14:15], off
	v_addc_co_u32_e64 v19, s[0:1], v11, v17, s[0:1]
	v_lshlrev_b64 v[14:15], 3, v[0:1]
	v_cndmask_b32_e32 v0, v7, v13, vcc
	v_add_co_u32_e64 v20, s[0:1], s8, v14
	v_addc_co_u32_e64 v21, s[0:1], v11, v15, s[0:1]
	v_lshlrev_b64 v[22:23], 3, v[0:1]
	global_load_dwordx2 v[14:15], v[18:19], off
	global_load_dwordx2 v[16:17], v[20:21], off
	v_add_co_u32_e64 v18, s[0:1], s8, v22
	v_addc_co_u32_e64 v19, s[0:1], v11, v23, s[0:1]
	global_load_dwordx2 v[22:23], v[18:19], off
	v_ashrrev_i32_e32 v7, 31, v6
	v_lshlrev_b64 v[18:19], 2, v[6:7]
	v_add_co_u32_e64 v24, s[0:1], s10, v18
	v_lshlrev_b64 v[20:21], 3, v[6:7]
	v_addc_co_u32_e64 v25, s[0:1], v10, v19, s[0:1]
	v_add_co_u32_e64 v26, s[0:1], s6, v20
	v_add_u32_e32 v2, 64, v2
	v_addc_co_u32_e64 v27, s[0:1], v12, v21, s[0:1]
	s_addk_i32 s14, 0x240
	v_cmp_le_i32_e64 s[0:1], s13, v2
	s_or_b64 s[4:5], s[0:1], s[4:5]
	v_add_u32_e32 v6, 0xc0, v6
	s_waitcnt vmcnt(3)
	v_subrev_u32_e32 v0, s12, v3
	v_mad_u64_u32 v[18:19], s[0:1], v0, 3, v[8:9]
	v_add_u32_e32 v19, 1, v18
	v_add_u32_e32 v20, 2, v18
	s_waitcnt vmcnt(1)
	global_store_dwordx4 v[26:27], v[14:17], off
	global_store_dwordx3 v[24:25], v[18:20], off
	s_waitcnt vmcnt(2)
	global_store_dwordx2 v[26:27], v[22:23], off offset:16
	s_andn2_b64 exec, exec, s[4:5]
	s_cbranch_execnz .LBB158_5
.LBB158_6:
	s_endpgm
	.section	.rodata,"a",@progbits
	.p2align	6, 0x0
	.amdhsa_kernel _ZN9rocsparseL32bsr2csr_block_per_row_2_7_kernelILj256ELj3E21rocsparse_complex_numIfEiiEEv20rocsparse_direction_T3_S4_21rocsparse_index_base_PKT1_PKT2_PKS4_S4_S5_PS6_PS9_PS4_
		.amdhsa_group_segment_fixed_size 0
		.amdhsa_private_segment_fixed_size 0
		.amdhsa_kernarg_size 72
		.amdhsa_user_sgpr_count 6
		.amdhsa_user_sgpr_private_segment_buffer 1
		.amdhsa_user_sgpr_dispatch_ptr 0
		.amdhsa_user_sgpr_queue_ptr 0
		.amdhsa_user_sgpr_kernarg_segment_ptr 1
		.amdhsa_user_sgpr_dispatch_id 0
		.amdhsa_user_sgpr_flat_scratch_init 0
		.amdhsa_user_sgpr_kernarg_preload_length 0
		.amdhsa_user_sgpr_kernarg_preload_offset 0
		.amdhsa_user_sgpr_private_segment_size 0
		.amdhsa_uses_dynamic_stack 0
		.amdhsa_system_sgpr_private_segment_wavefront_offset 0
		.amdhsa_system_sgpr_workgroup_id_x 1
		.amdhsa_system_sgpr_workgroup_id_y 0
		.amdhsa_system_sgpr_workgroup_id_z 0
		.amdhsa_system_sgpr_workgroup_info 0
		.amdhsa_system_vgpr_workitem_id 0
		.amdhsa_next_free_vgpr 28
		.amdhsa_next_free_sgpr 16
		.amdhsa_accum_offset 28
		.amdhsa_reserve_vcc 1
		.amdhsa_reserve_flat_scratch 0
		.amdhsa_float_round_mode_32 0
		.amdhsa_float_round_mode_16_64 0
		.amdhsa_float_denorm_mode_32 3
		.amdhsa_float_denorm_mode_16_64 3
		.amdhsa_dx10_clamp 1
		.amdhsa_ieee_mode 1
		.amdhsa_fp16_overflow 0
		.amdhsa_tg_split 0
		.amdhsa_exception_fp_ieee_invalid_op 0
		.amdhsa_exception_fp_denorm_src 0
		.amdhsa_exception_fp_ieee_div_zero 0
		.amdhsa_exception_fp_ieee_overflow 0
		.amdhsa_exception_fp_ieee_underflow 0
		.amdhsa_exception_fp_ieee_inexact 0
		.amdhsa_exception_int_div_zero 0
	.end_amdhsa_kernel
	.section	.text._ZN9rocsparseL32bsr2csr_block_per_row_2_7_kernelILj256ELj3E21rocsparse_complex_numIfEiiEEv20rocsparse_direction_T3_S4_21rocsparse_index_base_PKT1_PKT2_PKS4_S4_S5_PS6_PS9_PS4_,"axG",@progbits,_ZN9rocsparseL32bsr2csr_block_per_row_2_7_kernelILj256ELj3E21rocsparse_complex_numIfEiiEEv20rocsparse_direction_T3_S4_21rocsparse_index_base_PKT1_PKT2_PKS4_S4_S5_PS6_PS9_PS4_,comdat
.Lfunc_end158:
	.size	_ZN9rocsparseL32bsr2csr_block_per_row_2_7_kernelILj256ELj3E21rocsparse_complex_numIfEiiEEv20rocsparse_direction_T3_S4_21rocsparse_index_base_PKT1_PKT2_PKS4_S4_S5_PS6_PS9_PS4_, .Lfunc_end158-_ZN9rocsparseL32bsr2csr_block_per_row_2_7_kernelILj256ELj3E21rocsparse_complex_numIfEiiEEv20rocsparse_direction_T3_S4_21rocsparse_index_base_PKT1_PKT2_PKS4_S4_S5_PS6_PS9_PS4_
                                        ; -- End function
	.section	.AMDGPU.csdata,"",@progbits
; Kernel info:
; codeLenInByte = 672
; NumSgprs: 20
; NumVgprs: 28
; NumAgprs: 0
; TotalNumVgprs: 28
; ScratchSize: 0
; MemoryBound: 0
; FloatMode: 240
; IeeeMode: 1
; LDSByteSize: 0 bytes/workgroup (compile time only)
; SGPRBlocks: 2
; VGPRBlocks: 3
; NumSGPRsForWavesPerEU: 20
; NumVGPRsForWavesPerEU: 28
; AccumOffset: 28
; Occupancy: 8
; WaveLimiterHint : 1
; COMPUTE_PGM_RSRC2:SCRATCH_EN: 0
; COMPUTE_PGM_RSRC2:USER_SGPR: 6
; COMPUTE_PGM_RSRC2:TRAP_HANDLER: 0
; COMPUTE_PGM_RSRC2:TGID_X_EN: 1
; COMPUTE_PGM_RSRC2:TGID_Y_EN: 0
; COMPUTE_PGM_RSRC2:TGID_Z_EN: 0
; COMPUTE_PGM_RSRC2:TIDIG_COMP_CNT: 0
; COMPUTE_PGM_RSRC3_GFX90A:ACCUM_OFFSET: 6
; COMPUTE_PGM_RSRC3_GFX90A:TG_SPLIT: 0
	.section	.text._ZN9rocsparseL32bsr2csr_block_per_row_2_7_kernelILj256ELj4E21rocsparse_complex_numIfEiiEEv20rocsparse_direction_T3_S4_21rocsparse_index_base_PKT1_PKT2_PKS4_S4_S5_PS6_PS9_PS4_,"axG",@progbits,_ZN9rocsparseL32bsr2csr_block_per_row_2_7_kernelILj256ELj4E21rocsparse_complex_numIfEiiEEv20rocsparse_direction_T3_S4_21rocsparse_index_base_PKT1_PKT2_PKS4_S4_S5_PS6_PS9_PS4_,comdat
	.globl	_ZN9rocsparseL32bsr2csr_block_per_row_2_7_kernelILj256ELj4E21rocsparse_complex_numIfEiiEEv20rocsparse_direction_T3_S4_21rocsparse_index_base_PKT1_PKT2_PKS4_S4_S5_PS6_PS9_PS4_ ; -- Begin function _ZN9rocsparseL32bsr2csr_block_per_row_2_7_kernelILj256ELj4E21rocsparse_complex_numIfEiiEEv20rocsparse_direction_T3_S4_21rocsparse_index_base_PKT1_PKT2_PKS4_S4_S5_PS6_PS9_PS4_
	.p2align	8
	.type	_ZN9rocsparseL32bsr2csr_block_per_row_2_7_kernelILj256ELj4E21rocsparse_complex_numIfEiiEEv20rocsparse_direction_T3_S4_21rocsparse_index_base_PKT1_PKT2_PKS4_S4_S5_PS6_PS9_PS4_,@function
_ZN9rocsparseL32bsr2csr_block_per_row_2_7_kernelILj256ELj4E21rocsparse_complex_numIfEiiEEv20rocsparse_direction_T3_S4_21rocsparse_index_base_PKT1_PKT2_PKS4_S4_S5_PS6_PS9_PS4_: ; @_ZN9rocsparseL32bsr2csr_block_per_row_2_7_kernelILj256ELj4E21rocsparse_complex_numIfEiiEEv20rocsparse_direction_T3_S4_21rocsparse_index_base_PKT1_PKT2_PKS4_S4_S5_PS6_PS9_PS4_
; %bb.0:
	s_load_dwordx2 s[0:1], s[4:5], 0x18
	s_load_dword s12, s[4:5], 0x2c
	s_load_dwordx2 s[2:3], s[4:5], 0x38
	s_ashr_i32 s7, s6, 31
	s_lshl_b64 s[8:9], s[6:7], 2
	s_waitcnt lgkmcnt(0)
	s_add_u32 s0, s0, s8
	s_addc_u32 s1, s1, s9
	s_load_dwordx2 s[0:1], s[0:1], 0x0
	v_or_b32_e32 v1, s6, v0
	v_cmp_eq_u32_e32 vcc, 0, v1
	s_and_saveexec_b64 s[8:9], vcc
	s_cbranch_execz .LBB159_2
; %bb.1:
	v_mov_b32_e32 v1, 0
	v_mov_b32_e32 v2, s12
	global_store_dword v1, v2, s[2:3]
.LBB159_2:
	s_or_b64 exec, exec, s[8:9]
	s_load_dword s13, s[4:5], 0xc
	v_and_b32_e32 v6, 3, v0
	v_lshrrev_b32_e32 v3, 2, v0
	v_lshl_or_b32 v0, s6, 2, v6
	v_add_u32_e32 v0, 1, v0
	s_waitcnt lgkmcnt(0)
	s_sub_i32 s7, s0, s13
	s_sub_i32 s14, s1, s13
	;; [unrolled: 1-line block ×3, first 2 shown]
	s_lshl_b32 s8, s8, 2
	v_mov_b32_e32 v1, 0
	s_lshl_b32 s1, s7, 4
	v_mul_lo_u32 v4, s8, v6
	s_add_i32 s8, s8, s12
	v_lshlrev_b64 v[8:9], 2, v[0:1]
	s_add_i32 s8, s8, s1
	v_mov_b32_e32 v0, s3
	v_add_co_u32_e32 v8, vcc, s2, v8
	v_add_u32_e32 v2, s8, v4
	v_addc_co_u32_e32 v9, vcc, v0, v9, vcc
	global_store_dword v[8:9], v2, off
	v_add_u32_e32 v2, s7, v3
	v_cmp_gt_i32_e32 vcc, s14, v2
	s_and_saveexec_b64 s[2:3], vcc
	s_cbranch_execz .LBB159_5
; %bb.3:
	s_load_dwordx2 s[2:3], s[4:5], 0x20
	s_load_dwordx2 s[6:7], s[4:5], 0x30
	s_load_dword s1, s[4:5], 0x0
	s_load_dwordx2 s[8:9], s[4:5], 0x10
	s_load_dwordx2 s[10:11], s[4:5], 0x40
	v_lshlrev_b32_e32 v0, 2, v3
	v_lshlrev_b32_e32 v7, 2, v6
	s_waitcnt lgkmcnt(0)
	s_cmp_eq_u32 s1, 0
	s_cselect_b64 vcc, -1, 0
	s_lshl_b32 s0, s0, 4
	v_add3_u32 v0, v4, s0, v0
	s_lshl_b32 s0, s13, 4
	v_subrev_u32_e32 v4, s0, v0
	v_lshlrev_b32_e32 v8, 4, v2
	s_mov_b64 s[4:5], 0
	v_mov_b32_e32 v9, s3
	v_mov_b32_e32 v10, s11
	;; [unrolled: 1-line block ×4, first 2 shown]
.LBB159_4:                              ; =>This Inner Loop Header: Depth=1
	v_ashrrev_i32_e32 v3, 31, v2
	v_add_u32_e32 v5, v7, v8
	v_add_u32_e32 v13, v6, v8
	v_lshlrev_b64 v[14:15], 2, v[2:3]
	v_cndmask_b32_e32 v0, v13, v5, vcc
	v_add_co_u32_e64 v14, s[0:1], s2, v14
	v_add_u32_e32 v3, 1, v5
	v_add_u32_e32 v18, 4, v13
	v_addc_co_u32_e64 v15, s[0:1], v9, v15, s[0:1]
	v_lshlrev_b64 v[16:17], 3, v[0:1]
	v_cndmask_b32_e32 v0, v18, v3, vcc
	v_add_co_u32_e64 v18, s[0:1], s8, v16
	v_add_u32_e32 v20, 2, v5
	v_add_u32_e32 v21, 8, v13
	global_load_dword v3, v[14:15], off
	v_addc_co_u32_e64 v19, s[0:1], v11, v17, s[0:1]
	v_lshlrev_b64 v[14:15], 3, v[0:1]
	v_cndmask_b32_e32 v0, v21, v20, vcc
	v_add_co_u32_e64 v20, s[0:1], s8, v14
	v_add_u32_e32 v5, 3, v5
	v_add_u32_e32 v13, 12, v13
	v_addc_co_u32_e64 v21, s[0:1], v11, v15, s[0:1]
	v_lshlrev_b64 v[22:23], 3, v[0:1]
	v_cndmask_b32_e32 v0, v13, v5, vcc
	v_add_co_u32_e64 v22, s[0:1], s8, v22
	global_load_dwordx2 v[14:15], v[18:19], off
	global_load_dwordx2 v[16:17], v[20:21], off
	v_addc_co_u32_e64 v23, s[0:1], v11, v23, s[0:1]
	v_lshlrev_b64 v[18:19], 3, v[0:1]
	v_add_co_u32_e64 v24, s[0:1], s8, v18
	v_addc_co_u32_e64 v25, s[0:1], v11, v19, s[0:1]
	global_load_dwordx2 v[18:19], v[22:23], off
	global_load_dwordx2 v[20:21], v[24:25], off
	v_ashrrev_i32_e32 v5, 31, v4
	v_lshlrev_b64 v[22:23], 2, v[4:5]
	v_add_co_u32_e64 v26, s[0:1], s10, v22
	v_lshlrev_b64 v[24:25], 3, v[4:5]
	v_addc_co_u32_e64 v27, s[0:1], v10, v23, s[0:1]
	v_add_co_u32_e64 v28, s[0:1], s6, v24
	v_add_u32_e32 v2, 64, v2
	v_addc_co_u32_e64 v29, s[0:1], v12, v25, s[0:1]
	v_cmp_le_i32_e64 s[0:1], s14, v2
	v_add_u32_e32 v8, 0x400, v8
	v_add_u32_e32 v4, 0x100, v4
	s_or_b64 s[4:5], s[0:1], s[4:5]
	s_waitcnt vmcnt(4)
	v_subrev_u32_e32 v0, s13, v3
	v_lshl_add_u32 v22, v0, 2, s12
	v_add_u32_e32 v23, 1, v22
	v_add_u32_e32 v24, 2, v22
	;; [unrolled: 1-line block ×3, first 2 shown]
	s_waitcnt vmcnt(2)
	global_store_dwordx4 v[28:29], v[14:17], off
	global_store_dwordx4 v[26:27], v[22:25], off
	s_waitcnt vmcnt(2)
	global_store_dwordx4 v[28:29], v[18:21], off offset:16
	s_andn2_b64 exec, exec, s[4:5]
	s_cbranch_execnz .LBB159_4
.LBB159_5:
	s_endpgm
	.section	.rodata,"a",@progbits
	.p2align	6, 0x0
	.amdhsa_kernel _ZN9rocsparseL32bsr2csr_block_per_row_2_7_kernelILj256ELj4E21rocsparse_complex_numIfEiiEEv20rocsparse_direction_T3_S4_21rocsparse_index_base_PKT1_PKT2_PKS4_S4_S5_PS6_PS9_PS4_
		.amdhsa_group_segment_fixed_size 0
		.amdhsa_private_segment_fixed_size 0
		.amdhsa_kernarg_size 72
		.amdhsa_user_sgpr_count 6
		.amdhsa_user_sgpr_private_segment_buffer 1
		.amdhsa_user_sgpr_dispatch_ptr 0
		.amdhsa_user_sgpr_queue_ptr 0
		.amdhsa_user_sgpr_kernarg_segment_ptr 1
		.amdhsa_user_sgpr_dispatch_id 0
		.amdhsa_user_sgpr_flat_scratch_init 0
		.amdhsa_user_sgpr_kernarg_preload_length 0
		.amdhsa_user_sgpr_kernarg_preload_offset 0
		.amdhsa_user_sgpr_private_segment_size 0
		.amdhsa_uses_dynamic_stack 0
		.amdhsa_system_sgpr_private_segment_wavefront_offset 0
		.amdhsa_system_sgpr_workgroup_id_x 1
		.amdhsa_system_sgpr_workgroup_id_y 0
		.amdhsa_system_sgpr_workgroup_id_z 0
		.amdhsa_system_sgpr_workgroup_info 0
		.amdhsa_system_vgpr_workitem_id 0
		.amdhsa_next_free_vgpr 30
		.amdhsa_next_free_sgpr 15
		.amdhsa_accum_offset 32
		.amdhsa_reserve_vcc 1
		.amdhsa_reserve_flat_scratch 0
		.amdhsa_float_round_mode_32 0
		.amdhsa_float_round_mode_16_64 0
		.amdhsa_float_denorm_mode_32 3
		.amdhsa_float_denorm_mode_16_64 3
		.amdhsa_dx10_clamp 1
		.amdhsa_ieee_mode 1
		.amdhsa_fp16_overflow 0
		.amdhsa_tg_split 0
		.amdhsa_exception_fp_ieee_invalid_op 0
		.amdhsa_exception_fp_denorm_src 0
		.amdhsa_exception_fp_ieee_div_zero 0
		.amdhsa_exception_fp_ieee_overflow 0
		.amdhsa_exception_fp_ieee_underflow 0
		.amdhsa_exception_fp_ieee_inexact 0
		.amdhsa_exception_int_div_zero 0
	.end_amdhsa_kernel
	.section	.text._ZN9rocsparseL32bsr2csr_block_per_row_2_7_kernelILj256ELj4E21rocsparse_complex_numIfEiiEEv20rocsparse_direction_T3_S4_21rocsparse_index_base_PKT1_PKT2_PKS4_S4_S5_PS6_PS9_PS4_,"axG",@progbits,_ZN9rocsparseL32bsr2csr_block_per_row_2_7_kernelILj256ELj4E21rocsparse_complex_numIfEiiEEv20rocsparse_direction_T3_S4_21rocsparse_index_base_PKT1_PKT2_PKS4_S4_S5_PS6_PS9_PS4_,comdat
.Lfunc_end159:
	.size	_ZN9rocsparseL32bsr2csr_block_per_row_2_7_kernelILj256ELj4E21rocsparse_complex_numIfEiiEEv20rocsparse_direction_T3_S4_21rocsparse_index_base_PKT1_PKT2_PKS4_S4_S5_PS6_PS9_PS4_, .Lfunc_end159-_ZN9rocsparseL32bsr2csr_block_per_row_2_7_kernelILj256ELj4E21rocsparse_complex_numIfEiiEEv20rocsparse_direction_T3_S4_21rocsparse_index_base_PKT1_PKT2_PKS4_S4_S5_PS6_PS9_PS4_
                                        ; -- End function
	.section	.AMDGPU.csdata,"",@progbits
; Kernel info:
; codeLenInByte = 680
; NumSgprs: 19
; NumVgprs: 30
; NumAgprs: 0
; TotalNumVgprs: 30
; ScratchSize: 0
; MemoryBound: 0
; FloatMode: 240
; IeeeMode: 1
; LDSByteSize: 0 bytes/workgroup (compile time only)
; SGPRBlocks: 2
; VGPRBlocks: 3
; NumSGPRsForWavesPerEU: 19
; NumVGPRsForWavesPerEU: 30
; AccumOffset: 32
; Occupancy: 8
; WaveLimiterHint : 0
; COMPUTE_PGM_RSRC2:SCRATCH_EN: 0
; COMPUTE_PGM_RSRC2:USER_SGPR: 6
; COMPUTE_PGM_RSRC2:TRAP_HANDLER: 0
; COMPUTE_PGM_RSRC2:TGID_X_EN: 1
; COMPUTE_PGM_RSRC2:TGID_Y_EN: 0
; COMPUTE_PGM_RSRC2:TGID_Z_EN: 0
; COMPUTE_PGM_RSRC2:TIDIG_COMP_CNT: 0
; COMPUTE_PGM_RSRC3_GFX90A:ACCUM_OFFSET: 7
; COMPUTE_PGM_RSRC3_GFX90A:TG_SPLIT: 0
	.section	.text._ZN9rocsparseL32bsr2csr_block_per_row_2_7_kernelILj256ELj5E21rocsparse_complex_numIfEiiEEv20rocsparse_direction_T3_S4_21rocsparse_index_base_PKT1_PKT2_PKS4_S4_S5_PS6_PS9_PS4_,"axG",@progbits,_ZN9rocsparseL32bsr2csr_block_per_row_2_7_kernelILj256ELj5E21rocsparse_complex_numIfEiiEEv20rocsparse_direction_T3_S4_21rocsparse_index_base_PKT1_PKT2_PKS4_S4_S5_PS6_PS9_PS4_,comdat
	.globl	_ZN9rocsparseL32bsr2csr_block_per_row_2_7_kernelILj256ELj5E21rocsparse_complex_numIfEiiEEv20rocsparse_direction_T3_S4_21rocsparse_index_base_PKT1_PKT2_PKS4_S4_S5_PS6_PS9_PS4_ ; -- Begin function _ZN9rocsparseL32bsr2csr_block_per_row_2_7_kernelILj256ELj5E21rocsparse_complex_numIfEiiEEv20rocsparse_direction_T3_S4_21rocsparse_index_base_PKT1_PKT2_PKS4_S4_S5_PS6_PS9_PS4_
	.p2align	8
	.type	_ZN9rocsparseL32bsr2csr_block_per_row_2_7_kernelILj256ELj5E21rocsparse_complex_numIfEiiEEv20rocsparse_direction_T3_S4_21rocsparse_index_base_PKT1_PKT2_PKS4_S4_S5_PS6_PS9_PS4_,@function
_ZN9rocsparseL32bsr2csr_block_per_row_2_7_kernelILj256ELj5E21rocsparse_complex_numIfEiiEEv20rocsparse_direction_T3_S4_21rocsparse_index_base_PKT1_PKT2_PKS4_S4_S5_PS6_PS9_PS4_: ; @_ZN9rocsparseL32bsr2csr_block_per_row_2_7_kernelILj256ELj5E21rocsparse_complex_numIfEiiEEv20rocsparse_direction_T3_S4_21rocsparse_index_base_PKT1_PKT2_PKS4_S4_S5_PS6_PS9_PS4_
; %bb.0:
	s_load_dwordx2 s[0:1], s[4:5], 0x18
	s_load_dword s15, s[4:5], 0x2c
	s_load_dwordx2 s[2:3], s[4:5], 0x38
	s_ashr_i32 s7, s6, 31
	s_lshl_b64 s[8:9], s[6:7], 2
	s_waitcnt lgkmcnt(0)
	s_add_u32 s8, s0, s8
	v_or_b32_e32 v1, s6, v0
	s_addc_u32 s9, s1, s9
	v_cmp_eq_u32_e32 vcc, 0, v1
	s_and_saveexec_b64 s[0:1], vcc
	s_cbranch_execz .LBB160_2
; %bb.1:
	v_mov_b32_e32 v1, 0
	v_mov_b32_e32 v2, s15
	global_store_dword v1, v2, s[2:3]
.LBB160_2:
	s_or_b64 exec, exec, s[0:1]
	v_and_b32_e32 v4, 7, v0
	v_cmp_gt_u32_e32 vcc, 5, v4
	s_and_saveexec_b64 s[0:1], vcc
	s_cbranch_execz .LBB160_6
; %bb.3:
	s_load_dwordx2 s[0:1], s[8:9], 0x0
	s_load_dword s12, s[4:5], 0xc
	v_lshrrev_b32_e32 v3, 3, v0
	v_mov_b32_e32 v1, 0
	s_waitcnt lgkmcnt(0)
	s_sub_i32 s7, s0, s12
	s_sub_i32 s13, s1, s12
	;; [unrolled: 1-line block ×3, first 2 shown]
	s_mul_i32 s8, s8, 5
	s_mul_i32 s1, s7, 25
	v_mul_lo_u32 v6, s8, v4
	s_add_i32 s8, s8, s15
	s_add_i32 s8, s8, s1
	s_mul_i32 s1, s6, 5
	v_add3_u32 v0, v4, s1, 1
	v_lshlrev_b64 v[8:9], 2, v[0:1]
	v_mov_b32_e32 v0, s3
	v_add_co_u32_e32 v8, vcc, s2, v8
	v_add_u32_e32 v2, s8, v6
	v_addc_co_u32_e32 v9, vcc, v0, v9, vcc
	global_store_dword v[8:9], v2, off
	v_add_u32_e32 v2, s7, v3
	v_cmp_gt_i32_e32 vcc, s13, v2
	s_and_b64 exec, exec, vcc
	s_cbranch_execz .LBB160_6
; %bb.4:
	s_load_dwordx2 s[2:3], s[4:5], 0x20
	s_load_dwordx2 s[6:7], s[4:5], 0x30
	s_load_dword s1, s[4:5], 0x0
	s_load_dwordx2 s[8:9], s[4:5], 0x10
	s_load_dwordx2 s[10:11], s[4:5], 0x40
	v_add_u32_e32 v0, s0, v3
	v_mul_lo_u32 v0, v0, 25
	s_waitcnt lgkmcnt(0)
	s_cmp_eq_u32 s1, 0
	v_mad_u32_u24 v0, v4, 5, v0
	s_mul_i32 s1, s12, 25
	v_subrev_u32_e32 v9, s1, v0
	s_mul_i32 s0, s0, 25
	v_mul_u32_u24_e32 v0, 5, v3
	v_mad_u64_u32 v[4:5], s[4:5], v2, 25, v[4:5]
	v_add3_u32 v0, v6, s0, v0
	s_mov_b32 s14, 0
	s_cselect_b64 vcc, -1, 0
	v_subrev_u32_e32 v6, s1, v0
	s_mov_b64 s[4:5], 0
	v_mov_b32_e32 v5, s3
	v_mov_b32_e32 v8, s15
	;; [unrolled: 1-line block ×5, first 2 shown]
.LBB160_5:                              ; =>This Inner Loop Header: Depth=1
	v_ashrrev_i32_e32 v3, 31, v2
	v_add_u32_e32 v7, s14, v4
	v_add_u32_e32 v13, s14, v9
	v_lshlrev_b64 v[14:15], 2, v[2:3]
	v_cndmask_b32_e32 v0, v7, v13, vcc
	v_add_co_u32_e64 v14, s[0:1], s2, v14
	v_add_u32_e32 v3, 1, v13
	v_add_u32_e32 v18, 5, v7
	v_addc_co_u32_e64 v15, s[0:1], v5, v15, s[0:1]
	v_lshlrev_b64 v[16:17], 3, v[0:1]
	v_cndmask_b32_e32 v0, v18, v3, vcc
	v_add_co_u32_e64 v18, s[0:1], s8, v16
	v_add_u32_e32 v20, 2, v13
	v_add_u32_e32 v21, 10, v7
	global_load_dword v3, v[14:15], off
	v_addc_co_u32_e64 v19, s[0:1], v11, v17, s[0:1]
	v_lshlrev_b64 v[14:15], 3, v[0:1]
	v_cndmask_b32_e32 v0, v21, v20, vcc
	v_add_co_u32_e64 v20, s[0:1], s8, v14
	v_add_u32_e32 v24, 3, v13
	v_add_u32_e32 v25, 15, v7
	v_addc_co_u32_e64 v21, s[0:1], v11, v15, s[0:1]
	v_lshlrev_b64 v[22:23], 3, v[0:1]
	v_cndmask_b32_e32 v0, v25, v24, vcc
	v_add_co_u32_e64 v22, s[0:1], s8, v22
	v_add_u32_e32 v13, 4, v13
	v_add_u32_e32 v7, 20, v7
	global_load_dwordx2 v[14:15], v[18:19], off
	global_load_dwordx2 v[16:17], v[20:21], off
	v_addc_co_u32_e64 v23, s[0:1], v11, v23, s[0:1]
	v_lshlrev_b64 v[18:19], 3, v[0:1]
	v_cndmask_b32_e32 v0, v7, v13, vcc
	v_add_co_u32_e64 v24, s[0:1], s8, v18
	v_addc_co_u32_e64 v25, s[0:1], v11, v19, s[0:1]
	v_lshlrev_b64 v[26:27], 3, v[0:1]
	global_load_dwordx2 v[18:19], v[22:23], off
	global_load_dwordx2 v[20:21], v[24:25], off
	v_add_co_u32_e64 v22, s[0:1], s8, v26
	v_addc_co_u32_e64 v23, s[0:1], v11, v27, s[0:1]
	global_load_dwordx2 v[26:27], v[22:23], off
	v_ashrrev_i32_e32 v7, 31, v6
	v_lshlrev_b64 v[22:23], 2, v[6:7]
	v_add_co_u32_e64 v28, s[0:1], s10, v22
	v_lshlrev_b64 v[24:25], 3, v[6:7]
	v_addc_co_u32_e64 v29, s[0:1], v10, v23, s[0:1]
	v_add_co_u32_e64 v30, s[0:1], s6, v24
	v_add_u32_e32 v2, 32, v2
	v_addc_co_u32_e64 v31, s[0:1], v12, v25, s[0:1]
	s_addk_i32 s14, 0x320
	v_cmp_le_i32_e64 s[0:1], s13, v2
	s_or_b64 s[4:5], s[0:1], s[4:5]
	v_add_u32_e32 v6, 0xa0, v6
	s_waitcnt vmcnt(5)
	v_subrev_u32_e32 v0, s12, v3
	v_mad_u64_u32 v[22:23], s[0:1], v0, 5, v[8:9]
	v_add_u32_e32 v23, 1, v22
	v_add_u32_e32 v24, 2, v22
	v_add_u32_e32 v25, 3, v22
	v_add_u32_e32 v0, 4, v22
	s_waitcnt vmcnt(3)
	global_store_dwordx4 v[30:31], v[14:17], off
	global_store_dwordx4 v[28:29], v[22:25], off
	global_store_dword v[28:29], v0, off offset:16
	s_waitcnt vmcnt(4)
	global_store_dwordx4 v[30:31], v[18:21], off offset:16
	s_waitcnt vmcnt(4)
	global_store_dwordx2 v[30:31], v[26:27], off offset:32
	s_andn2_b64 exec, exec, s[4:5]
	s_cbranch_execnz .LBB160_5
.LBB160_6:
	s_endpgm
	.section	.rodata,"a",@progbits
	.p2align	6, 0x0
	.amdhsa_kernel _ZN9rocsparseL32bsr2csr_block_per_row_2_7_kernelILj256ELj5E21rocsparse_complex_numIfEiiEEv20rocsparse_direction_T3_S4_21rocsparse_index_base_PKT1_PKT2_PKS4_S4_S5_PS6_PS9_PS4_
		.amdhsa_group_segment_fixed_size 0
		.amdhsa_private_segment_fixed_size 0
		.amdhsa_kernarg_size 72
		.amdhsa_user_sgpr_count 6
		.amdhsa_user_sgpr_private_segment_buffer 1
		.amdhsa_user_sgpr_dispatch_ptr 0
		.amdhsa_user_sgpr_queue_ptr 0
		.amdhsa_user_sgpr_kernarg_segment_ptr 1
		.amdhsa_user_sgpr_dispatch_id 0
		.amdhsa_user_sgpr_flat_scratch_init 0
		.amdhsa_user_sgpr_kernarg_preload_length 0
		.amdhsa_user_sgpr_kernarg_preload_offset 0
		.amdhsa_user_sgpr_private_segment_size 0
		.amdhsa_uses_dynamic_stack 0
		.amdhsa_system_sgpr_private_segment_wavefront_offset 0
		.amdhsa_system_sgpr_workgroup_id_x 1
		.amdhsa_system_sgpr_workgroup_id_y 0
		.amdhsa_system_sgpr_workgroup_id_z 0
		.amdhsa_system_sgpr_workgroup_info 0
		.amdhsa_system_vgpr_workitem_id 0
		.amdhsa_next_free_vgpr 32
		.amdhsa_next_free_sgpr 16
		.amdhsa_accum_offset 32
		.amdhsa_reserve_vcc 1
		.amdhsa_reserve_flat_scratch 0
		.amdhsa_float_round_mode_32 0
		.amdhsa_float_round_mode_16_64 0
		.amdhsa_float_denorm_mode_32 3
		.amdhsa_float_denorm_mode_16_64 3
		.amdhsa_dx10_clamp 1
		.amdhsa_ieee_mode 1
		.amdhsa_fp16_overflow 0
		.amdhsa_tg_split 0
		.amdhsa_exception_fp_ieee_invalid_op 0
		.amdhsa_exception_fp_denorm_src 0
		.amdhsa_exception_fp_ieee_div_zero 0
		.amdhsa_exception_fp_ieee_overflow 0
		.amdhsa_exception_fp_ieee_underflow 0
		.amdhsa_exception_fp_ieee_inexact 0
		.amdhsa_exception_int_div_zero 0
	.end_amdhsa_kernel
	.section	.text._ZN9rocsparseL32bsr2csr_block_per_row_2_7_kernelILj256ELj5E21rocsparse_complex_numIfEiiEEv20rocsparse_direction_T3_S4_21rocsparse_index_base_PKT1_PKT2_PKS4_S4_S5_PS6_PS9_PS4_,"axG",@progbits,_ZN9rocsparseL32bsr2csr_block_per_row_2_7_kernelILj256ELj5E21rocsparse_complex_numIfEiiEEv20rocsparse_direction_T3_S4_21rocsparse_index_base_PKT1_PKT2_PKS4_S4_S5_PS6_PS9_PS4_,comdat
.Lfunc_end160:
	.size	_ZN9rocsparseL32bsr2csr_block_per_row_2_7_kernelILj256ELj5E21rocsparse_complex_numIfEiiEEv20rocsparse_direction_T3_S4_21rocsparse_index_base_PKT1_PKT2_PKS4_S4_S5_PS6_PS9_PS4_, .Lfunc_end160-_ZN9rocsparseL32bsr2csr_block_per_row_2_7_kernelILj256ELj5E21rocsparse_complex_numIfEiiEEv20rocsparse_direction_T3_S4_21rocsparse_index_base_PKT1_PKT2_PKS4_S4_S5_PS6_PS9_PS4_
                                        ; -- End function
	.section	.AMDGPU.csdata,"",@progbits
; Kernel info:
; codeLenInByte = 788
; NumSgprs: 20
; NumVgprs: 32
; NumAgprs: 0
; TotalNumVgprs: 32
; ScratchSize: 0
; MemoryBound: 0
; FloatMode: 240
; IeeeMode: 1
; LDSByteSize: 0 bytes/workgroup (compile time only)
; SGPRBlocks: 2
; VGPRBlocks: 3
; NumSGPRsForWavesPerEU: 20
; NumVGPRsForWavesPerEU: 32
; AccumOffset: 32
; Occupancy: 8
; WaveLimiterHint : 1
; COMPUTE_PGM_RSRC2:SCRATCH_EN: 0
; COMPUTE_PGM_RSRC2:USER_SGPR: 6
; COMPUTE_PGM_RSRC2:TRAP_HANDLER: 0
; COMPUTE_PGM_RSRC2:TGID_X_EN: 1
; COMPUTE_PGM_RSRC2:TGID_Y_EN: 0
; COMPUTE_PGM_RSRC2:TGID_Z_EN: 0
; COMPUTE_PGM_RSRC2:TIDIG_COMP_CNT: 0
; COMPUTE_PGM_RSRC3_GFX90A:ACCUM_OFFSET: 7
; COMPUTE_PGM_RSRC3_GFX90A:TG_SPLIT: 0
	.section	.text._ZN9rocsparseL32bsr2csr_block_per_row_2_7_kernelILj256ELj6E21rocsparse_complex_numIfEiiEEv20rocsparse_direction_T3_S4_21rocsparse_index_base_PKT1_PKT2_PKS4_S4_S5_PS6_PS9_PS4_,"axG",@progbits,_ZN9rocsparseL32bsr2csr_block_per_row_2_7_kernelILj256ELj6E21rocsparse_complex_numIfEiiEEv20rocsparse_direction_T3_S4_21rocsparse_index_base_PKT1_PKT2_PKS4_S4_S5_PS6_PS9_PS4_,comdat
	.globl	_ZN9rocsparseL32bsr2csr_block_per_row_2_7_kernelILj256ELj6E21rocsparse_complex_numIfEiiEEv20rocsparse_direction_T3_S4_21rocsparse_index_base_PKT1_PKT2_PKS4_S4_S5_PS6_PS9_PS4_ ; -- Begin function _ZN9rocsparseL32bsr2csr_block_per_row_2_7_kernelILj256ELj6E21rocsparse_complex_numIfEiiEEv20rocsparse_direction_T3_S4_21rocsparse_index_base_PKT1_PKT2_PKS4_S4_S5_PS6_PS9_PS4_
	.p2align	8
	.type	_ZN9rocsparseL32bsr2csr_block_per_row_2_7_kernelILj256ELj6E21rocsparse_complex_numIfEiiEEv20rocsparse_direction_T3_S4_21rocsparse_index_base_PKT1_PKT2_PKS4_S4_S5_PS6_PS9_PS4_,@function
_ZN9rocsparseL32bsr2csr_block_per_row_2_7_kernelILj256ELj6E21rocsparse_complex_numIfEiiEEv20rocsparse_direction_T3_S4_21rocsparse_index_base_PKT1_PKT2_PKS4_S4_S5_PS6_PS9_PS4_: ; @_ZN9rocsparseL32bsr2csr_block_per_row_2_7_kernelILj256ELj6E21rocsparse_complex_numIfEiiEEv20rocsparse_direction_T3_S4_21rocsparse_index_base_PKT1_PKT2_PKS4_S4_S5_PS6_PS9_PS4_
; %bb.0:
	s_load_dwordx2 s[2:3], s[4:5], 0x18
	s_load_dword s15, s[4:5], 0x2c
	s_load_dwordx2 s[0:1], s[4:5], 0x38
	s_ashr_i32 s7, s6, 31
	s_lshl_b64 s[8:9], s[6:7], 2
	s_waitcnt lgkmcnt(0)
	s_add_u32 s2, s2, s8
	v_or_b32_e32 v1, s6, v0
	s_addc_u32 s3, s3, s9
	v_cmp_eq_u32_e32 vcc, 0, v1
	s_and_saveexec_b64 s[8:9], vcc
	s_cbranch_execz .LBB161_2
; %bb.1:
	v_mov_b32_e32 v1, 0
	v_mov_b32_e32 v2, s15
	global_store_dword v1, v2, s[0:1]
.LBB161_2:
	s_or_b64 exec, exec, s[8:9]
	v_and_b32_e32 v4, 7, v0
	v_cmp_gt_u32_e32 vcc, 6, v4
	s_and_saveexec_b64 s[8:9], vcc
	s_cbranch_execz .LBB161_6
; %bb.3:
	s_load_dwordx2 s[12:13], s[2:3], 0x0
	s_load_dword s14, s[4:5], 0xc
	v_lshrrev_b32_e32 v3, 3, v0
	v_mov_b32_e32 v1, 0
	s_waitcnt lgkmcnt(0)
	s_sub_i32 s2, s12, s14
	s_sub_i32 s13, s13, s14
	;; [unrolled: 1-line block ×3, first 2 shown]
	s_mul_i32 s7, s7, 6
	s_mul_i32 s3, s2, 36
	v_mul_lo_u32 v6, s7, v4
	s_add_i32 s7, s7, s15
	s_add_i32 s7, s7, s3
	s_mul_i32 s3, s6, 6
	v_add3_u32 v0, v4, s3, 1
	v_lshlrev_b64 v[8:9], 2, v[0:1]
	v_mov_b32_e32 v0, s1
	v_add_co_u32_e32 v8, vcc, s0, v8
	v_add_u32_e32 v2, s7, v6
	v_addc_co_u32_e32 v9, vcc, v0, v9, vcc
	global_store_dword v[8:9], v2, off
	v_add_u32_e32 v2, s2, v3
	v_cmp_gt_i32_e32 vcc, s13, v2
	s_and_b64 exec, exec, vcc
	s_cbranch_execz .LBB161_6
; %bb.4:
	s_load_dwordx2 s[2:3], s[4:5], 0x20
	s_load_dwordx2 s[6:7], s[4:5], 0x30
	s_load_dword s0, s[4:5], 0x0
	s_load_dwordx2 s[8:9], s[4:5], 0x10
	s_load_dwordx2 s[10:11], s[4:5], 0x40
	v_mul_u32_u24_e32 v9, 5, v4
	v_mul_u32_u24_e32 v0, 6, v3
	s_waitcnt lgkmcnt(0)
	s_cmp_eq_u32 s0, 0
	v_mad_u64_u32 v[4:5], s[0:1], v2, 36, v[4:5]
	s_mul_i32 s0, s12, 36
	v_add3_u32 v0, v6, s0, v0
	s_mul_i32 s0, s14, 36
	s_cselect_b64 vcc, -1, 0
	v_subrev_u32_e32 v6, s0, v0
	s_mov_b64 s[4:5], 0
	v_mov_b32_e32 v5, s3
	v_mov_b32_e32 v8, s15
	;; [unrolled: 1-line block ×5, first 2 shown]
.LBB161_5:                              ; =>This Inner Loop Header: Depth=1
	v_ashrrev_i32_e32 v3, 31, v2
	v_add_u32_e32 v7, v9, v4
	v_lshlrev_b64 v[14:15], 2, v[2:3]
	v_cndmask_b32_e32 v0, v4, v7, vcc
	v_add_co_u32_e64 v14, s[0:1], s2, v14
	v_add_u32_e32 v13, 6, v4
	v_add_u32_e32 v3, 1, v7
	v_addc_co_u32_e64 v15, s[0:1], v5, v15, s[0:1]
	v_lshlrev_b64 v[16:17], 3, v[0:1]
	v_cndmask_b32_e32 v0, v13, v3, vcc
	v_add_co_u32_e64 v18, s[0:1], s8, v16
	v_add_u32_e32 v20, 12, v4
	v_add_u32_e32 v21, 2, v7
	global_load_dword v3, v[14:15], off
	v_addc_co_u32_e64 v19, s[0:1], v11, v17, s[0:1]
	v_lshlrev_b64 v[14:15], 3, v[0:1]
	v_cndmask_b32_e32 v0, v20, v21, vcc
	v_add_co_u32_e64 v20, s[0:1], s8, v14
	v_add_u32_e32 v24, 18, v4
	v_add_u32_e32 v26, 3, v7
	v_addc_co_u32_e64 v21, s[0:1], v11, v15, s[0:1]
	v_lshlrev_b64 v[22:23], 3, v[0:1]
	v_cndmask_b32_e32 v0, v24, v26, vcc
	v_add_co_u32_e64 v22, s[0:1], s8, v22
	v_add_u32_e32 v25, 24, v4
	v_add_u32_e32 v27, 4, v7
	global_load_dwordx2 v[14:15], v[18:19], off
	global_load_dwordx2 v[16:17], v[20:21], off
	v_addc_co_u32_e64 v23, s[0:1], v11, v23, s[0:1]
	v_lshlrev_b64 v[18:19], 3, v[0:1]
	v_cndmask_b32_e32 v0, v25, v27, vcc
	v_add_co_u32_e64 v24, s[0:1], s8, v18
	v_add_u32_e32 v28, 30, v4
	v_add_u32_e32 v7, 5, v7
	v_addc_co_u32_e64 v25, s[0:1], v11, v19, s[0:1]
	v_lshlrev_b64 v[26:27], 3, v[0:1]
	v_cndmask_b32_e32 v0, v28, v7, vcc
	v_add_co_u32_e64 v26, s[0:1], s8, v26
	global_load_dwordx2 v[18:19], v[22:23], off
	global_load_dwordx2 v[20:21], v[24:25], off
	v_addc_co_u32_e64 v27, s[0:1], v11, v27, s[0:1]
	v_lshlrev_b64 v[22:23], 3, v[0:1]
	v_add_co_u32_e64 v28, s[0:1], s8, v22
	v_addc_co_u32_e64 v29, s[0:1], v11, v23, s[0:1]
	global_load_dwordx2 v[22:23], v[26:27], off
	global_load_dwordx2 v[24:25], v[28:29], off
	v_ashrrev_i32_e32 v7, 31, v6
	v_lshlrev_b64 v[26:27], 2, v[6:7]
	v_add_co_u32_e64 v30, s[0:1], s10, v26
	v_lshlrev_b64 v[28:29], 3, v[6:7]
	v_addc_co_u32_e64 v31, s[0:1], v10, v27, s[0:1]
	v_add_co_u32_e64 v32, s[0:1], s6, v28
	v_add_u32_e32 v2, 32, v2
	v_addc_co_u32_e64 v33, s[0:1], v12, v29, s[0:1]
	v_cmp_le_i32_e64 s[0:1], s13, v2
	s_or_b64 s[4:5], s[0:1], s[4:5]
	v_add_u32_e32 v4, 0x480, v4
	v_add_u32_e32 v6, 0xc0, v6
	s_waitcnt vmcnt(6)
	v_subrev_u32_e32 v0, s14, v3
	v_mad_u64_u32 v[26:27], s[0:1], v0, 6, v[8:9]
	v_add_u32_e32 v27, 1, v26
	v_add_u32_e32 v28, 2, v26
	v_add_u32_e32 v29, 3, v26
	s_waitcnt vmcnt(4)
	global_store_dwordx4 v[32:33], v[14:17], off
	s_nop 0
	v_add_u32_e32 v14, 4, v26
	v_add_u32_e32 v15, 5, v26
	global_store_dwordx4 v[30:31], v[26:29], off
	global_store_dwordx2 v[30:31], v[14:15], off offset:16
	s_waitcnt vmcnt(5)
	global_store_dwordx4 v[32:33], v[18:21], off offset:16
	s_waitcnt vmcnt(4)
	global_store_dwordx4 v[32:33], v[22:25], off offset:32
	s_andn2_b64 exec, exec, s[4:5]
	s_cbranch_execnz .LBB161_5
.LBB161_6:
	s_endpgm
	.section	.rodata,"a",@progbits
	.p2align	6, 0x0
	.amdhsa_kernel _ZN9rocsparseL32bsr2csr_block_per_row_2_7_kernelILj256ELj6E21rocsparse_complex_numIfEiiEEv20rocsparse_direction_T3_S4_21rocsparse_index_base_PKT1_PKT2_PKS4_S4_S5_PS6_PS9_PS4_
		.amdhsa_group_segment_fixed_size 0
		.amdhsa_private_segment_fixed_size 0
		.amdhsa_kernarg_size 72
		.amdhsa_user_sgpr_count 6
		.amdhsa_user_sgpr_private_segment_buffer 1
		.amdhsa_user_sgpr_dispatch_ptr 0
		.amdhsa_user_sgpr_queue_ptr 0
		.amdhsa_user_sgpr_kernarg_segment_ptr 1
		.amdhsa_user_sgpr_dispatch_id 0
		.amdhsa_user_sgpr_flat_scratch_init 0
		.amdhsa_user_sgpr_kernarg_preload_length 0
		.amdhsa_user_sgpr_kernarg_preload_offset 0
		.amdhsa_user_sgpr_private_segment_size 0
		.amdhsa_uses_dynamic_stack 0
		.amdhsa_system_sgpr_private_segment_wavefront_offset 0
		.amdhsa_system_sgpr_workgroup_id_x 1
		.amdhsa_system_sgpr_workgroup_id_y 0
		.amdhsa_system_sgpr_workgroup_id_z 0
		.amdhsa_system_sgpr_workgroup_info 0
		.amdhsa_system_vgpr_workitem_id 0
		.amdhsa_next_free_vgpr 34
		.amdhsa_next_free_sgpr 16
		.amdhsa_accum_offset 36
		.amdhsa_reserve_vcc 1
		.amdhsa_reserve_flat_scratch 0
		.amdhsa_float_round_mode_32 0
		.amdhsa_float_round_mode_16_64 0
		.amdhsa_float_denorm_mode_32 3
		.amdhsa_float_denorm_mode_16_64 3
		.amdhsa_dx10_clamp 1
		.amdhsa_ieee_mode 1
		.amdhsa_fp16_overflow 0
		.amdhsa_tg_split 0
		.amdhsa_exception_fp_ieee_invalid_op 0
		.amdhsa_exception_fp_denorm_src 0
		.amdhsa_exception_fp_ieee_div_zero 0
		.amdhsa_exception_fp_ieee_overflow 0
		.amdhsa_exception_fp_ieee_underflow 0
		.amdhsa_exception_fp_ieee_inexact 0
		.amdhsa_exception_int_div_zero 0
	.end_amdhsa_kernel
	.section	.text._ZN9rocsparseL32bsr2csr_block_per_row_2_7_kernelILj256ELj6E21rocsparse_complex_numIfEiiEEv20rocsparse_direction_T3_S4_21rocsparse_index_base_PKT1_PKT2_PKS4_S4_S5_PS6_PS9_PS4_,"axG",@progbits,_ZN9rocsparseL32bsr2csr_block_per_row_2_7_kernelILj256ELj6E21rocsparse_complex_numIfEiiEEv20rocsparse_direction_T3_S4_21rocsparse_index_base_PKT1_PKT2_PKS4_S4_S5_PS6_PS9_PS4_,comdat
.Lfunc_end161:
	.size	_ZN9rocsparseL32bsr2csr_block_per_row_2_7_kernelILj256ELj6E21rocsparse_complex_numIfEiiEEv20rocsparse_direction_T3_S4_21rocsparse_index_base_PKT1_PKT2_PKS4_S4_S5_PS6_PS9_PS4_, .Lfunc_end161-_ZN9rocsparseL32bsr2csr_block_per_row_2_7_kernelILj256ELj6E21rocsparse_complex_numIfEiiEEv20rocsparse_direction_T3_S4_21rocsparse_index_base_PKT1_PKT2_PKS4_S4_S5_PS6_PS9_PS4_
                                        ; -- End function
	.section	.AMDGPU.csdata,"",@progbits
; Kernel info:
; codeLenInByte = 816
; NumSgprs: 20
; NumVgprs: 34
; NumAgprs: 0
; TotalNumVgprs: 34
; ScratchSize: 0
; MemoryBound: 0
; FloatMode: 240
; IeeeMode: 1
; LDSByteSize: 0 bytes/workgroup (compile time only)
; SGPRBlocks: 2
; VGPRBlocks: 4
; NumSGPRsForWavesPerEU: 20
; NumVGPRsForWavesPerEU: 34
; AccumOffset: 36
; Occupancy: 8
; WaveLimiterHint : 0
; COMPUTE_PGM_RSRC2:SCRATCH_EN: 0
; COMPUTE_PGM_RSRC2:USER_SGPR: 6
; COMPUTE_PGM_RSRC2:TRAP_HANDLER: 0
; COMPUTE_PGM_RSRC2:TGID_X_EN: 1
; COMPUTE_PGM_RSRC2:TGID_Y_EN: 0
; COMPUTE_PGM_RSRC2:TGID_Z_EN: 0
; COMPUTE_PGM_RSRC2:TIDIG_COMP_CNT: 0
; COMPUTE_PGM_RSRC3_GFX90A:ACCUM_OFFSET: 8
; COMPUTE_PGM_RSRC3_GFX90A:TG_SPLIT: 0
	.section	.text._ZN9rocsparseL32bsr2csr_block_per_row_2_7_kernelILj256ELj7E21rocsparse_complex_numIfEiiEEv20rocsparse_direction_T3_S4_21rocsparse_index_base_PKT1_PKT2_PKS4_S4_S5_PS6_PS9_PS4_,"axG",@progbits,_ZN9rocsparseL32bsr2csr_block_per_row_2_7_kernelILj256ELj7E21rocsparse_complex_numIfEiiEEv20rocsparse_direction_T3_S4_21rocsparse_index_base_PKT1_PKT2_PKS4_S4_S5_PS6_PS9_PS4_,comdat
	.globl	_ZN9rocsparseL32bsr2csr_block_per_row_2_7_kernelILj256ELj7E21rocsparse_complex_numIfEiiEEv20rocsparse_direction_T3_S4_21rocsparse_index_base_PKT1_PKT2_PKS4_S4_S5_PS6_PS9_PS4_ ; -- Begin function _ZN9rocsparseL32bsr2csr_block_per_row_2_7_kernelILj256ELj7E21rocsparse_complex_numIfEiiEEv20rocsparse_direction_T3_S4_21rocsparse_index_base_PKT1_PKT2_PKS4_S4_S5_PS6_PS9_PS4_
	.p2align	8
	.type	_ZN9rocsparseL32bsr2csr_block_per_row_2_7_kernelILj256ELj7E21rocsparse_complex_numIfEiiEEv20rocsparse_direction_T3_S4_21rocsparse_index_base_PKT1_PKT2_PKS4_S4_S5_PS6_PS9_PS4_,@function
_ZN9rocsparseL32bsr2csr_block_per_row_2_7_kernelILj256ELj7E21rocsparse_complex_numIfEiiEEv20rocsparse_direction_T3_S4_21rocsparse_index_base_PKT1_PKT2_PKS4_S4_S5_PS6_PS9_PS4_: ; @_ZN9rocsparseL32bsr2csr_block_per_row_2_7_kernelILj256ELj7E21rocsparse_complex_numIfEiiEEv20rocsparse_direction_T3_S4_21rocsparse_index_base_PKT1_PKT2_PKS4_S4_S5_PS6_PS9_PS4_
; %bb.0:
	s_load_dwordx2 s[2:3], s[4:5], 0x18
	s_load_dword s15, s[4:5], 0x2c
	s_load_dwordx2 s[0:1], s[4:5], 0x38
	s_ashr_i32 s7, s6, 31
	s_lshl_b64 s[8:9], s[6:7], 2
	s_waitcnt lgkmcnt(0)
	s_add_u32 s2, s2, s8
	v_or_b32_e32 v1, s6, v0
	s_addc_u32 s3, s3, s9
	v_cmp_eq_u32_e32 vcc, 0, v1
	s_and_saveexec_b64 s[8:9], vcc
	s_cbranch_execz .LBB162_2
; %bb.1:
	v_mov_b32_e32 v1, 0
	v_mov_b32_e32 v2, s15
	global_store_dword v1, v2, s[0:1]
.LBB162_2:
	s_or_b64 exec, exec, s[8:9]
	v_and_b32_e32 v4, 7, v0
	v_cmp_ne_u32_e32 vcc, 7, v4
	s_and_saveexec_b64 s[8:9], vcc
	s_cbranch_execz .LBB162_6
; %bb.3:
	s_load_dwordx2 s[12:13], s[2:3], 0x0
	s_load_dword s14, s[4:5], 0xc
	v_lshrrev_b32_e32 v3, 3, v0
	v_mov_b32_e32 v1, 0
	s_waitcnt lgkmcnt(0)
	s_sub_i32 s2, s12, s14
	s_sub_i32 s13, s13, s14
	;; [unrolled: 1-line block ×3, first 2 shown]
	s_mul_i32 s7, s7, 7
	s_mul_i32 s3, s2, 49
	v_mul_lo_u32 v6, s7, v4
	s_add_i32 s7, s7, s15
	s_add_i32 s7, s7, s3
	s_mul_i32 s3, s6, 7
	v_add3_u32 v0, v4, s3, 1
	v_lshlrev_b64 v[8:9], 2, v[0:1]
	v_mov_b32_e32 v0, s1
	v_add_co_u32_e32 v8, vcc, s0, v8
	v_add_u32_e32 v2, s7, v6
	v_addc_co_u32_e32 v9, vcc, v0, v9, vcc
	global_store_dword v[8:9], v2, off
	v_add_u32_e32 v2, s2, v3
	v_cmp_gt_i32_e32 vcc, s13, v2
	s_and_b64 exec, exec, vcc
	s_cbranch_execz .LBB162_6
; %bb.4:
	s_load_dwordx2 s[2:3], s[4:5], 0x20
	s_load_dwordx2 s[6:7], s[4:5], 0x30
	s_load_dword s0, s[4:5], 0x0
	s_load_dwordx2 s[8:9], s[4:5], 0x10
	s_load_dwordx2 s[10:11], s[4:5], 0x40
	v_mul_u32_u24_e32 v9, 6, v4
	v_mul_u32_u24_e32 v0, 7, v3
	s_waitcnt lgkmcnt(0)
	s_cmp_eq_u32 s0, 0
	v_mad_u64_u32 v[4:5], s[0:1], v2, 49, v[4:5]
	s_mul_i32 s0, s12, 49
	v_add3_u32 v0, v6, s0, v0
	s_mul_i32 s0, s14, 49
	s_cselect_b64 vcc, -1, 0
	v_subrev_u32_e32 v6, s0, v0
	s_mov_b64 s[4:5], 0
	v_mov_b32_e32 v5, s3
	v_mov_b32_e32 v8, s15
	;; [unrolled: 1-line block ×5, first 2 shown]
.LBB162_5:                              ; =>This Inner Loop Header: Depth=1
	v_ashrrev_i32_e32 v3, 31, v2
	v_add_u32_e32 v7, v9, v4
	v_lshlrev_b64 v[14:15], 2, v[2:3]
	v_cndmask_b32_e32 v0, v4, v7, vcc
	v_add_co_u32_e64 v14, s[0:1], s2, v14
	v_add_u32_e32 v13, 7, v4
	v_add_u32_e32 v3, 1, v7
	v_addc_co_u32_e64 v15, s[0:1], v5, v15, s[0:1]
	v_lshlrev_b64 v[16:17], 3, v[0:1]
	v_cndmask_b32_e32 v0, v13, v3, vcc
	v_add_co_u32_e64 v18, s[0:1], s8, v16
	v_add_u32_e32 v20, 14, v4
	v_add_u32_e32 v21, 2, v7
	global_load_dword v3, v[14:15], off
	v_addc_co_u32_e64 v19, s[0:1], v11, v17, s[0:1]
	v_lshlrev_b64 v[14:15], 3, v[0:1]
	v_cndmask_b32_e32 v0, v20, v21, vcc
	v_add_co_u32_e64 v20, s[0:1], s8, v14
	v_add_u32_e32 v24, 21, v4
	v_add_u32_e32 v26, 3, v7
	v_addc_co_u32_e64 v21, s[0:1], v11, v15, s[0:1]
	v_lshlrev_b64 v[22:23], 3, v[0:1]
	v_cndmask_b32_e32 v0, v24, v26, vcc
	v_add_co_u32_e64 v22, s[0:1], s8, v22
	v_add_u32_e32 v25, 28, v4
	v_add_u32_e32 v27, 4, v7
	global_load_dwordx2 v[14:15], v[18:19], off
	global_load_dwordx2 v[16:17], v[20:21], off
	v_addc_co_u32_e64 v23, s[0:1], v11, v23, s[0:1]
	v_lshlrev_b64 v[18:19], 3, v[0:1]
	v_cndmask_b32_e32 v0, v25, v27, vcc
	v_add_co_u32_e64 v24, s[0:1], s8, v18
	v_add_u32_e32 v28, 35, v4
	v_add_u32_e32 v30, 5, v7
	v_addc_co_u32_e64 v25, s[0:1], v11, v19, s[0:1]
	v_lshlrev_b64 v[26:27], 3, v[0:1]
	v_cndmask_b32_e32 v0, v28, v30, vcc
	global_load_dwordx2 v[18:19], v[22:23], off
	global_load_dwordx2 v[20:21], v[24:25], off
	v_add_co_u32_e64 v22, s[0:1], s8, v26
	v_add_u32_e32 v29, 42, v4
	v_add_u32_e32 v7, 6, v7
	v_addc_co_u32_e64 v23, s[0:1], v11, v27, s[0:1]
	v_lshlrev_b64 v[24:25], 3, v[0:1]
	v_cndmask_b32_e32 v0, v29, v7, vcc
	v_add_co_u32_e64 v26, s[0:1], s8, v24
	v_addc_co_u32_e64 v27, s[0:1], v11, v25, s[0:1]
	v_lshlrev_b64 v[24:25], 3, v[0:1]
	v_add_co_u32_e64 v28, s[0:1], s8, v24
	global_load_dwordx2 v[22:23], v[22:23], off
	v_addc_co_u32_e64 v29, s[0:1], v11, v25, s[0:1]
	global_load_dwordx2 v[24:25], v[26:27], off
	global_load_dwordx2 v[30:31], v[28:29], off
	v_ashrrev_i32_e32 v7, 31, v6
	v_lshlrev_b64 v[26:27], 2, v[6:7]
	v_add_co_u32_e64 v32, s[0:1], s10, v26
	v_lshlrev_b64 v[28:29], 3, v[6:7]
	v_addc_co_u32_e64 v33, s[0:1], v10, v27, s[0:1]
	v_add_co_u32_e64 v34, s[0:1], s6, v28
	v_add_u32_e32 v2, 32, v2
	v_addc_co_u32_e64 v35, s[0:1], v12, v29, s[0:1]
	v_cmp_le_i32_e64 s[0:1], s13, v2
	s_or_b64 s[4:5], s[0:1], s[4:5]
	v_add_u32_e32 v4, 0x620, v4
	v_add_u32_e32 v6, 0xe0, v6
	s_waitcnt vmcnt(7)
	v_subrev_u32_e32 v0, s14, v3
	v_mad_u64_u32 v[26:27], s[0:1], v0, 7, v[8:9]
	v_add_u32_e32 v27, 1, v26
	v_add_u32_e32 v28, 2, v26
	;; [unrolled: 1-line block ×3, first 2 shown]
	s_waitcnt vmcnt(5)
	global_store_dwordx4 v[34:35], v[14:17], off
	s_nop 0
	v_add_u32_e32 v14, 4, v26
	v_add_u32_e32 v15, 5, v26
	;; [unrolled: 1-line block ×3, first 2 shown]
	global_store_dwordx4 v[32:33], v[26:29], off
	global_store_dwordx3 v[32:33], v[14:16], off offset:16
	s_waitcnt vmcnt(6)
	global_store_dwordx4 v[34:35], v[18:21], off offset:16
	s_waitcnt vmcnt(5)
	global_store_dwordx4 v[34:35], v[22:25], off offset:32
	s_waitcnt vmcnt(5)
	global_store_dwordx2 v[34:35], v[30:31], off offset:48
	s_andn2_b64 exec, exec, s[4:5]
	s_cbranch_execnz .LBB162_5
.LBB162_6:
	s_endpgm
	.section	.rodata,"a",@progbits
	.p2align	6, 0x0
	.amdhsa_kernel _ZN9rocsparseL32bsr2csr_block_per_row_2_7_kernelILj256ELj7E21rocsparse_complex_numIfEiiEEv20rocsparse_direction_T3_S4_21rocsparse_index_base_PKT1_PKT2_PKS4_S4_S5_PS6_PS9_PS4_
		.amdhsa_group_segment_fixed_size 0
		.amdhsa_private_segment_fixed_size 0
		.amdhsa_kernarg_size 72
		.amdhsa_user_sgpr_count 6
		.amdhsa_user_sgpr_private_segment_buffer 1
		.amdhsa_user_sgpr_dispatch_ptr 0
		.amdhsa_user_sgpr_queue_ptr 0
		.amdhsa_user_sgpr_kernarg_segment_ptr 1
		.amdhsa_user_sgpr_dispatch_id 0
		.amdhsa_user_sgpr_flat_scratch_init 0
		.amdhsa_user_sgpr_kernarg_preload_length 0
		.amdhsa_user_sgpr_kernarg_preload_offset 0
		.amdhsa_user_sgpr_private_segment_size 0
		.amdhsa_uses_dynamic_stack 0
		.amdhsa_system_sgpr_private_segment_wavefront_offset 0
		.amdhsa_system_sgpr_workgroup_id_x 1
		.amdhsa_system_sgpr_workgroup_id_y 0
		.amdhsa_system_sgpr_workgroup_id_z 0
		.amdhsa_system_sgpr_workgroup_info 0
		.amdhsa_system_vgpr_workitem_id 0
		.amdhsa_next_free_vgpr 36
		.amdhsa_next_free_sgpr 16
		.amdhsa_accum_offset 36
		.amdhsa_reserve_vcc 1
		.amdhsa_reserve_flat_scratch 0
		.amdhsa_float_round_mode_32 0
		.amdhsa_float_round_mode_16_64 0
		.amdhsa_float_denorm_mode_32 3
		.amdhsa_float_denorm_mode_16_64 3
		.amdhsa_dx10_clamp 1
		.amdhsa_ieee_mode 1
		.amdhsa_fp16_overflow 0
		.amdhsa_tg_split 0
		.amdhsa_exception_fp_ieee_invalid_op 0
		.amdhsa_exception_fp_denorm_src 0
		.amdhsa_exception_fp_ieee_div_zero 0
		.amdhsa_exception_fp_ieee_overflow 0
		.amdhsa_exception_fp_ieee_underflow 0
		.amdhsa_exception_fp_ieee_inexact 0
		.amdhsa_exception_int_div_zero 0
	.end_amdhsa_kernel
	.section	.text._ZN9rocsparseL32bsr2csr_block_per_row_2_7_kernelILj256ELj7E21rocsparse_complex_numIfEiiEEv20rocsparse_direction_T3_S4_21rocsparse_index_base_PKT1_PKT2_PKS4_S4_S5_PS6_PS9_PS4_,"axG",@progbits,_ZN9rocsparseL32bsr2csr_block_per_row_2_7_kernelILj256ELj7E21rocsparse_complex_numIfEiiEEv20rocsparse_direction_T3_S4_21rocsparse_index_base_PKT1_PKT2_PKS4_S4_S5_PS6_PS9_PS4_,comdat
.Lfunc_end162:
	.size	_ZN9rocsparseL32bsr2csr_block_per_row_2_7_kernelILj256ELj7E21rocsparse_complex_numIfEiiEEv20rocsparse_direction_T3_S4_21rocsparse_index_base_PKT1_PKT2_PKS4_S4_S5_PS6_PS9_PS4_, .Lfunc_end162-_ZN9rocsparseL32bsr2csr_block_per_row_2_7_kernelILj256ELj7E21rocsparse_complex_numIfEiiEEv20rocsparse_direction_T3_S4_21rocsparse_index_base_PKT1_PKT2_PKS4_S4_S5_PS6_PS9_PS4_
                                        ; -- End function
	.section	.AMDGPU.csdata,"",@progbits
; Kernel info:
; codeLenInByte = 876
; NumSgprs: 20
; NumVgprs: 36
; NumAgprs: 0
; TotalNumVgprs: 36
; ScratchSize: 0
; MemoryBound: 0
; FloatMode: 240
; IeeeMode: 1
; LDSByteSize: 0 bytes/workgroup (compile time only)
; SGPRBlocks: 2
; VGPRBlocks: 4
; NumSGPRsForWavesPerEU: 20
; NumVGPRsForWavesPerEU: 36
; AccumOffset: 36
; Occupancy: 8
; WaveLimiterHint : 0
; COMPUTE_PGM_RSRC2:SCRATCH_EN: 0
; COMPUTE_PGM_RSRC2:USER_SGPR: 6
; COMPUTE_PGM_RSRC2:TRAP_HANDLER: 0
; COMPUTE_PGM_RSRC2:TGID_X_EN: 1
; COMPUTE_PGM_RSRC2:TGID_Y_EN: 0
; COMPUTE_PGM_RSRC2:TGID_Z_EN: 0
; COMPUTE_PGM_RSRC2:TIDIG_COMP_CNT: 0
; COMPUTE_PGM_RSRC3_GFX90A:ACCUM_OFFSET: 8
; COMPUTE_PGM_RSRC3_GFX90A:TG_SPLIT: 0
	.section	.text._ZN9rocsparseL33bsr2csr_block_per_row_8_32_kernelILj1024ELj8E21rocsparse_complex_numIfEiiEEv20rocsparse_direction_T3_S4_21rocsparse_index_base_PKT1_PKT2_PKS4_S4_S5_PS6_PS9_PS4_,"axG",@progbits,_ZN9rocsparseL33bsr2csr_block_per_row_8_32_kernelILj1024ELj8E21rocsparse_complex_numIfEiiEEv20rocsparse_direction_T3_S4_21rocsparse_index_base_PKT1_PKT2_PKS4_S4_S5_PS6_PS9_PS4_,comdat
	.globl	_ZN9rocsparseL33bsr2csr_block_per_row_8_32_kernelILj1024ELj8E21rocsparse_complex_numIfEiiEEv20rocsparse_direction_T3_S4_21rocsparse_index_base_PKT1_PKT2_PKS4_S4_S5_PS6_PS9_PS4_ ; -- Begin function _ZN9rocsparseL33bsr2csr_block_per_row_8_32_kernelILj1024ELj8E21rocsparse_complex_numIfEiiEEv20rocsparse_direction_T3_S4_21rocsparse_index_base_PKT1_PKT2_PKS4_S4_S5_PS6_PS9_PS4_
	.p2align	8
	.type	_ZN9rocsparseL33bsr2csr_block_per_row_8_32_kernelILj1024ELj8E21rocsparse_complex_numIfEiiEEv20rocsparse_direction_T3_S4_21rocsparse_index_base_PKT1_PKT2_PKS4_S4_S5_PS6_PS9_PS4_,@function
_ZN9rocsparseL33bsr2csr_block_per_row_8_32_kernelILj1024ELj8E21rocsparse_complex_numIfEiiEEv20rocsparse_direction_T3_S4_21rocsparse_index_base_PKT1_PKT2_PKS4_S4_S5_PS6_PS9_PS4_: ; @_ZN9rocsparseL33bsr2csr_block_per_row_8_32_kernelILj1024ELj8E21rocsparse_complex_numIfEiiEEv20rocsparse_direction_T3_S4_21rocsparse_index_base_PKT1_PKT2_PKS4_S4_S5_PS6_PS9_PS4_
; %bb.0:
	s_load_dwordx2 s[8:9], s[4:5], 0x18
	s_load_dwordx2 s[0:1], s[4:5], 0x28
	;; [unrolled: 1-line block ×3, first 2 shown]
	s_ashr_i32 s7, s6, 31
	s_lshl_b64 s[10:11], s[6:7], 2
	s_waitcnt lgkmcnt(0)
	s_add_u32 s8, s8, s10
	v_or_b32_e32 v1, s6, v0
	s_addc_u32 s9, s9, s11
	v_cmp_eq_u32_e32 vcc, 0, v1
	s_and_saveexec_b64 s[10:11], vcc
	s_cbranch_execz .LBB163_2
; %bb.1:
	v_mov_b32_e32 v1, 0
	v_mov_b32_e32 v2, s1
	global_store_dword v1, v2, s[2:3]
.LBB163_2:
	s_or_b64 exec, exec, s[10:11]
	v_and_b32_e32 v6, 7, v0
	v_bfe_u32 v8, v0, 3, 3
	v_max_i32_e32 v1, v8, v6
	v_cmp_gt_i32_e32 vcc, s0, v1
	s_and_saveexec_b64 s[10:11], vcc
	s_cbranch_execz .LBB163_6
; %bb.3:
	s_load_dwordx2 s[10:11], s[8:9], 0x0
	s_load_dword s12, s[4:5], 0xc
	s_mul_i32 s6, s6, s0
	v_add_u32_e32 v2, s6, v8
	s_mul_i32 s15, s0, s0
	v_ashrrev_i32_e32 v3, 31, v2
	s_waitcnt lgkmcnt(0)
	s_sub_i32 s14, s10, s12
	s_sub_i32 s13, s11, s12
	;; [unrolled: 1-line block ×3, first 2 shown]
	s_mul_i32 s8, s16, s0
	v_lshrrev_b32_e32 v1, 6, v0
	s_mul_i32 s7, s14, s15
	v_mul_lo_u32 v0, s8, v8
	s_add_i32 s8, s8, s1
	v_lshlrev_b64 v[2:3], 2, v[2:3]
	s_add_i32 s8, s8, s7
	v_mov_b32_e32 v4, s3
	v_add_co_u32_e32 v2, vcc, s2, v2
	v_add_u32_e32 v0, s8, v0
	v_addc_co_u32_e32 v3, vcc, v4, v3, vcc
	global_store_dword v[2:3], v0, off offset:4
	v_add_u32_e32 v0, s14, v1
	v_cmp_gt_i32_e32 vcc, s13, v0
	s_and_b64 exec, exec, vcc
	s_cbranch_execz .LBB163_6
; %bb.4:
	s_load_dwordx2 s[2:3], s[4:5], 0x20
	s_load_dwordx2 s[6:7], s[4:5], 0x30
	s_load_dword s17, s[4:5], 0x0
	s_load_dwordx2 s[8:9], s[4:5], 0x10
	s_load_dwordx2 s[10:11], s[4:5], 0x40
	v_mad_u64_u32 v[4:5], s[4:5], v6, s0, v[8:9]
	s_waitcnt lgkmcnt(0)
	s_cmp_eq_u32 s17, 0
	v_mad_u64_u32 v[10:11], s[4:5], v8, s0, v[6:7]
	s_cselect_b64 vcc, -1, 0
	v_cndmask_b32_e32 v4, v4, v10, vcc
	v_mad_u64_u32 v[4:5], s[4:5], s15, v0, v[4:5]
	s_mul_i32 s4, s0, s14
	v_mul_lo_u32 v3, s16, v8
	v_add3_u32 v1, v1, s4, v3
	v_add_u32_e32 v2, s1, v6
	v_mad_u64_u32 v[6:7], s[4:5], s0, v1, v[6:7]
	s_lshl_b32 s1, s15, 4
	s_lshl_b32 s14, s0, 4
	s_mov_b64 s[4:5], 0
	v_mov_b32_e32 v3, s3
	v_mov_b32_e32 v8, s11
	;; [unrolled: 1-line block ×4, first 2 shown]
.LBB163_5:                              ; =>This Inner Loop Header: Depth=1
	v_ashrrev_i32_e32 v1, 31, v0
	v_lshlrev_b64 v[12:13], 2, v[0:1]
	v_add_co_u32_e32 v12, vcc, s2, v12
	v_addc_co_u32_e32 v13, vcc, v3, v13, vcc
	v_ashrrev_i32_e32 v5, 31, v4
	global_load_dword v1, v[12:13], off
	v_lshlrev_b64 v[12:13], 3, v[4:5]
	v_add_co_u32_e32 v12, vcc, s8, v12
	v_addc_co_u32_e32 v13, vcc, v9, v13, vcc
	global_load_dwordx2 v[12:13], v[12:13], off
	v_ashrrev_i32_e32 v7, 31, v6
	v_lshlrev_b64 v[14:15], 2, v[6:7]
	v_add_co_u32_e32 v14, vcc, s10, v14
	v_lshlrev_b64 v[16:17], 3, v[6:7]
	v_addc_co_u32_e32 v15, vcc, v8, v15, vcc
	v_add_co_u32_e32 v16, vcc, s6, v16
	v_add_u32_e32 v0, 16, v0
	v_addc_co_u32_e32 v17, vcc, v10, v17, vcc
	v_cmp_le_i32_e32 vcc, s13, v0
	v_add_u32_e32 v4, s1, v4
	s_or_b64 s[4:5], vcc, s[4:5]
	v_add_u32_e32 v6, s14, v6
	s_waitcnt vmcnt(1)
	v_subrev_u32_e32 v1, s12, v1
	s_waitcnt vmcnt(0)
	global_store_dwordx2 v[16:17], v[12:13], off
	v_mad_u64_u32 v[12:13], s[16:17], v1, s0, v[2:3]
	global_store_dword v[14:15], v12, off
	s_andn2_b64 exec, exec, s[4:5]
	s_cbranch_execnz .LBB163_5
.LBB163_6:
	s_endpgm
	.section	.rodata,"a",@progbits
	.p2align	6, 0x0
	.amdhsa_kernel _ZN9rocsparseL33bsr2csr_block_per_row_8_32_kernelILj1024ELj8E21rocsparse_complex_numIfEiiEEv20rocsparse_direction_T3_S4_21rocsparse_index_base_PKT1_PKT2_PKS4_S4_S5_PS6_PS9_PS4_
		.amdhsa_group_segment_fixed_size 0
		.amdhsa_private_segment_fixed_size 0
		.amdhsa_kernarg_size 72
		.amdhsa_user_sgpr_count 6
		.amdhsa_user_sgpr_private_segment_buffer 1
		.amdhsa_user_sgpr_dispatch_ptr 0
		.amdhsa_user_sgpr_queue_ptr 0
		.amdhsa_user_sgpr_kernarg_segment_ptr 1
		.amdhsa_user_sgpr_dispatch_id 0
		.amdhsa_user_sgpr_flat_scratch_init 0
		.amdhsa_user_sgpr_kernarg_preload_length 0
		.amdhsa_user_sgpr_kernarg_preload_offset 0
		.amdhsa_user_sgpr_private_segment_size 0
		.amdhsa_uses_dynamic_stack 0
		.amdhsa_system_sgpr_private_segment_wavefront_offset 0
		.amdhsa_system_sgpr_workgroup_id_x 1
		.amdhsa_system_sgpr_workgroup_id_y 0
		.amdhsa_system_sgpr_workgroup_id_z 0
		.amdhsa_system_sgpr_workgroup_info 0
		.amdhsa_system_vgpr_workitem_id 0
		.amdhsa_next_free_vgpr 18
		.amdhsa_next_free_sgpr 18
		.amdhsa_accum_offset 20
		.amdhsa_reserve_vcc 1
		.amdhsa_reserve_flat_scratch 0
		.amdhsa_float_round_mode_32 0
		.amdhsa_float_round_mode_16_64 0
		.amdhsa_float_denorm_mode_32 3
		.amdhsa_float_denorm_mode_16_64 3
		.amdhsa_dx10_clamp 1
		.amdhsa_ieee_mode 1
		.amdhsa_fp16_overflow 0
		.amdhsa_tg_split 0
		.amdhsa_exception_fp_ieee_invalid_op 0
		.amdhsa_exception_fp_denorm_src 0
		.amdhsa_exception_fp_ieee_div_zero 0
		.amdhsa_exception_fp_ieee_overflow 0
		.amdhsa_exception_fp_ieee_underflow 0
		.amdhsa_exception_fp_ieee_inexact 0
		.amdhsa_exception_int_div_zero 0
	.end_amdhsa_kernel
	.section	.text._ZN9rocsparseL33bsr2csr_block_per_row_8_32_kernelILj1024ELj8E21rocsparse_complex_numIfEiiEEv20rocsparse_direction_T3_S4_21rocsparse_index_base_PKT1_PKT2_PKS4_S4_S5_PS6_PS9_PS4_,"axG",@progbits,_ZN9rocsparseL33bsr2csr_block_per_row_8_32_kernelILj1024ELj8E21rocsparse_complex_numIfEiiEEv20rocsparse_direction_T3_S4_21rocsparse_index_base_PKT1_PKT2_PKS4_S4_S5_PS6_PS9_PS4_,comdat
.Lfunc_end163:
	.size	_ZN9rocsparseL33bsr2csr_block_per_row_8_32_kernelILj1024ELj8E21rocsparse_complex_numIfEiiEEv20rocsparse_direction_T3_S4_21rocsparse_index_base_PKT1_PKT2_PKS4_S4_S5_PS6_PS9_PS4_, .Lfunc_end163-_ZN9rocsparseL33bsr2csr_block_per_row_8_32_kernelILj1024ELj8E21rocsparse_complex_numIfEiiEEv20rocsparse_direction_T3_S4_21rocsparse_index_base_PKT1_PKT2_PKS4_S4_S5_PS6_PS9_PS4_
                                        ; -- End function
	.section	.AMDGPU.csdata,"",@progbits
; Kernel info:
; codeLenInByte = 532
; NumSgprs: 22
; NumVgprs: 18
; NumAgprs: 0
; TotalNumVgprs: 18
; ScratchSize: 0
; MemoryBound: 0
; FloatMode: 240
; IeeeMode: 1
; LDSByteSize: 0 bytes/workgroup (compile time only)
; SGPRBlocks: 2
; VGPRBlocks: 2
; NumSGPRsForWavesPerEU: 22
; NumVGPRsForWavesPerEU: 18
; AccumOffset: 20
; Occupancy: 8
; WaveLimiterHint : 0
; COMPUTE_PGM_RSRC2:SCRATCH_EN: 0
; COMPUTE_PGM_RSRC2:USER_SGPR: 6
; COMPUTE_PGM_RSRC2:TRAP_HANDLER: 0
; COMPUTE_PGM_RSRC2:TGID_X_EN: 1
; COMPUTE_PGM_RSRC2:TGID_Y_EN: 0
; COMPUTE_PGM_RSRC2:TGID_Z_EN: 0
; COMPUTE_PGM_RSRC2:TIDIG_COMP_CNT: 0
; COMPUTE_PGM_RSRC3_GFX90A:ACCUM_OFFSET: 4
; COMPUTE_PGM_RSRC3_GFX90A:TG_SPLIT: 0
	.section	.text._ZN9rocsparseL33bsr2csr_block_per_row_8_32_kernelILj1024ELj16E21rocsparse_complex_numIfEiiEEv20rocsparse_direction_T3_S4_21rocsparse_index_base_PKT1_PKT2_PKS4_S4_S5_PS6_PS9_PS4_,"axG",@progbits,_ZN9rocsparseL33bsr2csr_block_per_row_8_32_kernelILj1024ELj16E21rocsparse_complex_numIfEiiEEv20rocsparse_direction_T3_S4_21rocsparse_index_base_PKT1_PKT2_PKS4_S4_S5_PS6_PS9_PS4_,comdat
	.globl	_ZN9rocsparseL33bsr2csr_block_per_row_8_32_kernelILj1024ELj16E21rocsparse_complex_numIfEiiEEv20rocsparse_direction_T3_S4_21rocsparse_index_base_PKT1_PKT2_PKS4_S4_S5_PS6_PS9_PS4_ ; -- Begin function _ZN9rocsparseL33bsr2csr_block_per_row_8_32_kernelILj1024ELj16E21rocsparse_complex_numIfEiiEEv20rocsparse_direction_T3_S4_21rocsparse_index_base_PKT1_PKT2_PKS4_S4_S5_PS6_PS9_PS4_
	.p2align	8
	.type	_ZN9rocsparseL33bsr2csr_block_per_row_8_32_kernelILj1024ELj16E21rocsparse_complex_numIfEiiEEv20rocsparse_direction_T3_S4_21rocsparse_index_base_PKT1_PKT2_PKS4_S4_S5_PS6_PS9_PS4_,@function
_ZN9rocsparseL33bsr2csr_block_per_row_8_32_kernelILj1024ELj16E21rocsparse_complex_numIfEiiEEv20rocsparse_direction_T3_S4_21rocsparse_index_base_PKT1_PKT2_PKS4_S4_S5_PS6_PS9_PS4_: ; @_ZN9rocsparseL33bsr2csr_block_per_row_8_32_kernelILj1024ELj16E21rocsparse_complex_numIfEiiEEv20rocsparse_direction_T3_S4_21rocsparse_index_base_PKT1_PKT2_PKS4_S4_S5_PS6_PS9_PS4_
; %bb.0:
	s_load_dwordx2 s[8:9], s[4:5], 0x18
	s_load_dwordx2 s[0:1], s[4:5], 0x28
	;; [unrolled: 1-line block ×3, first 2 shown]
	s_ashr_i32 s7, s6, 31
	s_lshl_b64 s[10:11], s[6:7], 2
	s_waitcnt lgkmcnt(0)
	s_add_u32 s8, s8, s10
	v_or_b32_e32 v1, s6, v0
	s_addc_u32 s9, s9, s11
	v_cmp_eq_u32_e32 vcc, 0, v1
	s_and_saveexec_b64 s[10:11], vcc
	s_cbranch_execz .LBB164_2
; %bb.1:
	v_mov_b32_e32 v1, 0
	v_mov_b32_e32 v2, s1
	global_store_dword v1, v2, s[2:3]
.LBB164_2:
	s_or_b64 exec, exec, s[10:11]
	v_and_b32_e32 v6, 15, v0
	v_bfe_u32 v8, v0, 4, 4
	v_max_i32_e32 v1, v8, v6
	v_cmp_gt_i32_e32 vcc, s0, v1
	s_and_saveexec_b64 s[10:11], vcc
	s_cbranch_execz .LBB164_6
; %bb.3:
	s_load_dwordx2 s[10:11], s[8:9], 0x0
	s_load_dword s12, s[4:5], 0xc
	s_mul_i32 s6, s6, s0
	v_add_u32_e32 v2, s6, v8
	s_mul_i32 s15, s0, s0
	v_ashrrev_i32_e32 v3, 31, v2
	s_waitcnt lgkmcnt(0)
	s_sub_i32 s14, s10, s12
	s_sub_i32 s13, s11, s12
	;; [unrolled: 1-line block ×3, first 2 shown]
	s_mul_i32 s8, s16, s0
	v_lshrrev_b32_e32 v1, 8, v0
	s_mul_i32 s7, s14, s15
	v_mul_lo_u32 v0, s8, v8
	s_add_i32 s8, s8, s1
	v_lshlrev_b64 v[2:3], 2, v[2:3]
	s_add_i32 s8, s8, s7
	v_mov_b32_e32 v4, s3
	v_add_co_u32_e32 v2, vcc, s2, v2
	v_add_u32_e32 v0, s8, v0
	v_addc_co_u32_e32 v3, vcc, v4, v3, vcc
	global_store_dword v[2:3], v0, off offset:4
	v_add_u32_e32 v0, s14, v1
	v_cmp_gt_i32_e32 vcc, s13, v0
	s_and_b64 exec, exec, vcc
	s_cbranch_execz .LBB164_6
; %bb.4:
	s_load_dwordx2 s[2:3], s[4:5], 0x20
	s_load_dwordx2 s[6:7], s[4:5], 0x30
	s_load_dword s17, s[4:5], 0x0
	s_load_dwordx2 s[8:9], s[4:5], 0x10
	s_load_dwordx2 s[10:11], s[4:5], 0x40
	v_mad_u64_u32 v[4:5], s[4:5], v6, s0, v[8:9]
	s_waitcnt lgkmcnt(0)
	s_cmp_eq_u32 s17, 0
	v_mad_u64_u32 v[10:11], s[4:5], v8, s0, v[6:7]
	s_cselect_b64 vcc, -1, 0
	v_cndmask_b32_e32 v4, v4, v10, vcc
	v_mad_u64_u32 v[4:5], s[4:5], s15, v0, v[4:5]
	s_mul_i32 s4, s0, s14
	v_mul_lo_u32 v3, s16, v8
	v_add3_u32 v1, v1, s4, v3
	v_add_u32_e32 v2, s1, v6
	v_mad_u64_u32 v[6:7], s[4:5], s0, v1, v[6:7]
	s_lshl_b32 s1, s15, 2
	s_lshl_b32 s14, s0, 2
	s_mov_b64 s[4:5], 0
	v_mov_b32_e32 v3, s3
	v_mov_b32_e32 v8, s11
	;; [unrolled: 1-line block ×4, first 2 shown]
.LBB164_5:                              ; =>This Inner Loop Header: Depth=1
	v_ashrrev_i32_e32 v1, 31, v0
	v_lshlrev_b64 v[12:13], 2, v[0:1]
	v_add_co_u32_e32 v12, vcc, s2, v12
	v_addc_co_u32_e32 v13, vcc, v3, v13, vcc
	v_ashrrev_i32_e32 v5, 31, v4
	global_load_dword v1, v[12:13], off
	v_lshlrev_b64 v[12:13], 3, v[4:5]
	v_add_co_u32_e32 v12, vcc, s8, v12
	v_addc_co_u32_e32 v13, vcc, v9, v13, vcc
	global_load_dwordx2 v[12:13], v[12:13], off
	v_ashrrev_i32_e32 v7, 31, v6
	v_lshlrev_b64 v[14:15], 2, v[6:7]
	v_add_co_u32_e32 v14, vcc, s10, v14
	v_lshlrev_b64 v[16:17], 3, v[6:7]
	v_addc_co_u32_e32 v15, vcc, v8, v15, vcc
	v_add_co_u32_e32 v16, vcc, s6, v16
	v_add_u32_e32 v0, 4, v0
	v_addc_co_u32_e32 v17, vcc, v10, v17, vcc
	v_cmp_le_i32_e32 vcc, s13, v0
	v_add_u32_e32 v4, s1, v4
	s_or_b64 s[4:5], vcc, s[4:5]
	v_add_u32_e32 v6, s14, v6
	s_waitcnt vmcnt(1)
	v_subrev_u32_e32 v1, s12, v1
	s_waitcnt vmcnt(0)
	global_store_dwordx2 v[16:17], v[12:13], off
	v_mad_u64_u32 v[12:13], s[16:17], v1, s0, v[2:3]
	global_store_dword v[14:15], v12, off
	s_andn2_b64 exec, exec, s[4:5]
	s_cbranch_execnz .LBB164_5
.LBB164_6:
	s_endpgm
	.section	.rodata,"a",@progbits
	.p2align	6, 0x0
	.amdhsa_kernel _ZN9rocsparseL33bsr2csr_block_per_row_8_32_kernelILj1024ELj16E21rocsparse_complex_numIfEiiEEv20rocsparse_direction_T3_S4_21rocsparse_index_base_PKT1_PKT2_PKS4_S4_S5_PS6_PS9_PS4_
		.amdhsa_group_segment_fixed_size 0
		.amdhsa_private_segment_fixed_size 0
		.amdhsa_kernarg_size 72
		.amdhsa_user_sgpr_count 6
		.amdhsa_user_sgpr_private_segment_buffer 1
		.amdhsa_user_sgpr_dispatch_ptr 0
		.amdhsa_user_sgpr_queue_ptr 0
		.amdhsa_user_sgpr_kernarg_segment_ptr 1
		.amdhsa_user_sgpr_dispatch_id 0
		.amdhsa_user_sgpr_flat_scratch_init 0
		.amdhsa_user_sgpr_kernarg_preload_length 0
		.amdhsa_user_sgpr_kernarg_preload_offset 0
		.amdhsa_user_sgpr_private_segment_size 0
		.amdhsa_uses_dynamic_stack 0
		.amdhsa_system_sgpr_private_segment_wavefront_offset 0
		.amdhsa_system_sgpr_workgroup_id_x 1
		.amdhsa_system_sgpr_workgroup_id_y 0
		.amdhsa_system_sgpr_workgroup_id_z 0
		.amdhsa_system_sgpr_workgroup_info 0
		.amdhsa_system_vgpr_workitem_id 0
		.amdhsa_next_free_vgpr 18
		.amdhsa_next_free_sgpr 18
		.amdhsa_accum_offset 20
		.amdhsa_reserve_vcc 1
		.amdhsa_reserve_flat_scratch 0
		.amdhsa_float_round_mode_32 0
		.amdhsa_float_round_mode_16_64 0
		.amdhsa_float_denorm_mode_32 3
		.amdhsa_float_denorm_mode_16_64 3
		.amdhsa_dx10_clamp 1
		.amdhsa_ieee_mode 1
		.amdhsa_fp16_overflow 0
		.amdhsa_tg_split 0
		.amdhsa_exception_fp_ieee_invalid_op 0
		.amdhsa_exception_fp_denorm_src 0
		.amdhsa_exception_fp_ieee_div_zero 0
		.amdhsa_exception_fp_ieee_overflow 0
		.amdhsa_exception_fp_ieee_underflow 0
		.amdhsa_exception_fp_ieee_inexact 0
		.amdhsa_exception_int_div_zero 0
	.end_amdhsa_kernel
	.section	.text._ZN9rocsparseL33bsr2csr_block_per_row_8_32_kernelILj1024ELj16E21rocsparse_complex_numIfEiiEEv20rocsparse_direction_T3_S4_21rocsparse_index_base_PKT1_PKT2_PKS4_S4_S5_PS6_PS9_PS4_,"axG",@progbits,_ZN9rocsparseL33bsr2csr_block_per_row_8_32_kernelILj1024ELj16E21rocsparse_complex_numIfEiiEEv20rocsparse_direction_T3_S4_21rocsparse_index_base_PKT1_PKT2_PKS4_S4_S5_PS6_PS9_PS4_,comdat
.Lfunc_end164:
	.size	_ZN9rocsparseL33bsr2csr_block_per_row_8_32_kernelILj1024ELj16E21rocsparse_complex_numIfEiiEEv20rocsparse_direction_T3_S4_21rocsparse_index_base_PKT1_PKT2_PKS4_S4_S5_PS6_PS9_PS4_, .Lfunc_end164-_ZN9rocsparseL33bsr2csr_block_per_row_8_32_kernelILj1024ELj16E21rocsparse_complex_numIfEiiEEv20rocsparse_direction_T3_S4_21rocsparse_index_base_PKT1_PKT2_PKS4_S4_S5_PS6_PS9_PS4_
                                        ; -- End function
	.section	.AMDGPU.csdata,"",@progbits
; Kernel info:
; codeLenInByte = 532
; NumSgprs: 22
; NumVgprs: 18
; NumAgprs: 0
; TotalNumVgprs: 18
; ScratchSize: 0
; MemoryBound: 0
; FloatMode: 240
; IeeeMode: 1
; LDSByteSize: 0 bytes/workgroup (compile time only)
; SGPRBlocks: 2
; VGPRBlocks: 2
; NumSGPRsForWavesPerEU: 22
; NumVGPRsForWavesPerEU: 18
; AccumOffset: 20
; Occupancy: 8
; WaveLimiterHint : 0
; COMPUTE_PGM_RSRC2:SCRATCH_EN: 0
; COMPUTE_PGM_RSRC2:USER_SGPR: 6
; COMPUTE_PGM_RSRC2:TRAP_HANDLER: 0
; COMPUTE_PGM_RSRC2:TGID_X_EN: 1
; COMPUTE_PGM_RSRC2:TGID_Y_EN: 0
; COMPUTE_PGM_RSRC2:TGID_Z_EN: 0
; COMPUTE_PGM_RSRC2:TIDIG_COMP_CNT: 0
; COMPUTE_PGM_RSRC3_GFX90A:ACCUM_OFFSET: 4
; COMPUTE_PGM_RSRC3_GFX90A:TG_SPLIT: 0
	.section	.text._ZN9rocsparseL33bsr2csr_block_per_row_8_32_kernelILj1024ELj32E21rocsparse_complex_numIfEiiEEv20rocsparse_direction_T3_S4_21rocsparse_index_base_PKT1_PKT2_PKS4_S4_S5_PS6_PS9_PS4_,"axG",@progbits,_ZN9rocsparseL33bsr2csr_block_per_row_8_32_kernelILj1024ELj32E21rocsparse_complex_numIfEiiEEv20rocsparse_direction_T3_S4_21rocsparse_index_base_PKT1_PKT2_PKS4_S4_S5_PS6_PS9_PS4_,comdat
	.globl	_ZN9rocsparseL33bsr2csr_block_per_row_8_32_kernelILj1024ELj32E21rocsparse_complex_numIfEiiEEv20rocsparse_direction_T3_S4_21rocsparse_index_base_PKT1_PKT2_PKS4_S4_S5_PS6_PS9_PS4_ ; -- Begin function _ZN9rocsparseL33bsr2csr_block_per_row_8_32_kernelILj1024ELj32E21rocsparse_complex_numIfEiiEEv20rocsparse_direction_T3_S4_21rocsparse_index_base_PKT1_PKT2_PKS4_S4_S5_PS6_PS9_PS4_
	.p2align	8
	.type	_ZN9rocsparseL33bsr2csr_block_per_row_8_32_kernelILj1024ELj32E21rocsparse_complex_numIfEiiEEv20rocsparse_direction_T3_S4_21rocsparse_index_base_PKT1_PKT2_PKS4_S4_S5_PS6_PS9_PS4_,@function
_ZN9rocsparseL33bsr2csr_block_per_row_8_32_kernelILj1024ELj32E21rocsparse_complex_numIfEiiEEv20rocsparse_direction_T3_S4_21rocsparse_index_base_PKT1_PKT2_PKS4_S4_S5_PS6_PS9_PS4_: ; @_ZN9rocsparseL33bsr2csr_block_per_row_8_32_kernelILj1024ELj32E21rocsparse_complex_numIfEiiEEv20rocsparse_direction_T3_S4_21rocsparse_index_base_PKT1_PKT2_PKS4_S4_S5_PS6_PS9_PS4_
; %bb.0:
	s_load_dwordx2 s[2:3], s[4:5], 0x18
	s_load_dwordx2 s[0:1], s[4:5], 0x28
	;; [unrolled: 1-line block ×3, first 2 shown]
	s_ashr_i32 s7, s6, 31
	s_lshl_b64 s[10:11], s[6:7], 2
	s_waitcnt lgkmcnt(0)
	s_add_u32 s2, s2, s10
	v_or_b32_e32 v1, s6, v0
	s_addc_u32 s3, s3, s11
	v_cmp_eq_u32_e32 vcc, 0, v1
	s_and_saveexec_b64 s[10:11], vcc
	s_cbranch_execz .LBB165_2
; %bb.1:
	v_mov_b32_e32 v1, 0
	v_mov_b32_e32 v2, s1
	global_store_dword v1, v2, s[8:9]
.LBB165_2:
	s_or_b64 exec, exec, s[10:11]
	v_and_b32_e32 v2, 31, v0
	v_lshrrev_b32_e32 v4, 5, v0
	v_max_i32_e32 v0, v4, v2
	v_cmp_gt_i32_e32 vcc, s0, v0
	s_and_saveexec_b64 s[10:11], vcc
	s_cbranch_execz .LBB165_6
; %bb.3:
	s_load_dwordx2 s[10:11], s[2:3], 0x0
	s_load_dword s12, s[4:5], 0xc
	s_mul_i32 s13, s0, s0
	s_mul_i32 s6, s6, s0
	v_mov_b32_e32 v5, s9
	s_waitcnt lgkmcnt(0)
	s_sub_i32 s2, s10, s12
	s_sub_i32 s14, s11, s12
	;; [unrolled: 1-line block ×3, first 2 shown]
	s_mul_i32 s7, s3, s0
	s_mul_i32 s15, s2, s13
	v_mul_lo_u32 v0, s7, v4
	s_add_i32 s7, s7, s1
	s_add_i32 s7, s7, s15
	v_add_u32_e32 v3, s7, v0
	v_add_u32_e32 v0, s6, v4
	v_ashrrev_i32_e32 v1, 31, v0
	v_lshlrev_b64 v[0:1], 2, v[0:1]
	v_add_co_u32_e32 v0, vcc, s8, v0
	v_addc_co_u32_e32 v1, vcc, v5, v1, vcc
	s_cmp_ge_i32 s10, s11
	global_store_dword v[0:1], v3, off offset:4
	s_cbranch_scc1 .LBB165_6
; %bb.4:
	s_load_dwordx2 s[16:17], s[4:5], 0x20
	s_load_dwordx2 s[6:7], s[4:5], 0x30
	s_load_dword s18, s[4:5], 0x0
	s_load_dwordx2 s[8:9], s[4:5], 0x10
	s_load_dwordx2 s[10:11], s[4:5], 0x40
	v_add_u32_e32 v5, s1, v2
	v_mad_u64_u32 v[0:1], s[4:5], v2, s0, v[4:5]
	s_mul_i32 s1, s0, s2
	v_mul_lo_u32 v1, v4, s3
	s_waitcnt lgkmcnt(0)
	s_cmp_eq_u32 s18, 0
	v_add_u32_e32 v1, s1, v1
	v_mad_u64_u32 v[6:7], s[4:5], v4, s0, v[2:3]
	s_cselect_b64 vcc, -1, 0
	v_mad_u64_u32 v[2:3], s[4:5], s0, v1, v[2:3]
	s_ashr_i32 s3, s2, 31
	s_lshl_b64 s[4:5], s[2:3], 2
	v_cndmask_b32_e32 v0, v0, v6, vcc
	s_add_u32 s4, s16, s4
	v_add_u32_e32 v0, s15, v0
	s_addc_u32 s5, s17, s5
	v_mov_b32_e32 v4, s11
	v_mov_b32_e32 v6, s9
	;; [unrolled: 1-line block ×3, first 2 shown]
.LBB165_5:                              ; =>This Inner Loop Header: Depth=1
	v_ashrrev_i32_e32 v1, 31, v0
	v_lshlrev_b64 v[8:9], 3, v[0:1]
	v_add_co_u32_e32 v8, vcc, s8, v8
	v_addc_co_u32_e32 v9, vcc, v6, v9, vcc
	global_load_dwordx2 v[8:9], v[8:9], off
	s_load_dword s1, s[4:5], 0x0
	v_ashrrev_i32_e32 v3, 31, v2
	v_lshlrev_b64 v[10:11], 2, v[2:3]
	s_add_i32 s2, s2, 1
	v_add_co_u32_e32 v10, vcc, s10, v10
	s_waitcnt lgkmcnt(0)
	s_sub_i32 s1, s1, s12
	v_lshlrev_b64 v[12:13], 3, v[2:3]
	v_addc_co_u32_e32 v11, vcc, v4, v11, vcc
	s_add_u32 s4, s4, 4
	v_add_co_u32_e32 v12, vcc, s6, v12
	s_mul_i32 s1, s1, s0
	s_addc_u32 s5, s5, 0
	v_add_u32_e32 v0, s13, v0
	v_add_u32_e32 v2, s0, v2
	v_addc_co_u32_e32 v13, vcc, v7, v13, vcc
	v_add_u32_e32 v1, s1, v5
	s_cmp_lt_i32 s2, s14
	global_store_dword v[10:11], v1, off
	s_waitcnt vmcnt(1)
	global_store_dwordx2 v[12:13], v[8:9], off
	s_cbranch_scc1 .LBB165_5
.LBB165_6:
	s_endpgm
	.section	.rodata,"a",@progbits
	.p2align	6, 0x0
	.amdhsa_kernel _ZN9rocsparseL33bsr2csr_block_per_row_8_32_kernelILj1024ELj32E21rocsparse_complex_numIfEiiEEv20rocsparse_direction_T3_S4_21rocsparse_index_base_PKT1_PKT2_PKS4_S4_S5_PS6_PS9_PS4_
		.amdhsa_group_segment_fixed_size 0
		.amdhsa_private_segment_fixed_size 0
		.amdhsa_kernarg_size 72
		.amdhsa_user_sgpr_count 6
		.amdhsa_user_sgpr_private_segment_buffer 1
		.amdhsa_user_sgpr_dispatch_ptr 0
		.amdhsa_user_sgpr_queue_ptr 0
		.amdhsa_user_sgpr_kernarg_segment_ptr 1
		.amdhsa_user_sgpr_dispatch_id 0
		.amdhsa_user_sgpr_flat_scratch_init 0
		.amdhsa_user_sgpr_kernarg_preload_length 0
		.amdhsa_user_sgpr_kernarg_preload_offset 0
		.amdhsa_user_sgpr_private_segment_size 0
		.amdhsa_uses_dynamic_stack 0
		.amdhsa_system_sgpr_private_segment_wavefront_offset 0
		.amdhsa_system_sgpr_workgroup_id_x 1
		.amdhsa_system_sgpr_workgroup_id_y 0
		.amdhsa_system_sgpr_workgroup_id_z 0
		.amdhsa_system_sgpr_workgroup_info 0
		.amdhsa_system_vgpr_workitem_id 0
		.amdhsa_next_free_vgpr 14
		.amdhsa_next_free_sgpr 19
		.amdhsa_accum_offset 16
		.amdhsa_reserve_vcc 1
		.amdhsa_reserve_flat_scratch 0
		.amdhsa_float_round_mode_32 0
		.amdhsa_float_round_mode_16_64 0
		.amdhsa_float_denorm_mode_32 3
		.amdhsa_float_denorm_mode_16_64 3
		.amdhsa_dx10_clamp 1
		.amdhsa_ieee_mode 1
		.amdhsa_fp16_overflow 0
		.amdhsa_tg_split 0
		.amdhsa_exception_fp_ieee_invalid_op 0
		.amdhsa_exception_fp_denorm_src 0
		.amdhsa_exception_fp_ieee_div_zero 0
		.amdhsa_exception_fp_ieee_overflow 0
		.amdhsa_exception_fp_ieee_underflow 0
		.amdhsa_exception_fp_ieee_inexact 0
		.amdhsa_exception_int_div_zero 0
	.end_amdhsa_kernel
	.section	.text._ZN9rocsparseL33bsr2csr_block_per_row_8_32_kernelILj1024ELj32E21rocsparse_complex_numIfEiiEEv20rocsparse_direction_T3_S4_21rocsparse_index_base_PKT1_PKT2_PKS4_S4_S5_PS6_PS9_PS4_,"axG",@progbits,_ZN9rocsparseL33bsr2csr_block_per_row_8_32_kernelILj1024ELj32E21rocsparse_complex_numIfEiiEEv20rocsparse_direction_T3_S4_21rocsparse_index_base_PKT1_PKT2_PKS4_S4_S5_PS6_PS9_PS4_,comdat
.Lfunc_end165:
	.size	_ZN9rocsparseL33bsr2csr_block_per_row_8_32_kernelILj1024ELj32E21rocsparse_complex_numIfEiiEEv20rocsparse_direction_T3_S4_21rocsparse_index_base_PKT1_PKT2_PKS4_S4_S5_PS6_PS9_PS4_, .Lfunc_end165-_ZN9rocsparseL33bsr2csr_block_per_row_8_32_kernelILj1024ELj32E21rocsparse_complex_numIfEiiEEv20rocsparse_direction_T3_S4_21rocsparse_index_base_PKT1_PKT2_PKS4_S4_S5_PS6_PS9_PS4_
                                        ; -- End function
	.section	.AMDGPU.csdata,"",@progbits
; Kernel info:
; codeLenInByte = 488
; NumSgprs: 23
; NumVgprs: 14
; NumAgprs: 0
; TotalNumVgprs: 14
; ScratchSize: 0
; MemoryBound: 0
; FloatMode: 240
; IeeeMode: 1
; LDSByteSize: 0 bytes/workgroup (compile time only)
; SGPRBlocks: 2
; VGPRBlocks: 1
; NumSGPRsForWavesPerEU: 23
; NumVGPRsForWavesPerEU: 14
; AccumOffset: 16
; Occupancy: 8
; WaveLimiterHint : 0
; COMPUTE_PGM_RSRC2:SCRATCH_EN: 0
; COMPUTE_PGM_RSRC2:USER_SGPR: 6
; COMPUTE_PGM_RSRC2:TRAP_HANDLER: 0
; COMPUTE_PGM_RSRC2:TGID_X_EN: 1
; COMPUTE_PGM_RSRC2:TGID_Y_EN: 0
; COMPUTE_PGM_RSRC2:TGID_Z_EN: 0
; COMPUTE_PGM_RSRC2:TIDIG_COMP_CNT: 0
; COMPUTE_PGM_RSRC3_GFX90A:ACCUM_OFFSET: 3
; COMPUTE_PGM_RSRC3_GFX90A:TG_SPLIT: 0
	.section	.text._ZN9rocsparseL35bsr2csr_block_per_row_33_256_kernelILj1024ELj64ELj32E21rocsparse_complex_numIfEiiEEv20rocsparse_direction_T4_S4_21rocsparse_index_base_PKT2_PKT3_PKS4_S4_S5_PS6_PS9_PS4_,"axG",@progbits,_ZN9rocsparseL35bsr2csr_block_per_row_33_256_kernelILj1024ELj64ELj32E21rocsparse_complex_numIfEiiEEv20rocsparse_direction_T4_S4_21rocsparse_index_base_PKT2_PKT3_PKS4_S4_S5_PS6_PS9_PS4_,comdat
	.globl	_ZN9rocsparseL35bsr2csr_block_per_row_33_256_kernelILj1024ELj64ELj32E21rocsparse_complex_numIfEiiEEv20rocsparse_direction_T4_S4_21rocsparse_index_base_PKT2_PKT3_PKS4_S4_S5_PS6_PS9_PS4_ ; -- Begin function _ZN9rocsparseL35bsr2csr_block_per_row_33_256_kernelILj1024ELj64ELj32E21rocsparse_complex_numIfEiiEEv20rocsparse_direction_T4_S4_21rocsparse_index_base_PKT2_PKT3_PKS4_S4_S5_PS6_PS9_PS4_
	.p2align	8
	.type	_ZN9rocsparseL35bsr2csr_block_per_row_33_256_kernelILj1024ELj64ELj32E21rocsparse_complex_numIfEiiEEv20rocsparse_direction_T4_S4_21rocsparse_index_base_PKT2_PKT3_PKS4_S4_S5_PS6_PS9_PS4_,@function
_ZN9rocsparseL35bsr2csr_block_per_row_33_256_kernelILj1024ELj64ELj32E21rocsparse_complex_numIfEiiEEv20rocsparse_direction_T4_S4_21rocsparse_index_base_PKT2_PKT3_PKS4_S4_S5_PS6_PS9_PS4_: ; @_ZN9rocsparseL35bsr2csr_block_per_row_33_256_kernelILj1024ELj64ELj32E21rocsparse_complex_numIfEiiEEv20rocsparse_direction_T4_S4_21rocsparse_index_base_PKT2_PKT3_PKS4_S4_S5_PS6_PS9_PS4_
; %bb.0:
	s_load_dwordx2 s[0:1], s[4:5], 0x18
	s_load_dwordx2 s[8:9], s[4:5], 0x28
	;; [unrolled: 1-line block ×3, first 2 shown]
	s_ashr_i32 s7, s6, 31
	s_lshl_b64 s[2:3], s[6:7], 2
	s_waitcnt lgkmcnt(0)
	s_add_u32 s0, s0, s2
	s_addc_u32 s1, s1, s3
	s_load_dwordx2 s[22:23], s[0:1], 0x0
	v_or_b32_e32 v1, s6, v0
	v_cmp_eq_u32_e32 vcc, 0, v1
	s_and_saveexec_b64 s[0:1], vcc
	s_cbranch_execz .LBB166_2
; %bb.1:
	v_mov_b32_e32 v1, 0
	v_mov_b32_e32 v2, s9
	global_store_dword v1, v2, s[12:13]
.LBB166_2:
	s_or_b64 exec, exec, s[0:1]
	s_load_dword s24, s[4:5], 0xc
	v_lshrrev_b32_e32 v1, 5, v0
	s_mul_i32 s14, s6, s8
	s_waitcnt lgkmcnt(0)
	s_sub_i32 s10, s22, s24
	s_sub_i32 s25, s23, s24
	s_mul_i32 s11, s10, s8
	s_sub_i32 s18, s25, s10
	s_mul_i32 s0, s11, s8
	s_mul_i32 s15, s18, s8
	s_add_i32 s16, s0, s9
	s_add_i32 s16, s16, s15
	v_cmp_gt_i32_e64 s[0:1], s8, v1
	s_and_saveexec_b64 s[2:3], s[0:1]
	s_cbranch_execz .LBB166_4
; %bb.3:
	v_mul_lo_u32 v2, v1, s15
	v_add_u32_e32 v4, s16, v2
	v_add_u32_e32 v2, s14, v1
	v_ashrrev_i32_e32 v3, 31, v2
	v_lshlrev_b64 v[2:3], 2, v[2:3]
	v_mov_b32_e32 v5, s13
	v_add_co_u32_e32 v2, vcc, s12, v2
	v_addc_co_u32_e32 v3, vcc, v5, v3, vcc
	global_store_dword v[2:3], v4, off offset:4
.LBB166_4:
	s_or_b64 exec, exec, s[2:3]
	v_or_b32_e32 v2, 32, v1
	v_cmp_gt_i32_e64 s[2:3], s8, v2
	s_and_saveexec_b64 s[6:7], s[2:3]
	s_cbranch_execz .LBB166_6
; %bb.5:
	s_add_u32 s12, s12, 4
	s_addc_u32 s13, s13, 0
	v_mul_lo_u32 v2, v2, s15
	s_ashr_i32 s15, s14, 31
	v_add_u32_e32 v4, s16, v2
	v_mov_b32_e32 v3, s15
	v_add_co_u32_e32 v2, vcc, s14, v1
	v_addc_co_u32_e32 v3, vcc, 0, v3, vcc
	v_lshlrev_b64 v[2:3], 2, v[2:3]
	v_mov_b32_e32 v5, s13
	v_add_co_u32_e32 v2, vcc, s12, v2
	v_addc_co_u32_e32 v3, vcc, v5, v3, vcc
	global_store_dword v[2:3], v4, off offset:128
.LBB166_6:
	s_or_b64 exec, exec, s[6:7]
	s_cmp_lt_i32 s22, s23
	s_cbranch_scc0 .LBB166_17
; %bb.7:
	s_load_dwordx2 s[28:29], s[4:5], 0x20
	s_load_dwordx2 s[12:13], s[4:5], 0x30
	s_load_dword s6, s[4:5], 0x0
	s_load_dwordx2 s[14:15], s[4:5], 0x10
	s_load_dwordx2 s[16:17], s[4:5], 0x40
	v_and_b32_e32 v0, 31, v0
	v_mul_lo_u32 v7, v1, s18
	v_or_b32_e32 v2, 32, v0
	s_waitcnt lgkmcnt(0)
	s_cmp_eq_u32 s6, 0
	v_cmp_gt_i32_e64 s[4:5], s8, v0
	v_cmp_gt_i32_e64 s[6:7], s8, v2
	v_add_u32_e32 v8, s11, v7
	s_cselect_b64 vcc, -1, 0
	s_and_b64 s[18:19], s[0:1], s[4:5]
	s_and_b64 s[20:21], s[0:1], s[6:7]
	v_add_u32_e32 v4, s11, v1
	v_add_u32_e32 v6, s11, v0
	v_lshl_add_u32 v7, s23, 5, v8
	s_lshl_b32 s0, s22, 5
	s_ashr_i32 s11, s10, 31
	s_and_b64 s[4:5], s[2:3], s[4:5]
	s_and_b64 s[2:3], s[2:3], s[6:7]
	v_subrev_u32_e32 v7, s0, v7
	s_lshl_b64 s[0:1], s[10:11], 2
	v_add_u32_e32 v3, 32, v4
	v_add_u32_e32 v5, 32, v6
	s_add_u32 s6, s28, s0
	s_mul_i32 s26, s8, s8
	v_mul_lo_u32 v3, s8, v3
	v_mul_lo_u32 v4, s8, v4
	;; [unrolled: 1-line block ×6, first 2 shown]
	s_addc_u32 s7, s29, s1
	s_branch .LBB166_9
.LBB166_8:                              ;   in Loop: Header=BB166_9 Depth=1
	s_or_b64 exec, exec, s[22:23]
	s_add_i32 s10, s10, 1
	s_add_u32 s6, s6, 4
	s_addc_u32 s7, s7, 0
	v_add_u32_e32 v3, s26, v3
	v_add_u32_e32 v4, s26, v4
	;; [unrolled: 1-line block ×4, first 2 shown]
	s_cmp_ge_i32 s10, s25
	v_add_u32_e32 v8, s8, v8
	s_cbranch_scc1 .LBB166_17
.LBB166_9:                              ; =>This Inner Loop Header: Depth=1
	s_load_dword s0, s[6:7], 0x0
	s_waitcnt lgkmcnt(0)
	s_sub_i32 s0, s0, s24
	s_mul_i32 s11, s0, s8
	s_add_i32 s11, s11, s9
	v_add_u32_e32 v9, s11, v0
	s_and_saveexec_b64 s[22:23], s[18:19]
	s_cbranch_execz .LBB166_11
; %bb.10:                               ;   in Loop: Header=BB166_9 Depth=1
	v_add_u32_e32 v10, v0, v4
	v_add_u32_e32 v11, v6, v1
	v_cndmask_b32_e32 v10, v11, v10, vcc
	v_ashrrev_i32_e32 v11, 31, v10
	v_lshlrev_b64 v[10:11], 3, v[10:11]
	v_mov_b32_e32 v12, s15
	v_add_co_u32_e64 v10, s[0:1], s14, v10
	v_addc_co_u32_e64 v11, s[0:1], v12, v11, s[0:1]
	global_load_dwordx2 v[10:11], v[10:11], off
	v_add_u32_e32 v12, v0, v8
	v_ashrrev_i32_e32 v13, 31, v12
	v_lshlrev_b64 v[14:15], 2, v[12:13]
	v_mov_b32_e32 v16, s17
	v_add_co_u32_e64 v14, s[0:1], s16, v14
	v_addc_co_u32_e64 v15, s[0:1], v16, v15, s[0:1]
	v_lshlrev_b64 v[12:13], 3, v[12:13]
	global_store_dword v[14:15], v9, off
	v_mov_b32_e32 v14, s13
	v_add_co_u32_e64 v12, s[0:1], s12, v12
	v_addc_co_u32_e64 v13, s[0:1], v14, v13, s[0:1]
	s_waitcnt vmcnt(1)
	global_store_dwordx2 v[12:13], v[10:11], off
.LBB166_11:                             ;   in Loop: Header=BB166_9 Depth=1
	s_or_b64 exec, exec, s[22:23]
	v_add_u32_e32 v10, s11, v2
	v_add_u32_e32 v11, v5, v1
	s_and_saveexec_b64 s[22:23], s[20:21]
	s_cbranch_execnz .LBB166_14
; %bb.12:                               ;   in Loop: Header=BB166_9 Depth=1
	s_or_b64 exec, exec, s[22:23]
	v_add_u32_e32 v12, v0, v3
	s_and_saveexec_b64 s[22:23], s[4:5]
	s_cbranch_execnz .LBB166_15
.LBB166_13:                             ;   in Loop: Header=BB166_9 Depth=1
	s_or_b64 exec, exec, s[22:23]
	s_and_saveexec_b64 s[22:23], s[2:3]
	s_cbranch_execz .LBB166_8
	s_branch .LBB166_16
.LBB166_14:                             ;   in Loop: Header=BB166_9 Depth=1
	v_add3_u32 v12, v0, v4, 32
	v_cndmask_b32_e32 v12, v11, v12, vcc
	v_ashrrev_i32_e32 v13, 31, v12
	v_lshlrev_b64 v[12:13], 3, v[12:13]
	v_mov_b32_e32 v14, s15
	v_add_co_u32_e64 v12, s[0:1], s14, v12
	v_addc_co_u32_e64 v13, s[0:1], v14, v13, s[0:1]
	global_load_dwordx2 v[12:13], v[12:13], off
	v_add3_u32 v14, v0, v8, 32
	v_ashrrev_i32_e32 v15, 31, v14
	v_lshlrev_b64 v[16:17], 2, v[14:15]
	v_mov_b32_e32 v18, s17
	v_add_co_u32_e64 v16, s[0:1], s16, v16
	v_addc_co_u32_e64 v17, s[0:1], v18, v17, s[0:1]
	v_lshlrev_b64 v[14:15], 3, v[14:15]
	global_store_dword v[16:17], v10, off
	v_mov_b32_e32 v16, s13
	v_add_co_u32_e64 v14, s[0:1], s12, v14
	v_addc_co_u32_e64 v15, s[0:1], v16, v15, s[0:1]
	s_waitcnt vmcnt(1)
	global_store_dwordx2 v[14:15], v[12:13], off
	s_or_b64 exec, exec, s[22:23]
	v_add_u32_e32 v12, v0, v3
	s_and_saveexec_b64 s[22:23], s[4:5]
	s_cbranch_execz .LBB166_13
.LBB166_15:                             ;   in Loop: Header=BB166_9 Depth=1
	v_add3_u32 v13, v6, v1, 32
	v_cndmask_b32_e32 v14, v13, v12, vcc
	v_ashrrev_i32_e32 v15, 31, v14
	v_lshlrev_b64 v[14:15], 3, v[14:15]
	v_mov_b32_e32 v13, s15
	v_add_co_u32_e64 v14, s[0:1], s14, v14
	v_addc_co_u32_e64 v15, s[0:1], v13, v15, s[0:1]
	global_load_dwordx2 v[14:15], v[14:15], off
	v_add_u32_e32 v16, v0, v7
	v_ashrrev_i32_e32 v17, 31, v16
	v_lshlrev_b64 v[18:19], 2, v[16:17]
	v_mov_b32_e32 v13, s17
	v_add_co_u32_e64 v18, s[0:1], s16, v18
	v_addc_co_u32_e64 v19, s[0:1], v13, v19, s[0:1]
	v_lshlrev_b64 v[16:17], 3, v[16:17]
	global_store_dword v[18:19], v9, off
	v_mov_b32_e32 v9, s13
	v_add_co_u32_e64 v16, s[0:1], s12, v16
	v_addc_co_u32_e64 v17, s[0:1], v9, v17, s[0:1]
	s_waitcnt vmcnt(1)
	global_store_dwordx2 v[16:17], v[14:15], off
	s_or_b64 exec, exec, s[22:23]
	s_and_saveexec_b64 s[22:23], s[2:3]
	s_cbranch_execz .LBB166_8
.LBB166_16:                             ;   in Loop: Header=BB166_9 Depth=1
	v_cndmask_b32_e32 v9, v11, v12, vcc
	v_add_u32_e32 v12, 32, v9
	v_ashrrev_i32_e32 v13, 31, v12
	v_lshlrev_b64 v[12:13], 3, v[12:13]
	v_mov_b32_e32 v9, s15
	v_add_co_u32_e64 v12, s[0:1], s14, v12
	v_addc_co_u32_e64 v13, s[0:1], v9, v13, s[0:1]
	global_load_dwordx2 v[12:13], v[12:13], off
	v_add3_u32 v14, v0, v7, 32
	v_ashrrev_i32_e32 v15, 31, v14
	v_lshlrev_b64 v[16:17], 2, v[14:15]
	v_mov_b32_e32 v9, s17
	v_add_co_u32_e64 v16, s[0:1], s16, v16
	v_addc_co_u32_e64 v17, s[0:1], v9, v17, s[0:1]
	global_store_dword v[16:17], v10, off
	v_lshlrev_b64 v[10:11], 3, v[14:15]
	v_mov_b32_e32 v9, s13
	v_add_co_u32_e64 v10, s[0:1], s12, v10
	v_addc_co_u32_e64 v11, s[0:1], v9, v11, s[0:1]
	s_waitcnt vmcnt(1)
	global_store_dwordx2 v[10:11], v[12:13], off
	s_branch .LBB166_8
.LBB166_17:
	s_endpgm
	.section	.rodata,"a",@progbits
	.p2align	6, 0x0
	.amdhsa_kernel _ZN9rocsparseL35bsr2csr_block_per_row_33_256_kernelILj1024ELj64ELj32E21rocsparse_complex_numIfEiiEEv20rocsparse_direction_T4_S4_21rocsparse_index_base_PKT2_PKT3_PKS4_S4_S5_PS6_PS9_PS4_
		.amdhsa_group_segment_fixed_size 0
		.amdhsa_private_segment_fixed_size 0
		.amdhsa_kernarg_size 72
		.amdhsa_user_sgpr_count 6
		.amdhsa_user_sgpr_private_segment_buffer 1
		.amdhsa_user_sgpr_dispatch_ptr 0
		.amdhsa_user_sgpr_queue_ptr 0
		.amdhsa_user_sgpr_kernarg_segment_ptr 1
		.amdhsa_user_sgpr_dispatch_id 0
		.amdhsa_user_sgpr_flat_scratch_init 0
		.amdhsa_user_sgpr_kernarg_preload_length 0
		.amdhsa_user_sgpr_kernarg_preload_offset 0
		.amdhsa_user_sgpr_private_segment_size 0
		.amdhsa_uses_dynamic_stack 0
		.amdhsa_system_sgpr_private_segment_wavefront_offset 0
		.amdhsa_system_sgpr_workgroup_id_x 1
		.amdhsa_system_sgpr_workgroup_id_y 0
		.amdhsa_system_sgpr_workgroup_id_z 0
		.amdhsa_system_sgpr_workgroup_info 0
		.amdhsa_system_vgpr_workitem_id 0
		.amdhsa_next_free_vgpr 20
		.amdhsa_next_free_sgpr 30
		.amdhsa_accum_offset 20
		.amdhsa_reserve_vcc 1
		.amdhsa_reserve_flat_scratch 0
		.amdhsa_float_round_mode_32 0
		.amdhsa_float_round_mode_16_64 0
		.amdhsa_float_denorm_mode_32 3
		.amdhsa_float_denorm_mode_16_64 3
		.amdhsa_dx10_clamp 1
		.amdhsa_ieee_mode 1
		.amdhsa_fp16_overflow 0
		.amdhsa_tg_split 0
		.amdhsa_exception_fp_ieee_invalid_op 0
		.amdhsa_exception_fp_denorm_src 0
		.amdhsa_exception_fp_ieee_div_zero 0
		.amdhsa_exception_fp_ieee_overflow 0
		.amdhsa_exception_fp_ieee_underflow 0
		.amdhsa_exception_fp_ieee_inexact 0
		.amdhsa_exception_int_div_zero 0
	.end_amdhsa_kernel
	.section	.text._ZN9rocsparseL35bsr2csr_block_per_row_33_256_kernelILj1024ELj64ELj32E21rocsparse_complex_numIfEiiEEv20rocsparse_direction_T4_S4_21rocsparse_index_base_PKT2_PKT3_PKS4_S4_S5_PS6_PS9_PS4_,"axG",@progbits,_ZN9rocsparseL35bsr2csr_block_per_row_33_256_kernelILj1024ELj64ELj32E21rocsparse_complex_numIfEiiEEv20rocsparse_direction_T4_S4_21rocsparse_index_base_PKT2_PKT3_PKS4_S4_S5_PS6_PS9_PS4_,comdat
.Lfunc_end166:
	.size	_ZN9rocsparseL35bsr2csr_block_per_row_33_256_kernelILj1024ELj64ELj32E21rocsparse_complex_numIfEiiEEv20rocsparse_direction_T4_S4_21rocsparse_index_base_PKT2_PKT3_PKS4_S4_S5_PS6_PS9_PS4_, .Lfunc_end166-_ZN9rocsparseL35bsr2csr_block_per_row_33_256_kernelILj1024ELj64ELj32E21rocsparse_complex_numIfEiiEEv20rocsparse_direction_T4_S4_21rocsparse_index_base_PKT2_PKT3_PKS4_S4_S5_PS6_PS9_PS4_
                                        ; -- End function
	.section	.AMDGPU.csdata,"",@progbits
; Kernel info:
; codeLenInByte = 1228
; NumSgprs: 34
; NumVgprs: 20
; NumAgprs: 0
; TotalNumVgprs: 20
; ScratchSize: 0
; MemoryBound: 0
; FloatMode: 240
; IeeeMode: 1
; LDSByteSize: 0 bytes/workgroup (compile time only)
; SGPRBlocks: 4
; VGPRBlocks: 2
; NumSGPRsForWavesPerEU: 34
; NumVGPRsForWavesPerEU: 20
; AccumOffset: 20
; Occupancy: 8
; WaveLimiterHint : 1
; COMPUTE_PGM_RSRC2:SCRATCH_EN: 0
; COMPUTE_PGM_RSRC2:USER_SGPR: 6
; COMPUTE_PGM_RSRC2:TRAP_HANDLER: 0
; COMPUTE_PGM_RSRC2:TGID_X_EN: 1
; COMPUTE_PGM_RSRC2:TGID_Y_EN: 0
; COMPUTE_PGM_RSRC2:TGID_Z_EN: 0
; COMPUTE_PGM_RSRC2:TIDIG_COMP_CNT: 0
; COMPUTE_PGM_RSRC3_GFX90A:ACCUM_OFFSET: 4
; COMPUTE_PGM_RSRC3_GFX90A:TG_SPLIT: 0
	.section	.text._ZN9rocsparseL35bsr2csr_block_per_row_33_256_kernelILj1024ELj128ELj32E21rocsparse_complex_numIfEiiEEv20rocsparse_direction_T4_S4_21rocsparse_index_base_PKT2_PKT3_PKS4_S4_S5_PS6_PS9_PS4_,"axG",@progbits,_ZN9rocsparseL35bsr2csr_block_per_row_33_256_kernelILj1024ELj128ELj32E21rocsparse_complex_numIfEiiEEv20rocsparse_direction_T4_S4_21rocsparse_index_base_PKT2_PKT3_PKS4_S4_S5_PS6_PS9_PS4_,comdat
	.globl	_ZN9rocsparseL35bsr2csr_block_per_row_33_256_kernelILj1024ELj128ELj32E21rocsparse_complex_numIfEiiEEv20rocsparse_direction_T4_S4_21rocsparse_index_base_PKT2_PKT3_PKS4_S4_S5_PS6_PS9_PS4_ ; -- Begin function _ZN9rocsparseL35bsr2csr_block_per_row_33_256_kernelILj1024ELj128ELj32E21rocsparse_complex_numIfEiiEEv20rocsparse_direction_T4_S4_21rocsparse_index_base_PKT2_PKT3_PKS4_S4_S5_PS6_PS9_PS4_
	.p2align	8
	.type	_ZN9rocsparseL35bsr2csr_block_per_row_33_256_kernelILj1024ELj128ELj32E21rocsparse_complex_numIfEiiEEv20rocsparse_direction_T4_S4_21rocsparse_index_base_PKT2_PKT3_PKS4_S4_S5_PS6_PS9_PS4_,@function
_ZN9rocsparseL35bsr2csr_block_per_row_33_256_kernelILj1024ELj128ELj32E21rocsparse_complex_numIfEiiEEv20rocsparse_direction_T4_S4_21rocsparse_index_base_PKT2_PKT3_PKS4_S4_S5_PS6_PS9_PS4_: ; @_ZN9rocsparseL35bsr2csr_block_per_row_33_256_kernelILj1024ELj128ELj32E21rocsparse_complex_numIfEiiEEv20rocsparse_direction_T4_S4_21rocsparse_index_base_PKT2_PKT3_PKS4_S4_S5_PS6_PS9_PS4_
; %bb.0:
	s_load_dwordx2 s[0:1], s[4:5], 0x18
	s_load_dwordx2 s[16:17], s[4:5], 0x28
	;; [unrolled: 1-line block ×3, first 2 shown]
	s_ashr_i32 s7, s6, 31
	s_lshl_b64 s[8:9], s[6:7], 2
	s_waitcnt lgkmcnt(0)
	s_add_u32 s0, s0, s8
	s_addc_u32 s1, s1, s9
	s_load_dwordx2 s[48:49], s[0:1], 0x0
	v_or_b32_e32 v1, s6, v0
	v_cmp_eq_u32_e32 vcc, 0, v1
	s_and_saveexec_b64 s[0:1], vcc
	s_cbranch_execz .LBB167_2
; %bb.1:
	v_mov_b32_e32 v1, 0
	v_mov_b32_e32 v2, s17
	global_store_dword v1, v2, s[2:3]
.LBB167_2:
	s_or_b64 exec, exec, s[0:1]
	s_load_dword s33, s[4:5], 0xc
	v_lshrrev_b32_e32 v6, 5, v0
	s_mul_i32 s13, s6, s16
	s_waitcnt lgkmcnt(0)
	s_sub_i32 s18, s48, s33
	s_sub_i32 s50, s49, s33
	s_mul_i32 s19, s18, s16
	s_sub_i32 s12, s50, s18
	s_mul_i32 s0, s19, s16
	s_mul_i32 s14, s12, s16
	s_add_i32 s15, s0, s17
	s_add_i32 s15, s15, s14
	v_cmp_gt_i32_e64 s[0:1], s16, v6
	s_and_saveexec_b64 s[6:7], s[0:1]
	s_cbranch_execz .LBB167_4
; %bb.3:
	v_add_u32_e32 v2, s13, v6
	v_ashrrev_i32_e32 v3, 31, v2
	v_lshlrev_b64 v[2:3], 2, v[2:3]
	v_mul_lo_u32 v1, v6, s14
	v_mov_b32_e32 v4, s3
	v_add_co_u32_e32 v2, vcc, s2, v2
	v_add_u32_e32 v1, s15, v1
	v_addc_co_u32_e32 v3, vcc, v4, v3, vcc
	global_store_dword v[2:3], v1, off offset:4
.LBB167_4:
	s_or_b64 exec, exec, s[6:7]
	s_add_u32 s20, s2, 4
	v_or_b32_e32 v1, 32, v6
	s_addc_u32 s21, s3, 0
	v_cmp_gt_i32_e64 s[2:3], s16, v1
	s_and_saveexec_b64 s[6:7], s[2:3]
	s_cbranch_execz .LBB167_6
; %bb.5:
	s_ashr_i32 s8, s13, 31
	v_mov_b32_e32 v3, s8
	v_add_co_u32_e32 v2, vcc, s13, v6
	v_addc_co_u32_e32 v3, vcc, 0, v3, vcc
	v_lshlrev_b64 v[2:3], 2, v[2:3]
	v_mul_lo_u32 v1, v1, s14
	v_mov_b32_e32 v4, s21
	v_add_co_u32_e32 v2, vcc, s20, v2
	v_add_u32_e32 v1, s15, v1
	v_addc_co_u32_e32 v3, vcc, v4, v3, vcc
	global_store_dword v[2:3], v1, off offset:128
.LBB167_6:
	s_or_b64 exec, exec, s[6:7]
	v_or_b32_e32 v1, 64, v6
	v_cmp_gt_i32_e64 s[6:7], s16, v1
	s_and_saveexec_b64 s[8:9], s[6:7]
	s_cbranch_execz .LBB167_8
; %bb.7:
	s_ashr_i32 s10, s13, 31
	v_mov_b32_e32 v3, s10
	v_add_co_u32_e32 v2, vcc, s13, v6
	v_addc_co_u32_e32 v3, vcc, 0, v3, vcc
	v_lshlrev_b64 v[2:3], 2, v[2:3]
	v_mul_lo_u32 v1, v1, s14
	v_mov_b32_e32 v4, s21
	v_add_co_u32_e32 v2, vcc, s20, v2
	v_add_u32_e32 v1, s15, v1
	v_addc_co_u32_e32 v3, vcc, v4, v3, vcc
	global_store_dword v[2:3], v1, off offset:256
.LBB167_8:
	s_or_b64 exec, exec, s[8:9]
	v_or_b32_e32 v1, 0x60, v6
	v_cmp_gt_i32_e64 s[8:9], s16, v1
	s_and_saveexec_b64 s[10:11], s[8:9]
	s_cbranch_execz .LBB167_10
; %bb.9:
	v_mul_lo_u32 v1, v1, s14
	s_ashr_i32 s14, s13, 31
	v_mov_b32_e32 v3, s14
	v_add_co_u32_e32 v2, vcc, s13, v6
	v_addc_co_u32_e32 v3, vcc, 0, v3, vcc
	v_lshlrev_b64 v[2:3], 2, v[2:3]
	v_mov_b32_e32 v4, s21
	v_add_co_u32_e32 v2, vcc, s20, v2
	v_add_u32_e32 v1, s15, v1
	v_addc_co_u32_e32 v3, vcc, v4, v3, vcc
	global_store_dword v[2:3], v1, off offset:384
.LBB167_10:
	s_or_b64 exec, exec, s[10:11]
	s_cmp_lt_i32 s48, s49
	s_cbranch_scc0 .LBB167_45
; %bb.11:
	s_load_dwordx2 s[54:55], s[4:5], 0x20
	s_load_dwordx2 s[20:21], s[4:5], 0x30
	;; [unrolled: 1-line block ×3, first 2 shown]
	s_load_dword s10, s[4:5], 0x0
	s_load_dwordx2 s[24:25], s[4:5], 0x40
	v_and_b32_e32 v8, 31, v0
	v_add_u32_e32 v0, s19, v6
	v_add_u32_e32 v1, 32, v0
	v_or_b32_e32 v9, 32, v8
	v_or_b32_e32 v10, 64, v8
	;; [unrolled: 1-line block ×3, first 2 shown]
	v_mul_lo_u32 v12, s16, v1
	v_add_u32_e32 v1, 64, v0
	v_add_u32_e32 v7, s19, v8
	s_waitcnt lgkmcnt(0)
	s_cmp_eq_u32 s10, 0
	v_mul_lo_u32 v16, v6, s12
	v_cmp_gt_i32_e64 s[4:5], s16, v8
	v_cmp_gt_i32_e64 s[10:11], s16, v9
	;; [unrolled: 1-line block ×4, first 2 shown]
	v_mul_lo_u32 v13, s16, v1
	v_add_u32_e32 v1, 0x60, v0
	v_mul_lo_u32 v15, s16, v0
	v_add_u32_e32 v0, 0x60, v7
	s_cselect_b64 vcc, -1, 0
	s_and_b64 s[26:27], s[0:1], s[4:5]
	s_and_b64 s[28:29], s[0:1], s[10:11]
	;; [unrolled: 1-line block ×4, first 2 shown]
	v_mul_lo_u32 v14, s16, v1
	v_mad_u64_u32 v[0:1], s[0:1], s16, v0, v[6:7]
	v_add_u32_e32 v1, 64, v7
	v_mad_u64_u32 v[2:3], s[0:1], s16, v1, v[6:7]
	v_add_u32_e32 v1, 32, v7
	v_mad_u64_u32 v[4:5], s[0:1], s16, v1, v[6:7]
	v_mad_u64_u32 v[6:7], s[0:1], s16, v7, v[6:7]
	v_add_u32_e32 v7, s19, v16
	v_lshl_add_u32 v1, s49, 5, v7
	s_lshl_b32 s0, s48, 5
	v_subrev_u32_e32 v1, s0, v1
	v_lshl_add_u32 v3, s49, 6, v7
	s_lshl_b32 s0, s48, 6
	v_subrev_u32_e32 v3, s0, v3
	s_mul_i32 s0, s49, 0x60
	v_add_u32_e32 v5, s0, v7
	s_mul_i32 s0, s48, 0x60
	s_ashr_i32 s19, s18, 31
	s_and_b64 s[36:37], s[2:3], s[4:5]
	s_and_b64 s[38:39], s[2:3], s[10:11]
	;; [unrolled: 1-line block ×12, first 2 shown]
	v_subrev_u32_e32 v5, s0, v5
	s_lshl_b64 s[0:1], s[18:19], 2
	s_add_u32 s14, s54, s0
	s_mul_i32 s51, s16, s16
	s_mov_b32 s52, 0
	s_movk_i32 s53, 0x60
	v_mul_lo_u32 v1, s16, v1
	v_mul_lo_u32 v3, s16, v3
	;; [unrolled: 1-line block ×4, first 2 shown]
	s_addc_u32 s15, s55, s1
	s_branch .LBB167_13
.LBB167_12:                             ;   in Loop: Header=BB167_13 Depth=1
	s_or_b64 exec, exec, s[48:49]
	s_add_i32 s18, s18, 1
	s_add_i32 s52, s52, s51
	s_add_u32 s14, s14, 4
	s_addc_u32 s15, s15, 0
	v_add_u32_e32 v12, s51, v12
	v_add_u32_e32 v13, s51, v13
	;; [unrolled: 1-line block ×7, first 2 shown]
	s_cmp_ge_i32 s18, s50
	v_add_u32_e32 v7, s16, v7
	s_cbranch_scc1 .LBB167_45
.LBB167_13:                             ; =>This Inner Loop Header: Depth=1
	s_load_dword s0, s[14:15], 0x0
	v_add_u32_e32 v20, s52, v6
	s_waitcnt lgkmcnt(0)
	s_sub_i32 s0, s0, s33
	s_mul_i32 s19, s0, s16
	s_add_i32 s19, s19, s17
	v_add_u32_e32 v16, s19, v8
	s_and_saveexec_b64 s[48:49], s[26:27]
	s_cbranch_execz .LBB167_15
; %bb.14:                               ;   in Loop: Header=BB167_13 Depth=1
	v_add_u32_e32 v17, v8, v15
	v_cndmask_b32_e32 v18, v20, v17, vcc
	v_ashrrev_i32_e32 v19, 31, v18
	v_lshlrev_b64 v[18:19], 3, v[18:19]
	v_mov_b32_e32 v17, s23
	v_add_co_u32_e64 v18, s[0:1], s22, v18
	v_addc_co_u32_e64 v19, s[0:1], v17, v19, s[0:1]
	global_load_dwordx2 v[18:19], v[18:19], off
	v_add_u32_e32 v22, v8, v7
	v_ashrrev_i32_e32 v23, 31, v22
	v_lshlrev_b64 v[24:25], 2, v[22:23]
	v_mov_b32_e32 v17, s25
	v_add_co_u32_e64 v24, s[0:1], s24, v24
	v_addc_co_u32_e64 v25, s[0:1], v17, v25, s[0:1]
	v_lshlrev_b64 v[22:23], 3, v[22:23]
	v_mov_b32_e32 v17, s21
	v_add_co_u32_e64 v22, s[0:1], s20, v22
	v_addc_co_u32_e64 v23, s[0:1], v17, v23, s[0:1]
	global_store_dword v[24:25], v16, off
	s_waitcnt vmcnt(1)
	global_store_dwordx2 v[22:23], v[18:19], off
.LBB167_15:                             ;   in Loop: Header=BB167_13 Depth=1
	s_or_b64 exec, exec, s[48:49]
	v_add_u32_e32 v17, s19, v9
	v_add_u32_e32 v21, s52, v4
	s_and_saveexec_b64 s[48:49], s[28:29]
	s_cbranch_execz .LBB167_17
; %bb.16:                               ;   in Loop: Header=BB167_13 Depth=1
	v_add3_u32 v18, v8, v15, 32
	v_cndmask_b32_e32 v18, v21, v18, vcc
	v_ashrrev_i32_e32 v19, 31, v18
	v_lshlrev_b64 v[18:19], 3, v[18:19]
	v_mov_b32_e32 v22, s23
	v_add_co_u32_e64 v18, s[0:1], s22, v18
	v_addc_co_u32_e64 v19, s[0:1], v22, v19, s[0:1]
	global_load_dwordx2 v[18:19], v[18:19], off
	v_add3_u32 v22, v8, v7, 32
	v_ashrrev_i32_e32 v23, 31, v22
	v_lshlrev_b64 v[24:25], 2, v[22:23]
	v_mov_b32_e32 v26, s25
	v_add_co_u32_e64 v24, s[0:1], s24, v24
	v_addc_co_u32_e64 v25, s[0:1], v26, v25, s[0:1]
	v_lshlrev_b64 v[22:23], 3, v[22:23]
	global_store_dword v[24:25], v17, off
	v_mov_b32_e32 v24, s21
	v_add_co_u32_e64 v22, s[0:1], s20, v22
	v_addc_co_u32_e64 v23, s[0:1], v24, v23, s[0:1]
	s_waitcnt vmcnt(1)
	global_store_dwordx2 v[22:23], v[18:19], off
.LBB167_17:                             ;   in Loop: Header=BB167_13 Depth=1
	s_or_b64 exec, exec, s[48:49]
	v_add_u32_e32 v18, s19, v10
	v_add_u32_e32 v22, s52, v2
	s_and_saveexec_b64 s[48:49], s[30:31]
	s_cbranch_execz .LBB167_19
; %bb.18:                               ;   in Loop: Header=BB167_13 Depth=1
	v_add3_u32 v19, v8, v15, 64
	v_cndmask_b32_e32 v24, v22, v19, vcc
	v_ashrrev_i32_e32 v25, 31, v24
	v_lshlrev_b64 v[24:25], 3, v[24:25]
	v_mov_b32_e32 v19, s23
	v_add_co_u32_e64 v24, s[0:1], s22, v24
	v_addc_co_u32_e64 v25, s[0:1], v19, v25, s[0:1]
	global_load_dwordx2 v[24:25], v[24:25], off
	v_add3_u32 v26, v8, v7, 64
	v_ashrrev_i32_e32 v27, 31, v26
	v_lshlrev_b64 v[28:29], 2, v[26:27]
	v_mov_b32_e32 v19, s25
	v_add_co_u32_e64 v28, s[0:1], s24, v28
	v_addc_co_u32_e64 v29, s[0:1], v19, v29, s[0:1]
	v_lshlrev_b64 v[26:27], 3, v[26:27]
	v_mov_b32_e32 v19, s21
	v_add_co_u32_e64 v26, s[0:1], s20, v26
	v_addc_co_u32_e64 v27, s[0:1], v19, v27, s[0:1]
	global_store_dword v[28:29], v18, off
	s_waitcnt vmcnt(1)
	global_store_dwordx2 v[26:27], v[24:25], off
.LBB167_19:                             ;   in Loop: Header=BB167_13 Depth=1
	s_or_b64 exec, exec, s[48:49]
	v_add_u32_e32 v19, s19, v11
	v_add_u32_e32 v23, s52, v0
	s_and_saveexec_b64 s[48:49], s[34:35]
	s_cbranch_execnz .LBB167_32
; %bb.20:                               ;   in Loop: Header=BB167_13 Depth=1
	s_or_b64 exec, exec, s[48:49]
	v_add_u32_e32 v24, v8, v12
	s_and_saveexec_b64 s[48:49], s[36:37]
	s_cbranch_execnz .LBB167_33
.LBB167_21:                             ;   in Loop: Header=BB167_13 Depth=1
	s_or_b64 exec, exec, s[48:49]
	s_and_saveexec_b64 s[48:49], s[38:39]
	s_cbranch_execnz .LBB167_34
.LBB167_22:                             ;   in Loop: Header=BB167_13 Depth=1
	s_or_b64 exec, exec, s[48:49]
	s_and_saveexec_b64 s[48:49], s[40:41]
	s_cbranch_execnz .LBB167_35
.LBB167_23:                             ;   in Loop: Header=BB167_13 Depth=1
	s_or_b64 exec, exec, s[48:49]
	s_and_saveexec_b64 s[48:49], s[2:3]
	s_cbranch_execnz .LBB167_36
.LBB167_24:                             ;   in Loop: Header=BB167_13 Depth=1
	s_or_b64 exec, exec, s[48:49]
	v_add_u32_e32 v24, v8, v13
	s_and_saveexec_b64 s[48:49], s[42:43]
	s_cbranch_execnz .LBB167_37
.LBB167_25:                             ;   in Loop: Header=BB167_13 Depth=1
	s_or_b64 exec, exec, s[48:49]
	s_and_saveexec_b64 s[48:49], s[44:45]
	s_cbranch_execnz .LBB167_38
.LBB167_26:                             ;   in Loop: Header=BB167_13 Depth=1
	s_or_b64 exec, exec, s[48:49]
	s_and_saveexec_b64 s[48:49], s[46:47]
	s_cbranch_execnz .LBB167_39
.LBB167_27:                             ;   in Loop: Header=BB167_13 Depth=1
	s_or_b64 exec, exec, s[48:49]
	s_and_saveexec_b64 s[48:49], s[6:7]
	s_cbranch_execnz .LBB167_40
.LBB167_28:                             ;   in Loop: Header=BB167_13 Depth=1
	s_or_b64 exec, exec, s[48:49]
	v_add_u32_e32 v24, v8, v14
	s_and_saveexec_b64 s[48:49], s[4:5]
	s_cbranch_execnz .LBB167_41
.LBB167_29:                             ;   in Loop: Header=BB167_13 Depth=1
	s_or_b64 exec, exec, s[48:49]
	s_and_saveexec_b64 s[48:49], s[10:11]
	s_cbranch_execnz .LBB167_42
.LBB167_30:                             ;   in Loop: Header=BB167_13 Depth=1
	s_or_b64 exec, exec, s[48:49]
	s_and_saveexec_b64 s[48:49], s[12:13]
	s_cbranch_execnz .LBB167_43
.LBB167_31:                             ;   in Loop: Header=BB167_13 Depth=1
	s_or_b64 exec, exec, s[48:49]
	s_and_saveexec_b64 s[48:49], s[8:9]
	s_cbranch_execz .LBB167_12
	s_branch .LBB167_44
.LBB167_32:                             ;   in Loop: Header=BB167_13 Depth=1
	v_add3_u32 v24, v8, v15, s53
	v_cndmask_b32_e32 v24, v23, v24, vcc
	v_ashrrev_i32_e32 v25, 31, v24
	v_lshlrev_b64 v[24:25], 3, v[24:25]
	v_mov_b32_e32 v26, s23
	v_add_co_u32_e64 v24, s[0:1], s22, v24
	v_addc_co_u32_e64 v25, s[0:1], v26, v25, s[0:1]
	global_load_dwordx2 v[24:25], v[24:25], off
	v_add3_u32 v26, v8, v7, s53
	v_ashrrev_i32_e32 v27, 31, v26
	v_lshlrev_b64 v[28:29], 2, v[26:27]
	v_mov_b32_e32 v30, s25
	v_add_co_u32_e64 v28, s[0:1], s24, v28
	v_addc_co_u32_e64 v29, s[0:1], v30, v29, s[0:1]
	v_lshlrev_b64 v[26:27], 3, v[26:27]
	global_store_dword v[28:29], v19, off
	v_mov_b32_e32 v28, s21
	v_add_co_u32_e64 v26, s[0:1], s20, v26
	v_addc_co_u32_e64 v27, s[0:1], v28, v27, s[0:1]
	s_waitcnt vmcnt(1)
	global_store_dwordx2 v[26:27], v[24:25], off
	s_or_b64 exec, exec, s[48:49]
	v_add_u32_e32 v24, v8, v12
	s_and_saveexec_b64 s[48:49], s[36:37]
	s_cbranch_execz .LBB167_21
.LBB167_33:                             ;   in Loop: Header=BB167_13 Depth=1
	v_add3_u32 v25, v6, s52, 32
	v_cndmask_b32_e32 v26, v25, v24, vcc
	v_ashrrev_i32_e32 v27, 31, v26
	v_lshlrev_b64 v[26:27], 3, v[26:27]
	v_mov_b32_e32 v25, s23
	v_add_co_u32_e64 v26, s[0:1], s22, v26
	v_addc_co_u32_e64 v27, s[0:1], v25, v27, s[0:1]
	global_load_dwordx2 v[26:27], v[26:27], off
	v_add_u32_e32 v28, v8, v1
	v_ashrrev_i32_e32 v29, 31, v28
	v_lshlrev_b64 v[30:31], 2, v[28:29]
	v_mov_b32_e32 v25, s25
	v_add_co_u32_e64 v30, s[0:1], s24, v30
	v_addc_co_u32_e64 v31, s[0:1], v25, v31, s[0:1]
	v_lshlrev_b64 v[28:29], 3, v[28:29]
	v_mov_b32_e32 v25, s21
	v_add_co_u32_e64 v28, s[0:1], s20, v28
	v_addc_co_u32_e64 v29, s[0:1], v25, v29, s[0:1]
	global_store_dword v[30:31], v16, off
	s_waitcnt vmcnt(1)
	global_store_dwordx2 v[28:29], v[26:27], off
	s_or_b64 exec, exec, s[48:49]
	s_and_saveexec_b64 s[48:49], s[38:39]
	s_cbranch_execz .LBB167_22
.LBB167_34:                             ;   in Loop: Header=BB167_13 Depth=1
	v_cndmask_b32_e32 v24, v21, v24, vcc
	v_add_u32_e32 v24, 32, v24
	v_ashrrev_i32_e32 v25, 31, v24
	v_lshlrev_b64 v[24:25], 3, v[24:25]
	v_mov_b32_e32 v26, s23
	v_add_co_u32_e64 v24, s[0:1], s22, v24
	v_addc_co_u32_e64 v25, s[0:1], v26, v25, s[0:1]
	global_load_dwordx2 v[24:25], v[24:25], off
	v_add3_u32 v26, v8, v1, 32
	v_ashrrev_i32_e32 v27, 31, v26
	v_lshlrev_b64 v[28:29], 2, v[26:27]
	v_mov_b32_e32 v30, s25
	v_add_co_u32_e64 v28, s[0:1], s24, v28
	v_addc_co_u32_e64 v29, s[0:1], v30, v29, s[0:1]
	v_lshlrev_b64 v[26:27], 3, v[26:27]
	global_store_dword v[28:29], v17, off
	v_mov_b32_e32 v28, s21
	v_add_co_u32_e64 v26, s[0:1], s20, v26
	v_addc_co_u32_e64 v27, s[0:1], v28, v27, s[0:1]
	s_waitcnt vmcnt(1)
	global_store_dwordx2 v[26:27], v[24:25], off
	s_or_b64 exec, exec, s[48:49]
	s_and_saveexec_b64 s[48:49], s[40:41]
	s_cbranch_execz .LBB167_23
.LBB167_35:                             ;   in Loop: Header=BB167_13 Depth=1
	v_add3_u32 v24, v8, v12, 64
	v_add3_u32 v25, v2, s52, 32
	v_cndmask_b32_e32 v24, v25, v24, vcc
	v_ashrrev_i32_e32 v25, 31, v24
	v_lshlrev_b64 v[24:25], 3, v[24:25]
	v_mov_b32_e32 v26, s23
	v_add_co_u32_e64 v24, s[0:1], s22, v24
	v_addc_co_u32_e64 v25, s[0:1], v26, v25, s[0:1]
	global_load_dwordx2 v[24:25], v[24:25], off
	v_add3_u32 v26, v8, v1, 64
	v_ashrrev_i32_e32 v27, 31, v26
	v_lshlrev_b64 v[28:29], 2, v[26:27]
	v_mov_b32_e32 v30, s25
	v_add_co_u32_e64 v28, s[0:1], s24, v28
	v_addc_co_u32_e64 v29, s[0:1], v30, v29, s[0:1]
	v_lshlrev_b64 v[26:27], 3, v[26:27]
	global_store_dword v[28:29], v18, off
	v_mov_b32_e32 v28, s21
	v_add_co_u32_e64 v26, s[0:1], s20, v26
	v_addc_co_u32_e64 v27, s[0:1], v28, v27, s[0:1]
	s_waitcnt vmcnt(1)
	global_store_dwordx2 v[26:27], v[24:25], off
	s_or_b64 exec, exec, s[48:49]
	s_and_saveexec_b64 s[48:49], s[2:3]
	s_cbranch_execz .LBB167_24
.LBB167_36:                             ;   in Loop: Header=BB167_13 Depth=1
	v_add3_u32 v24, v8, v12, s53
	v_add3_u32 v25, v0, s52, 32
	v_cndmask_b32_e32 v24, v25, v24, vcc
	v_ashrrev_i32_e32 v25, 31, v24
	v_lshlrev_b64 v[24:25], 3, v[24:25]
	v_mov_b32_e32 v26, s23
	v_add_co_u32_e64 v24, s[0:1], s22, v24
	v_addc_co_u32_e64 v25, s[0:1], v26, v25, s[0:1]
	global_load_dwordx2 v[24:25], v[24:25], off
	v_add3_u32 v26, v8, v1, s53
	v_ashrrev_i32_e32 v27, 31, v26
	v_lshlrev_b64 v[28:29], 2, v[26:27]
	v_mov_b32_e32 v30, s25
	v_add_co_u32_e64 v28, s[0:1], s24, v28
	v_addc_co_u32_e64 v29, s[0:1], v30, v29, s[0:1]
	v_lshlrev_b64 v[26:27], 3, v[26:27]
	global_store_dword v[28:29], v19, off
	v_mov_b32_e32 v28, s21
	v_add_co_u32_e64 v26, s[0:1], s20, v26
	v_addc_co_u32_e64 v27, s[0:1], v28, v27, s[0:1]
	s_waitcnt vmcnt(1)
	global_store_dwordx2 v[26:27], v[24:25], off
	s_or_b64 exec, exec, s[48:49]
	v_add_u32_e32 v24, v8, v13
	s_and_saveexec_b64 s[48:49], s[42:43]
	s_cbranch_execz .LBB167_25
.LBB167_37:                             ;   in Loop: Header=BB167_13 Depth=1
	v_add3_u32 v25, v6, s52, 64
	v_cndmask_b32_e32 v26, v25, v24, vcc
	v_ashrrev_i32_e32 v27, 31, v26
	v_lshlrev_b64 v[26:27], 3, v[26:27]
	v_mov_b32_e32 v25, s23
	v_add_co_u32_e64 v26, s[0:1], s22, v26
	v_addc_co_u32_e64 v27, s[0:1], v25, v27, s[0:1]
	global_load_dwordx2 v[26:27], v[26:27], off
	v_add_u32_e32 v28, v8, v3
	v_ashrrev_i32_e32 v29, 31, v28
	v_lshlrev_b64 v[30:31], 2, v[28:29]
	v_mov_b32_e32 v25, s25
	v_add_co_u32_e64 v30, s[0:1], s24, v30
	v_addc_co_u32_e64 v31, s[0:1], v25, v31, s[0:1]
	v_lshlrev_b64 v[28:29], 3, v[28:29]
	v_mov_b32_e32 v25, s21
	v_add_co_u32_e64 v28, s[0:1], s20, v28
	v_addc_co_u32_e64 v29, s[0:1], v25, v29, s[0:1]
	global_store_dword v[30:31], v16, off
	s_waitcnt vmcnt(1)
	global_store_dwordx2 v[28:29], v[26:27], off
	s_or_b64 exec, exec, s[48:49]
	s_and_saveexec_b64 s[48:49], s[44:45]
	s_cbranch_execz .LBB167_26
.LBB167_38:                             ;   in Loop: Header=BB167_13 Depth=1
	v_add3_u32 v25, v8, v13, 32
	v_add3_u32 v26, v4, s52, 64
	v_cndmask_b32_e32 v26, v26, v25, vcc
	v_ashrrev_i32_e32 v27, 31, v26
	v_lshlrev_b64 v[26:27], 3, v[26:27]
	v_mov_b32_e32 v25, s23
	v_add_co_u32_e64 v26, s[0:1], s22, v26
	v_addc_co_u32_e64 v27, s[0:1], v25, v27, s[0:1]
	global_load_dwordx2 v[26:27], v[26:27], off
	v_add3_u32 v28, v8, v3, 32
	v_ashrrev_i32_e32 v29, 31, v28
	v_lshlrev_b64 v[30:31], 2, v[28:29]
	v_mov_b32_e32 v25, s25
	v_add_co_u32_e64 v30, s[0:1], s24, v30
	v_addc_co_u32_e64 v31, s[0:1], v25, v31, s[0:1]
	v_lshlrev_b64 v[28:29], 3, v[28:29]
	v_mov_b32_e32 v25, s21
	v_add_co_u32_e64 v28, s[0:1], s20, v28
	v_addc_co_u32_e64 v29, s[0:1], v25, v29, s[0:1]
	global_store_dword v[30:31], v17, off
	s_waitcnt vmcnt(1)
	global_store_dwordx2 v[28:29], v[26:27], off
	s_or_b64 exec, exec, s[48:49]
	s_and_saveexec_b64 s[48:49], s[46:47]
	s_cbranch_execz .LBB167_27
.LBB167_39:                             ;   in Loop: Header=BB167_13 Depth=1
	v_cndmask_b32_e32 v24, v22, v24, vcc
	v_add_u32_e32 v24, 64, v24
	v_ashrrev_i32_e32 v25, 31, v24
	v_lshlrev_b64 v[24:25], 3, v[24:25]
	v_mov_b32_e32 v26, s23
	v_add_co_u32_e64 v24, s[0:1], s22, v24
	v_addc_co_u32_e64 v25, s[0:1], v26, v25, s[0:1]
	global_load_dwordx2 v[24:25], v[24:25], off
	v_add3_u32 v26, v8, v3, 64
	v_ashrrev_i32_e32 v27, 31, v26
	v_lshlrev_b64 v[28:29], 2, v[26:27]
	v_mov_b32_e32 v30, s25
	v_add_co_u32_e64 v28, s[0:1], s24, v28
	v_addc_co_u32_e64 v29, s[0:1], v30, v29, s[0:1]
	v_lshlrev_b64 v[26:27], 3, v[26:27]
	global_store_dword v[28:29], v18, off
	v_mov_b32_e32 v28, s21
	v_add_co_u32_e64 v26, s[0:1], s20, v26
	v_addc_co_u32_e64 v27, s[0:1], v28, v27, s[0:1]
	s_waitcnt vmcnt(1)
	global_store_dwordx2 v[26:27], v[24:25], off
	s_or_b64 exec, exec, s[48:49]
	s_and_saveexec_b64 s[48:49], s[6:7]
	s_cbranch_execz .LBB167_28
.LBB167_40:                             ;   in Loop: Header=BB167_13 Depth=1
	v_add3_u32 v24, v8, v13, s53
	v_add3_u32 v25, v0, s52, 64
	v_cndmask_b32_e32 v24, v25, v24, vcc
	v_ashrrev_i32_e32 v25, 31, v24
	v_lshlrev_b64 v[24:25], 3, v[24:25]
	v_mov_b32_e32 v26, s23
	v_add_co_u32_e64 v24, s[0:1], s22, v24
	v_addc_co_u32_e64 v25, s[0:1], v26, v25, s[0:1]
	global_load_dwordx2 v[24:25], v[24:25], off
	v_add3_u32 v26, v8, v3, s53
	v_ashrrev_i32_e32 v27, 31, v26
	v_lshlrev_b64 v[28:29], 2, v[26:27]
	v_mov_b32_e32 v30, s25
	v_add_co_u32_e64 v28, s[0:1], s24, v28
	v_addc_co_u32_e64 v29, s[0:1], v30, v29, s[0:1]
	v_lshlrev_b64 v[26:27], 3, v[26:27]
	global_store_dword v[28:29], v19, off
	v_mov_b32_e32 v28, s21
	v_add_co_u32_e64 v26, s[0:1], s20, v26
	v_addc_co_u32_e64 v27, s[0:1], v28, v27, s[0:1]
	s_waitcnt vmcnt(1)
	global_store_dwordx2 v[26:27], v[24:25], off
	s_or_b64 exec, exec, s[48:49]
	v_add_u32_e32 v24, v8, v14
	s_and_saveexec_b64 s[48:49], s[4:5]
	s_cbranch_execz .LBB167_29
.LBB167_41:                             ;   in Loop: Header=BB167_13 Depth=1
	v_add_u32_e32 v20, 0x60, v20
	v_cndmask_b32_e32 v26, v20, v24, vcc
	v_ashrrev_i32_e32 v27, 31, v26
	v_lshlrev_b64 v[26:27], 3, v[26:27]
	v_mov_b32_e32 v20, s23
	v_add_co_u32_e64 v26, s[0:1], s22, v26
	v_addc_co_u32_e64 v27, s[0:1], v20, v27, s[0:1]
	global_load_dwordx2 v[26:27], v[26:27], off
	v_add_u32_e32 v28, v8, v5
	v_ashrrev_i32_e32 v29, 31, v28
	v_lshlrev_b64 v[30:31], 2, v[28:29]
	v_mov_b32_e32 v20, s25
	v_add_co_u32_e64 v30, s[0:1], s24, v30
	v_addc_co_u32_e64 v31, s[0:1], v20, v31, s[0:1]
	v_lshlrev_b64 v[28:29], 3, v[28:29]
	global_store_dword v[30:31], v16, off
	v_mov_b32_e32 v16, s21
	v_add_co_u32_e64 v28, s[0:1], s20, v28
	v_addc_co_u32_e64 v29, s[0:1], v16, v29, s[0:1]
	s_waitcnt vmcnt(1)
	global_store_dwordx2 v[28:29], v[26:27], off
	s_or_b64 exec, exec, s[48:49]
	s_and_saveexec_b64 s[48:49], s[10:11]
	s_cbranch_execz .LBB167_30
.LBB167_42:                             ;   in Loop: Header=BB167_13 Depth=1
	v_add3_u32 v16, v8, v14, 32
	v_add_u32_e32 v20, 0x60, v21
	v_cndmask_b32_e32 v20, v20, v16, vcc
	v_ashrrev_i32_e32 v21, 31, v20
	v_lshlrev_b64 v[20:21], 3, v[20:21]
	v_mov_b32_e32 v16, s23
	v_add_co_u32_e64 v20, s[0:1], s22, v20
	v_addc_co_u32_e64 v21, s[0:1], v16, v21, s[0:1]
	global_load_dwordx2 v[20:21], v[20:21], off
	v_add3_u32 v26, v8, v5, 32
	v_ashrrev_i32_e32 v27, 31, v26
	v_lshlrev_b64 v[28:29], 2, v[26:27]
	v_mov_b32_e32 v16, s25
	v_add_co_u32_e64 v28, s[0:1], s24, v28
	v_addc_co_u32_e64 v29, s[0:1], v16, v29, s[0:1]
	global_store_dword v[28:29], v17, off
	v_lshlrev_b64 v[16:17], 3, v[26:27]
	v_mov_b32_e32 v25, s21
	v_add_co_u32_e64 v16, s[0:1], s20, v16
	v_addc_co_u32_e64 v17, s[0:1], v25, v17, s[0:1]
	s_waitcnt vmcnt(1)
	global_store_dwordx2 v[16:17], v[20:21], off
	s_or_b64 exec, exec, s[48:49]
	s_and_saveexec_b64 s[48:49], s[12:13]
	s_cbranch_execz .LBB167_31
.LBB167_43:                             ;   in Loop: Header=BB167_13 Depth=1
	v_add3_u32 v16, v8, v14, 64
	v_add_u32_e32 v17, 0x60, v22
	v_cndmask_b32_e32 v16, v17, v16, vcc
	v_ashrrev_i32_e32 v17, 31, v16
	v_lshlrev_b64 v[16:17], 3, v[16:17]
	v_mov_b32_e32 v20, s23
	v_add_co_u32_e64 v16, s[0:1], s22, v16
	v_addc_co_u32_e64 v17, s[0:1], v20, v17, s[0:1]
	global_load_dwordx2 v[16:17], v[16:17], off
	v_add3_u32 v20, v8, v5, 64
	v_ashrrev_i32_e32 v21, 31, v20
	v_lshlrev_b64 v[26:27], 2, v[20:21]
	v_mov_b32_e32 v22, s25
	v_add_co_u32_e64 v26, s[0:1], s24, v26
	v_addc_co_u32_e64 v27, s[0:1], v22, v27, s[0:1]
	v_lshlrev_b64 v[20:21], 3, v[20:21]
	global_store_dword v[26:27], v18, off
	v_mov_b32_e32 v18, s21
	v_add_co_u32_e64 v20, s[0:1], s20, v20
	v_addc_co_u32_e64 v21, s[0:1], v18, v21, s[0:1]
	s_waitcnt vmcnt(1)
	global_store_dwordx2 v[20:21], v[16:17], off
	s_or_b64 exec, exec, s[48:49]
	s_and_saveexec_b64 s[48:49], s[8:9]
	s_cbranch_execz .LBB167_12
.LBB167_44:                             ;   in Loop: Header=BB167_13 Depth=1
	v_cndmask_b32_e32 v16, v23, v24, vcc
	v_add_u32_e32 v16, 0x60, v16
	v_ashrrev_i32_e32 v17, 31, v16
	v_lshlrev_b64 v[16:17], 3, v[16:17]
	v_mov_b32_e32 v18, s23
	v_add_co_u32_e64 v16, s[0:1], s22, v16
	v_addc_co_u32_e64 v17, s[0:1], v18, v17, s[0:1]
	global_load_dwordx2 v[16:17], v[16:17], off
	v_add3_u32 v20, v8, v5, s53
	v_ashrrev_i32_e32 v21, 31, v20
	v_lshlrev_b64 v[22:23], 2, v[20:21]
	v_mov_b32_e32 v18, s25
	v_add_co_u32_e64 v22, s[0:1], s24, v22
	v_addc_co_u32_e64 v23, s[0:1], v18, v23, s[0:1]
	global_store_dword v[22:23], v19, off
	v_lshlrev_b64 v[18:19], 3, v[20:21]
	v_mov_b32_e32 v20, s21
	v_add_co_u32_e64 v18, s[0:1], s20, v18
	v_addc_co_u32_e64 v19, s[0:1], v20, v19, s[0:1]
	s_waitcnt vmcnt(1)
	global_store_dwordx2 v[18:19], v[16:17], off
	s_branch .LBB167_12
.LBB167_45:
	s_endpgm
	.section	.rodata,"a",@progbits
	.p2align	6, 0x0
	.amdhsa_kernel _ZN9rocsparseL35bsr2csr_block_per_row_33_256_kernelILj1024ELj128ELj32E21rocsparse_complex_numIfEiiEEv20rocsparse_direction_T4_S4_21rocsparse_index_base_PKT2_PKT3_PKS4_S4_S5_PS6_PS9_PS4_
		.amdhsa_group_segment_fixed_size 0
		.amdhsa_private_segment_fixed_size 0
		.amdhsa_kernarg_size 72
		.amdhsa_user_sgpr_count 6
		.amdhsa_user_sgpr_private_segment_buffer 1
		.amdhsa_user_sgpr_dispatch_ptr 0
		.amdhsa_user_sgpr_queue_ptr 0
		.amdhsa_user_sgpr_kernarg_segment_ptr 1
		.amdhsa_user_sgpr_dispatch_id 0
		.amdhsa_user_sgpr_flat_scratch_init 0
		.amdhsa_user_sgpr_kernarg_preload_length 0
		.amdhsa_user_sgpr_kernarg_preload_offset 0
		.amdhsa_user_sgpr_private_segment_size 0
		.amdhsa_uses_dynamic_stack 0
		.amdhsa_system_sgpr_private_segment_wavefront_offset 0
		.amdhsa_system_sgpr_workgroup_id_x 1
		.amdhsa_system_sgpr_workgroup_id_y 0
		.amdhsa_system_sgpr_workgroup_id_z 0
		.amdhsa_system_sgpr_workgroup_info 0
		.amdhsa_system_vgpr_workitem_id 0
		.amdhsa_next_free_vgpr 32
		.amdhsa_next_free_sgpr 56
		.amdhsa_accum_offset 32
		.amdhsa_reserve_vcc 1
		.amdhsa_reserve_flat_scratch 0
		.amdhsa_float_round_mode_32 0
		.amdhsa_float_round_mode_16_64 0
		.amdhsa_float_denorm_mode_32 3
		.amdhsa_float_denorm_mode_16_64 3
		.amdhsa_dx10_clamp 1
		.amdhsa_ieee_mode 1
		.amdhsa_fp16_overflow 0
		.amdhsa_tg_split 0
		.amdhsa_exception_fp_ieee_invalid_op 0
		.amdhsa_exception_fp_denorm_src 0
		.amdhsa_exception_fp_ieee_div_zero 0
		.amdhsa_exception_fp_ieee_overflow 0
		.amdhsa_exception_fp_ieee_underflow 0
		.amdhsa_exception_fp_ieee_inexact 0
		.amdhsa_exception_int_div_zero 0
	.end_amdhsa_kernel
	.section	.text._ZN9rocsparseL35bsr2csr_block_per_row_33_256_kernelILj1024ELj128ELj32E21rocsparse_complex_numIfEiiEEv20rocsparse_direction_T4_S4_21rocsparse_index_base_PKT2_PKT3_PKS4_S4_S5_PS6_PS9_PS4_,"axG",@progbits,_ZN9rocsparseL35bsr2csr_block_per_row_33_256_kernelILj1024ELj128ELj32E21rocsparse_complex_numIfEiiEEv20rocsparse_direction_T4_S4_21rocsparse_index_base_PKT2_PKT3_PKS4_S4_S5_PS6_PS9_PS4_,comdat
.Lfunc_end167:
	.size	_ZN9rocsparseL35bsr2csr_block_per_row_33_256_kernelILj1024ELj128ELj32E21rocsparse_complex_numIfEiiEEv20rocsparse_direction_T4_S4_21rocsparse_index_base_PKT2_PKT3_PKS4_S4_S5_PS6_PS9_PS4_, .Lfunc_end167-_ZN9rocsparseL35bsr2csr_block_per_row_33_256_kernelILj1024ELj128ELj32E21rocsparse_complex_numIfEiiEEv20rocsparse_direction_T4_S4_21rocsparse_index_base_PKT2_PKT3_PKS4_S4_S5_PS6_PS9_PS4_
                                        ; -- End function
	.section	.AMDGPU.csdata,"",@progbits
; Kernel info:
; codeLenInByte = 3616
; NumSgprs: 60
; NumVgprs: 32
; NumAgprs: 0
; TotalNumVgprs: 32
; ScratchSize: 0
; MemoryBound: 0
; FloatMode: 240
; IeeeMode: 1
; LDSByteSize: 0 bytes/workgroup (compile time only)
; SGPRBlocks: 7
; VGPRBlocks: 3
; NumSGPRsForWavesPerEU: 60
; NumVGPRsForWavesPerEU: 32
; AccumOffset: 32
; Occupancy: 8
; WaveLimiterHint : 1
; COMPUTE_PGM_RSRC2:SCRATCH_EN: 0
; COMPUTE_PGM_RSRC2:USER_SGPR: 6
; COMPUTE_PGM_RSRC2:TRAP_HANDLER: 0
; COMPUTE_PGM_RSRC2:TGID_X_EN: 1
; COMPUTE_PGM_RSRC2:TGID_Y_EN: 0
; COMPUTE_PGM_RSRC2:TGID_Z_EN: 0
; COMPUTE_PGM_RSRC2:TIDIG_COMP_CNT: 0
; COMPUTE_PGM_RSRC3_GFX90A:ACCUM_OFFSET: 7
; COMPUTE_PGM_RSRC3_GFX90A:TG_SPLIT: 0
	.section	.text._ZN9rocsparseL35bsr2csr_block_per_row_33_256_kernelILj1024ELj256ELj32E21rocsparse_complex_numIfEiiEEv20rocsparse_direction_T4_S4_21rocsparse_index_base_PKT2_PKT3_PKS4_S4_S5_PS6_PS9_PS4_,"axG",@progbits,_ZN9rocsparseL35bsr2csr_block_per_row_33_256_kernelILj1024ELj256ELj32E21rocsparse_complex_numIfEiiEEv20rocsparse_direction_T4_S4_21rocsparse_index_base_PKT2_PKT3_PKS4_S4_S5_PS6_PS9_PS4_,comdat
	.globl	_ZN9rocsparseL35bsr2csr_block_per_row_33_256_kernelILj1024ELj256ELj32E21rocsparse_complex_numIfEiiEEv20rocsparse_direction_T4_S4_21rocsparse_index_base_PKT2_PKT3_PKS4_S4_S5_PS6_PS9_PS4_ ; -- Begin function _ZN9rocsparseL35bsr2csr_block_per_row_33_256_kernelILj1024ELj256ELj32E21rocsparse_complex_numIfEiiEEv20rocsparse_direction_T4_S4_21rocsparse_index_base_PKT2_PKT3_PKS4_S4_S5_PS6_PS9_PS4_
	.p2align	8
	.type	_ZN9rocsparseL35bsr2csr_block_per_row_33_256_kernelILj1024ELj256ELj32E21rocsparse_complex_numIfEiiEEv20rocsparse_direction_T4_S4_21rocsparse_index_base_PKT2_PKT3_PKS4_S4_S5_PS6_PS9_PS4_,@function
_ZN9rocsparseL35bsr2csr_block_per_row_33_256_kernelILj1024ELj256ELj32E21rocsparse_complex_numIfEiiEEv20rocsparse_direction_T4_S4_21rocsparse_index_base_PKT2_PKT3_PKS4_S4_S5_PS6_PS9_PS4_: ; @_ZN9rocsparseL35bsr2csr_block_per_row_33_256_kernelILj1024ELj256ELj32E21rocsparse_complex_numIfEiiEEv20rocsparse_direction_T4_S4_21rocsparse_index_base_PKT2_PKT3_PKS4_S4_S5_PS6_PS9_PS4_
; %bb.0:
	s_load_dwordx2 s[0:1], s[4:5], 0x18
	s_load_dwordx2 s[36:37], s[4:5], 0x28
	;; [unrolled: 1-line block ×3, first 2 shown]
	s_ashr_i32 s7, s6, 31
	s_lshl_b64 s[8:9], s[6:7], 2
	s_waitcnt lgkmcnt(0)
	s_add_u32 s0, s0, s8
	s_addc_u32 s1, s1, s9
	s_load_dwordx2 s[88:89], s[0:1], 0x0
	v_or_b32_e32 v1, s6, v0
	v_cmp_eq_u32_e32 vcc, 0, v1
	s_and_saveexec_b64 s[0:1], vcc
	s_cbranch_execz .LBB168_2
; %bb.1:
	v_mov_b32_e32 v1, 0
	v_mov_b32_e32 v2, s37
	global_store_dword v1, v2, s[2:3]
.LBB168_2:
	s_or_b64 exec, exec, s[0:1]
	s_load_dword s0, s[4:5], 0xc
                                        ; implicit-def: $vgpr57 : SGPR spill to VGPR lane
	v_lshrrev_b32_e32 v18, 5, v0
	s_mul_i32 s20, s6, s36
	s_waitcnt lgkmcnt(0)
	s_sub_i32 s38, s88, s0
	v_writelane_b32 v57, s0, 0
	s_sub_i32 s0, s89, s0
	s_mul_i32 s33, s38, s36
	s_mov_b32 s95, s0
	s_sub_i32 s90, s0, s38
	s_mul_i32 s0, s33, s36
	s_mul_i32 s21, s90, s36
	s_add_i32 s22, s0, s37
	s_add_i32 s22, s22, s21
	v_cmp_gt_i32_e64 s[0:1], s36, v18
	s_and_saveexec_b64 s[6:7], s[0:1]
	s_cbranch_execz .LBB168_4
; %bb.3:
	v_add_u32_e32 v2, s20, v18
	v_ashrrev_i32_e32 v3, 31, v2
	v_lshlrev_b64 v[2:3], 2, v[2:3]
	v_mul_lo_u32 v1, v18, s21
	v_mov_b32_e32 v4, s3
	v_add_co_u32_e32 v2, vcc, s2, v2
	v_add_u32_e32 v1, s22, v1
	v_addc_co_u32_e32 v3, vcc, v4, v3, vcc
	global_store_dword v[2:3], v1, off offset:4
.LBB168_4:
	s_or_b64 exec, exec, s[6:7]
	s_add_u32 s23, s2, 4
	v_or_b32_e32 v1, 32, v18
	s_addc_u32 s24, s3, 0
	v_cmp_gt_i32_e64 s[2:3], s36, v1
	s_and_saveexec_b64 s[6:7], s[2:3]
	s_cbranch_execz .LBB168_6
; %bb.5:
	s_ashr_i32 s8, s20, 31
	v_mov_b32_e32 v3, s8
	v_add_co_u32_e32 v2, vcc, s20, v18
	v_addc_co_u32_e32 v3, vcc, 0, v3, vcc
	v_lshlrev_b64 v[2:3], 2, v[2:3]
	v_mul_lo_u32 v1, v1, s21
	v_mov_b32_e32 v4, s24
	v_add_co_u32_e32 v2, vcc, s23, v2
	v_add_u32_e32 v1, s22, v1
	v_addc_co_u32_e32 v3, vcc, v4, v3, vcc
	global_store_dword v[2:3], v1, off offset:128
.LBB168_6:
	s_or_b64 exec, exec, s[6:7]
	v_or_b32_e32 v1, 64, v18
	v_cmp_gt_i32_e64 s[6:7], s36, v1
	s_and_saveexec_b64 s[8:9], s[6:7]
	s_cbranch_execz .LBB168_8
; %bb.7:
	s_ashr_i32 s10, s20, 31
	v_mov_b32_e32 v3, s10
	v_add_co_u32_e32 v2, vcc, s20, v18
	v_addc_co_u32_e32 v3, vcc, 0, v3, vcc
	v_lshlrev_b64 v[2:3], 2, v[2:3]
	v_mul_lo_u32 v1, v1, s21
	v_mov_b32_e32 v4, s24
	v_add_co_u32_e32 v2, vcc, s23, v2
	v_add_u32_e32 v1, s22, v1
	v_addc_co_u32_e32 v3, vcc, v4, v3, vcc
	global_store_dword v[2:3], v1, off offset:256
.LBB168_8:
	s_or_b64 exec, exec, s[8:9]
	v_or_b32_e32 v1, 0x60, v18
	;; [unrolled: 18-line block ×6, first 2 shown]
	v_cmp_gt_i32_e64 s[16:17], s36, v1
	s_and_saveexec_b64 s[18:19], s[16:17]
	s_cbranch_execz .LBB168_18
; %bb.17:
	v_mul_lo_u32 v1, v1, s21
	s_ashr_i32 s21, s20, 31
	v_mov_b32_e32 v3, s21
	v_add_co_u32_e32 v2, vcc, s20, v18
	v_addc_co_u32_e32 v3, vcc, 0, v3, vcc
	v_lshlrev_b64 v[2:3], 2, v[2:3]
	v_mov_b32_e32 v4, s24
	v_add_co_u32_e32 v2, vcc, s23, v2
	v_add_u32_e32 v1, s22, v1
	v_addc_co_u32_e32 v3, vcc, v4, v3, vcc
	global_store_dword v[2:3], v1, off offset:896
.LBB168_18:
	s_or_b64 exec, exec, s[18:19]
	s_cmp_lt_i32 s88, s89
	s_cbranch_scc0 .LBB168_149
; %bb.19:
	s_load_dword s22, s[4:5], 0x0
	v_and_b32_e32 v0, 31, v0
	v_or_b32_e32 v1, 32, v0
	v_add_u32_e32 v19, s33, v0
	v_add_u32_e32 v32, s33, v18
	v_cmp_gt_i32_e64 s[18:19], s36, v0
	s_waitcnt lgkmcnt(0)
	s_cmp_eq_u32 s22, 0
	v_mad_u64_u32 v[2:3], s[44:45], s36, v19, v[18:19]
	v_mad_u64_u32 v[4:5], s[44:45], s36, v32, v[0:1]
	s_cselect_b64 vcc, -1, 0
	s_and_b64 s[44:45], s[0:1], s[18:19]
	v_cmp_gt_i32_e64 s[20:21], s36, v1
	v_writelane_b32 v57, s44, 1
	v_or_b32_e32 v34, 64, v0
	v_writelane_b32 v57, s45, 2
	s_and_b64 s[44:45], s[0:1], s[20:21]
	v_cmp_gt_i32_e64 s[22:23], s36, v34
	v_writelane_b32 v57, s44, 3
	v_or_b32_e32 v35, 0x60, v0
	v_writelane_b32 v57, s45, 4
	;; [unrolled: 5-line block ×6, first 2 shown]
	s_and_b64 s[44:45], s[0:1], s[30:31]
	v_cmp_gt_i32_e64 s[34:35], s36, v39
	v_writelane_b32 v57, s44, 13
	v_writelane_b32 v57, s45, 14
	s_and_b64 s[0:1], s[0:1], s[34:35]
	v_writelane_b32 v57, s0, 15
	v_writelane_b32 v57, s1, 16
	s_and_b64 s[0:1], s[2:3], s[18:19]
	v_writelane_b32 v57, s0, 17
	v_writelane_b32 v57, s1, 18
	s_and_b64 s[0:1], s[2:3], s[20:21]
	v_writelane_b32 v57, s0, 19
	v_writelane_b32 v57, s1, 20
	s_and_b64 s[0:1], s[2:3], s[22:23]
	v_writelane_b32 v57, s0, 21
	v_writelane_b32 v57, s1, 22
	s_and_b64 s[0:1], s[2:3], s[24:25]
	v_writelane_b32 v57, s0, 23
	v_writelane_b32 v57, s1, 24
	s_and_b64 s[0:1], s[2:3], s[26:27]
	v_writelane_b32 v57, s0, 25
	v_writelane_b32 v57, s1, 26
	s_and_b64 s[0:1], s[2:3], s[28:29]
	v_writelane_b32 v57, s0, 27
	v_writelane_b32 v57, s1, 28
	s_and_b64 s[0:1], s[2:3], s[30:31]
	v_writelane_b32 v57, s0, 29
	v_writelane_b32 v57, s1, 30
	s_and_b64 s[0:1], s[2:3], s[34:35]
	v_writelane_b32 v57, s0, 31
	v_writelane_b32 v57, s1, 32
	s_and_b64 s[0:1], s[6:7], s[18:19]
	v_writelane_b32 v57, s0, 33
	v_writelane_b32 v57, s1, 34
	s_and_b64 s[0:1], s[6:7], s[20:21]
	v_writelane_b32 v57, s0, 35
	v_writelane_b32 v57, s1, 36
	s_and_b64 s[0:1], s[6:7], s[22:23]
	v_writelane_b32 v57, s0, 37
	v_writelane_b32 v57, s1, 38
	s_and_b64 s[0:1], s[6:7], s[24:25]
	v_writelane_b32 v57, s0, 39
	v_writelane_b32 v57, s1, 40
	s_and_b64 s[0:1], s[6:7], s[26:27]
	v_writelane_b32 v57, s0, 41
	v_writelane_b32 v57, s1, 42
	s_and_b64 s[0:1], s[6:7], s[28:29]
	v_writelane_b32 v57, s0, 43
	v_writelane_b32 v57, s1, 44
	s_and_b64 s[0:1], s[6:7], s[30:31]
	v_writelane_b32 v57, s0, 45
	v_writelane_b32 v57, s1, 46
	s_and_b64 s[0:1], s[6:7], s[34:35]
	v_writelane_b32 v57, s0, 47
	v_writelane_b32 v57, s1, 48
	s_and_b64 s[0:1], s[8:9], s[18:19]
	v_writelane_b32 v57, s0, 49
	v_writelane_b32 v57, s1, 50
	s_and_b64 s[0:1], s[8:9], s[20:21]
	v_writelane_b32 v57, s0, 51
	v_writelane_b32 v57, s1, 52
	s_and_b64 s[0:1], s[8:9], s[22:23]
	v_writelane_b32 v57, s0, 53
	v_writelane_b32 v57, s1, 54
	s_and_b64 s[0:1], s[8:9], s[24:25]
	v_writelane_b32 v57, s0, 55
	v_writelane_b32 v57, s1, 56
	s_load_dwordx2 s[0:1], s[4:5], 0x20
	s_ashr_i32 s39, s38, 31
	s_and_b64 s[44:45], s[8:9], s[26:27]
	s_and_b64 s[46:47], s[8:9], s[28:29]
	;; [unrolled: 1-line block ×36, first 2 shown]
	s_lshl_b32 s91, s88, 7
	s_lshl_b32 s92, s88, 6
	;; [unrolled: 1-line block ×3, first 2 shown]
	s_lshl_b64 s[34:35], s[38:39], 2
	v_mul_lo_u32 v3, v18, s90
	s_waitcnt lgkmcnt(0)
	s_add_u32 s34, s0, s34
	v_add_u32_e32 v40, s33, v3
	s_mul_i32 s0, s89, 0xe0
	v_add_u32_e32 v3, s0, v40
	s_mul_i32 s0, s88, 0xe0
	v_subrev_u32_e32 v3, s0, v3
	s_mul_i32 s0, s89, 0xc0
	v_add_u32_e32 v5, s0, v40
	s_mul_i32 s0, s88, 0xc0
	v_subrev_u32_e32 v5, s0, v5
	s_mul_i32 s0, s89, 0xa0
	v_add_u32_e32 v6, s0, v40
	s_mul_i32 s0, s88, 0xa0
	v_subrev_u32_e32 v41, s0, v6
	v_lshl_add_u32 v6, s89, 7, v40
	s_mul_i32 s0, s89, 0x60
	v_subrev_u32_e32 v42, s91, v6
	v_add_u32_e32 v6, s0, v40
	s_mul_i32 s0, s88, 0x60
	v_lshl_add_u32 v7, s89, 6, v40
	v_subrev_u32_e32 v43, s0, v6
	v_add_u32_e32 v6, 0xe0, v19
	s_addc_u32 s35, s1, s35
	v_subrev_u32_e32 v44, s92, v7
	v_mad_u64_u32 v[6:7], s[0:1], s36, v6, v[18:19]
	v_lshl_add_u32 v8, s89, 5, v40
	v_add_u32_e32 v7, 0xc0, v19
	v_subrev_u32_e32 v45, s93, v8
	v_mad_u64_u32 v[8:9], s[0:1], s36, v7, v[18:19]
	v_add_u32_e32 v7, 0xa0, v19
	v_mad_u64_u32 v[10:11], s[0:1], s36, v7, v[18:19]
	v_add_u32_e32 v7, 0x80, v19
	;; [unrolled: 2-line block ×8, first 2 shown]
	s_load_dwordx2 s[40:41], s[4:5], 0x30
	s_load_dwordx2 s[42:43], s[4:5], 0x10
	v_mad_u64_u32 v[24:25], s[0:1], s36, v7, v[0:1]
	s_load_dwordx2 s[4:5], s[4:5], 0x40
	v_add_u32_e32 v7, 0x80, v32
	v_mad_u64_u32 v[26:27], s[0:1], s36, v7, v[0:1]
	v_add_u32_e32 v7, 0xa0, v32
	v_mad_u64_u32 v[28:29], s[0:1], s36, v7, v[0:1]
	;; [unrolled: 2-line block ×4, first 2 shown]
	v_mul_lo_u32 v3, s36, v3
	v_mul_lo_u32 v5, s36, v5
	;; [unrolled: 1-line block ×8, first 2 shown]
	v_cndmask_b32_e32 v19, v2, v4, vcc
	s_mov_b32 s39, 0
	s_movk_i32 s33, 0x60
	s_movk_i32 s90, 0x80
	;; [unrolled: 1-line block ×5, first 2 shown]
	s_branch .LBB168_21
.LBB168_20:                             ;   in Loop: Header=BB168_21 Depth=1
	s_or_b64 exec, exec, s[88:89]
	s_mul_i32 s0, s36, s36
	s_add_i32 s38, s38, 1
	s_add_i32 s39, s39, s0
	s_add_u32 s34, s34, 4
	s_addc_u32 s35, s35, 0
	v_add_u32_e32 v3, s36, v3
	v_add_u32_e32 v5, s36, v5
	;; [unrolled: 1-line block ×7, first 2 shown]
	s_cmp_ge_i32 s38, s95
	v_add_u32_e32 v17, s36, v17
	s_cbranch_scc1 .LBB168_149
.LBB168_21:                             ; =>This Inner Loop Header: Depth=1
	s_load_dword s0, s[34:35], 0x0
	v_readlane_b32 s1, v57, 0
	s_waitcnt lgkmcnt(0)
	s_sub_i32 s0, s0, s1
	s_mul_i32 s94, s0, s36
	s_add_i32 s94, s94, s37
	v_add_u32_e32 v21, s94, v0
	s_mov_b64 s[88:89], exec
	v_readlane_b32 s0, v57, 1
	v_readlane_b32 s1, v57, 2
	s_and_b64 s[0:1], s[88:89], s[0:1]
	s_mov_b64 exec, s[0:1]
	s_cbranch_execz .LBB168_23
; %bb.22:                               ;   in Loop: Header=BB168_21 Depth=1
	v_add_u32_e32 v40, s39, v19
	v_ashrrev_i32_e32 v41, 31, v40
	v_lshlrev_b64 v[40:41], 3, v[40:41]
	v_mov_b32_e32 v23, s43
	v_add_co_u32_e64 v40, s[0:1], s42, v40
	v_addc_co_u32_e64 v41, s[0:1], v23, v41, s[0:1]
	global_load_dwordx2 v[40:41], v[40:41], off
	v_add_u32_e32 v42, v0, v17
	v_ashrrev_i32_e32 v43, 31, v42
	v_lshlrev_b64 v[44:45], 2, v[42:43]
	v_mov_b32_e32 v23, s5
	v_add_co_u32_e64 v44, s[0:1], s4, v44
	v_addc_co_u32_e64 v45, s[0:1], v23, v45, s[0:1]
	v_lshlrev_b64 v[42:43], 3, v[42:43]
	v_mov_b32_e32 v23, s41
	v_add_co_u32_e64 v42, s[0:1], s40, v42
	v_addc_co_u32_e64 v43, s[0:1], v23, v43, s[0:1]
	global_store_dword v[44:45], v21, off
	s_waitcnt vmcnt(1)
	global_store_dwordx2 v[42:43], v[40:41], off
.LBB168_23:                             ;   in Loop: Header=BB168_21 Depth=1
	s_or_b64 exec, exec, s[88:89]
	v_add_u32_e32 v23, s94, v1
	v_add_u32_e32 v41, s39, v18
	s_mov_b64 s[88:89], exec
	v_readlane_b32 s0, v57, 3
	v_readlane_b32 s1, v57, 4
	s_and_b64 s[0:1], s[88:89], s[0:1]
	s_mov_b64 exec, s[0:1]
	s_cbranch_execz .LBB168_25
; %bb.24:                               ;   in Loop: Header=BB168_21 Depth=1
	v_add3_u32 v25, v4, s39, 32
	v_cndmask_b32_e32 v42, v41, v25, vcc
	v_ashrrev_i32_e32 v43, 31, v42
	v_lshlrev_b64 v[42:43], 3, v[42:43]
	v_mov_b32_e32 v25, s43
	v_add_co_u32_e64 v42, s[0:1], s42, v42
	v_addc_co_u32_e64 v43, s[0:1], v25, v43, s[0:1]
	global_load_dwordx2 v[42:43], v[42:43], off
	v_add3_u32 v44, v0, v17, 32
	v_ashrrev_i32_e32 v45, 31, v44
	v_lshlrev_b64 v[46:47], 2, v[44:45]
	v_mov_b32_e32 v25, s5
	v_add_co_u32_e64 v46, s[0:1], s4, v46
	v_addc_co_u32_e64 v47, s[0:1], v25, v47, s[0:1]
	v_lshlrev_b64 v[44:45], 3, v[44:45]
	v_mov_b32_e32 v25, s41
	v_add_co_u32_e64 v44, s[0:1], s40, v44
	v_addc_co_u32_e64 v45, s[0:1], v25, v45, s[0:1]
	global_store_dword v[46:47], v23, off
	s_waitcnt vmcnt(1)
	global_store_dwordx2 v[44:45], v[42:43], off
.LBB168_25:                             ;   in Loop: Header=BB168_21 Depth=1
	s_or_b64 exec, exec, s[88:89]
	v_add_u32_e32 v25, s94, v34
	v_add_u32_e32 v42, s39, v16
	s_mov_b64 s[88:89], exec
	v_readlane_b32 s0, v57, 5
	v_readlane_b32 s1, v57, 6
	s_and_b64 s[0:1], s[88:89], s[0:1]
	s_mov_b64 exec, s[0:1]
	s_cbranch_execz .LBB168_27
; %bb.26:                               ;   in Loop: Header=BB168_21 Depth=1
	v_add3_u32 v27, v4, s39, 64
	v_cndmask_b32_e32 v44, v42, v27, vcc
	v_ashrrev_i32_e32 v45, 31, v44
	v_lshlrev_b64 v[44:45], 3, v[44:45]
	v_mov_b32_e32 v27, s43
	v_add_co_u32_e64 v44, s[0:1], s42, v44
	v_addc_co_u32_e64 v45, s[0:1], v27, v45, s[0:1]
	global_load_dwordx2 v[44:45], v[44:45], off
	v_add3_u32 v46, v0, v17, 64
	v_ashrrev_i32_e32 v47, 31, v46
	v_lshlrev_b64 v[48:49], 2, v[46:47]
	v_mov_b32_e32 v27, s5
	v_add_co_u32_e64 v48, s[0:1], s4, v48
	v_addc_co_u32_e64 v49, s[0:1], v27, v49, s[0:1]
	v_lshlrev_b64 v[46:47], 3, v[46:47]
	v_mov_b32_e32 v27, s41
	v_add_co_u32_e64 v46, s[0:1], s40, v46
	v_addc_co_u32_e64 v47, s[0:1], v27, v47, s[0:1]
	global_store_dword v[48:49], v25, off
	s_waitcnt vmcnt(1)
	global_store_dwordx2 v[46:47], v[44:45], off
.LBB168_27:                             ;   in Loop: Header=BB168_21 Depth=1
	s_or_b64 exec, exec, s[88:89]
	v_add_u32_e32 v27, s94, v35
	v_add_u32_e32 v48, s39, v4
	;; [unrolled: 1-line block ×3, first 2 shown]
	s_mov_b64 s[88:89], exec
	v_readlane_b32 s0, v57, 7
	v_readlane_b32 s1, v57, 8
	s_and_b64 s[0:1], s[88:89], s[0:1]
	s_mov_b64 exec, s[0:1]
	s_cbranch_execz .LBB168_29
; %bb.28:                               ;   in Loop: Header=BB168_21 Depth=1
	v_add_u32_e32 v29, 0x60, v48
	v_cndmask_b32_e32 v44, v43, v29, vcc
	v_ashrrev_i32_e32 v45, 31, v44
	v_lshlrev_b64 v[44:45], 3, v[44:45]
	v_mov_b32_e32 v29, s43
	v_add_co_u32_e64 v44, s[0:1], s42, v44
	v_addc_co_u32_e64 v45, s[0:1], v29, v45, s[0:1]
	global_load_dwordx2 v[44:45], v[44:45], off
	v_add3_u32 v46, v0, v17, s33
	v_ashrrev_i32_e32 v47, 31, v46
	v_lshlrev_b64 v[50:51], 2, v[46:47]
	v_mov_b32_e32 v29, s5
	v_add_co_u32_e64 v50, s[0:1], s4, v50
	v_addc_co_u32_e64 v51, s[0:1], v29, v51, s[0:1]
	v_lshlrev_b64 v[46:47], 3, v[46:47]
	v_mov_b32_e32 v29, s41
	v_add_co_u32_e64 v46, s[0:1], s40, v46
	v_addc_co_u32_e64 v47, s[0:1], v29, v47, s[0:1]
	global_store_dword v[50:51], v27, off
	s_waitcnt vmcnt(1)
	global_store_dwordx2 v[46:47], v[44:45], off
.LBB168_29:                             ;   in Loop: Header=BB168_21 Depth=1
	s_or_b64 exec, exec, s[88:89]
	v_add_u32_e32 v29, s94, v36
	v_add_u32_e32 v44, s39, v12
	s_mov_b64 s[88:89], exec
	v_readlane_b32 s0, v57, 9
	v_readlane_b32 s1, v57, 10
	s_and_b64 s[0:1], s[88:89], s[0:1]
	s_mov_b64 exec, s[0:1]
	s_cbranch_execz .LBB168_31
; %bb.30:                               ;   in Loop: Header=BB168_21 Depth=1
	v_add_u32_e32 v31, 0x80, v48
	v_cndmask_b32_e32 v46, v44, v31, vcc
	v_ashrrev_i32_e32 v47, 31, v46
	v_lshlrev_b64 v[46:47], 3, v[46:47]
	v_mov_b32_e32 v31, s43
	v_add_co_u32_e64 v46, s[0:1], s42, v46
	v_addc_co_u32_e64 v47, s[0:1], v31, v47, s[0:1]
	global_load_dwordx2 v[46:47], v[46:47], off
	v_add3_u32 v50, v0, v17, s90
	v_ashrrev_i32_e32 v51, 31, v50
	v_lshlrev_b64 v[52:53], 2, v[50:51]
	v_mov_b32_e32 v31, s5
	v_add_co_u32_e64 v52, s[0:1], s4, v52
	v_addc_co_u32_e64 v53, s[0:1], v31, v53, s[0:1]
	v_lshlrev_b64 v[50:51], 3, v[50:51]
	v_mov_b32_e32 v31, s41
	v_add_co_u32_e64 v50, s[0:1], s40, v50
	v_addc_co_u32_e64 v51, s[0:1], v31, v51, s[0:1]
	global_store_dword v[52:53], v29, off
	s_waitcnt vmcnt(1)
	global_store_dwordx2 v[50:51], v[46:47], off
.LBB168_31:                             ;   in Loop: Header=BB168_21 Depth=1
	s_or_b64 exec, exec, s[88:89]
	v_add_u32_e32 v31, s94, v37
	v_add_u32_e32 v45, s39, v10
	;; [unrolled: 32-line block ×4, first 2 shown]
	s_mov_b64 s[88:89], exec
	v_readlane_b32 s0, v57, 15
	v_readlane_b32 s1, v57, 16
	s_and_b64 s[0:1], s[88:89], s[0:1]
	s_mov_b64 exec, s[0:1]
	s_cbranch_execz .LBB168_37
; %bb.36:                               ;   in Loop: Header=BB168_21 Depth=1
	v_add_u32_e32 v48, 0xe0, v48
	v_cndmask_b32_e32 v48, v47, v48, vcc
	v_ashrrev_i32_e32 v49, 31, v48
	v_lshlrev_b64 v[48:49], 3, v[48:49]
	v_mov_b32_e32 v50, s43
	v_add_co_u32_e64 v48, s[0:1], s42, v48
	v_addc_co_u32_e64 v49, s[0:1], v50, v49, s[0:1]
	global_load_dwordx2 v[48:49], v[48:49], off
	v_add3_u32 v50, v0, v17, s93
	v_ashrrev_i32_e32 v51, 31, v50
	v_lshlrev_b64 v[52:53], 2, v[50:51]
	v_mov_b32_e32 v54, s5
	v_add_co_u32_e64 v52, s[0:1], s4, v52
	v_addc_co_u32_e64 v53, s[0:1], v54, v53, s[0:1]
	v_lshlrev_b64 v[50:51], 3, v[50:51]
	global_store_dword v[52:53], v40, off
	v_mov_b32_e32 v52, s41
	v_add_co_u32_e64 v50, s[0:1], s40, v50
	v_addc_co_u32_e64 v51, s[0:1], v52, v51, s[0:1]
	s_waitcnt vmcnt(1)
	global_store_dwordx2 v[50:51], v[48:49], off
.LBB168_37:                             ;   in Loop: Header=BB168_21 Depth=1
	s_or_b64 exec, exec, s[88:89]
	v_add_u32_e32 v48, s39, v20
	s_mov_b64 s[88:89], exec
	v_readlane_b32 s0, v57, 17
	v_readlane_b32 s1, v57, 18
	s_and_b64 s[0:1], s[88:89], s[0:1]
	s_mov_b64 exec, s[0:1]
	s_cbranch_execz .LBB168_39
; %bb.38:                               ;   in Loop: Header=BB168_21 Depth=1
	v_add3_u32 v49, v2, s39, 32
	v_cndmask_b32_e32 v50, v49, v48, vcc
	v_ashrrev_i32_e32 v51, 31, v50
	v_lshlrev_b64 v[50:51], 3, v[50:51]
	v_mov_b32_e32 v49, s43
	v_add_co_u32_e64 v50, s[0:1], s42, v50
	v_addc_co_u32_e64 v51, s[0:1], v49, v51, s[0:1]
	global_load_dwordx2 v[50:51], v[50:51], off
	v_add_u32_e32 v52, v0, v15
	v_ashrrev_i32_e32 v53, 31, v52
	v_lshlrev_b64 v[54:55], 2, v[52:53]
	v_mov_b32_e32 v49, s5
	v_add_co_u32_e64 v54, s[0:1], s4, v54
	v_addc_co_u32_e64 v55, s[0:1], v49, v55, s[0:1]
	v_lshlrev_b64 v[52:53], 3, v[52:53]
	v_mov_b32_e32 v49, s41
	v_add_co_u32_e64 v52, s[0:1], s40, v52
	v_addc_co_u32_e64 v53, s[0:1], v49, v53, s[0:1]
	global_store_dword v[54:55], v21, off
	s_waitcnt vmcnt(1)
	global_store_dwordx2 v[52:53], v[50:51], off
.LBB168_39:                             ;   in Loop: Header=BB168_21 Depth=1
	s_or_b64 exec, exec, s[88:89]
	s_mov_b64 s[88:89], exec
	v_readlane_b32 s0, v57, 19
	v_readlane_b32 s1, v57, 20
	s_and_b64 s[0:1], s[88:89], s[0:1]
	s_mov_b64 exec, s[0:1]
	s_cbranch_execz .LBB168_41
; %bb.40:                               ;   in Loop: Header=BB168_21 Depth=1
	v_cndmask_b32_e32 v49, v18, v20, vcc
	v_add3_u32 v50, v49, s39, 32
	v_ashrrev_i32_e32 v51, 31, v50
	v_lshlrev_b64 v[50:51], 3, v[50:51]
	v_mov_b32_e32 v49, s43
	v_add_co_u32_e64 v50, s[0:1], s42, v50
	v_addc_co_u32_e64 v51, s[0:1], v49, v51, s[0:1]
	global_load_dwordx2 v[50:51], v[50:51], off
	v_add3_u32 v52, v0, v15, 32
	v_ashrrev_i32_e32 v53, 31, v52
	v_lshlrev_b64 v[54:55], 2, v[52:53]
	v_mov_b32_e32 v49, s5
	v_add_co_u32_e64 v54, s[0:1], s4, v54
	v_addc_co_u32_e64 v55, s[0:1], v49, v55, s[0:1]
	v_lshlrev_b64 v[52:53], 3, v[52:53]
	v_mov_b32_e32 v49, s41
	v_add_co_u32_e64 v52, s[0:1], s40, v52
	v_addc_co_u32_e64 v53, s[0:1], v49, v53, s[0:1]
	global_store_dword v[54:55], v23, off
	s_waitcnt vmcnt(1)
	global_store_dwordx2 v[52:53], v[50:51], off
.LBB168_41:                             ;   in Loop: Header=BB168_21 Depth=1
	s_or_b64 exec, exec, s[88:89]
	s_mov_b64 s[88:89], exec
	v_readlane_b32 s0, v57, 21
	v_readlane_b32 s1, v57, 22
	s_and_b64 s[0:1], s[88:89], s[0:1]
	s_mov_b64 exec, s[0:1]
	s_cbranch_execz .LBB168_43
; %bb.42:                               ;   in Loop: Header=BB168_21 Depth=1
	v_add3_u32 v49, v20, s39, 64
	v_add3_u32 v50, v16, s39, 32
	v_cndmask_b32_e32 v50, v50, v49, vcc
	v_ashrrev_i32_e32 v51, 31, v50
	v_lshlrev_b64 v[50:51], 3, v[50:51]
	v_mov_b32_e32 v49, s43
	v_add_co_u32_e64 v50, s[0:1], s42, v50
	v_addc_co_u32_e64 v51, s[0:1], v49, v51, s[0:1]
	global_load_dwordx2 v[50:51], v[50:51], off
	v_add3_u32 v52, v0, v15, 64
	v_ashrrev_i32_e32 v53, 31, v52
	v_lshlrev_b64 v[54:55], 2, v[52:53]
	v_mov_b32_e32 v49, s5
	v_add_co_u32_e64 v54, s[0:1], s4, v54
	v_addc_co_u32_e64 v55, s[0:1], v49, v55, s[0:1]
	v_lshlrev_b64 v[52:53], 3, v[52:53]
	v_mov_b32_e32 v49, s41
	v_add_co_u32_e64 v52, s[0:1], s40, v52
	v_addc_co_u32_e64 v53, s[0:1], v49, v53, s[0:1]
	global_store_dword v[54:55], v25, off
	s_waitcnt vmcnt(1)
	global_store_dwordx2 v[52:53], v[50:51], off
.LBB168_43:                             ;   in Loop: Header=BB168_21 Depth=1
	s_or_b64 exec, exec, s[88:89]
	s_mov_b64 s[88:89], exec
	v_readlane_b32 s0, v57, 23
	v_readlane_b32 s1, v57, 24
	s_and_b64 s[0:1], s[88:89], s[0:1]
	s_mov_b64 exec, s[0:1]
	s_cbranch_execz .LBB168_45
; %bb.44:                               ;   in Loop: Header=BB168_21 Depth=1
	v_add_u32_e32 v49, 0x60, v48
	v_add3_u32 v50, v14, s39, 32
	v_cndmask_b32_e32 v50, v50, v49, vcc
	v_ashrrev_i32_e32 v51, 31, v50
	v_lshlrev_b64 v[50:51], 3, v[50:51]
	v_mov_b32_e32 v49, s43
	v_add_co_u32_e64 v50, s[0:1], s42, v50
	v_addc_co_u32_e64 v51, s[0:1], v49, v51, s[0:1]
	global_load_dwordx2 v[50:51], v[50:51], off
	v_add3_u32 v52, v0, v15, s33
	v_ashrrev_i32_e32 v53, 31, v52
	v_lshlrev_b64 v[54:55], 2, v[52:53]
	v_mov_b32_e32 v49, s5
	v_add_co_u32_e64 v54, s[0:1], s4, v54
	v_addc_co_u32_e64 v55, s[0:1], v49, v55, s[0:1]
	v_lshlrev_b64 v[52:53], 3, v[52:53]
	v_mov_b32_e32 v49, s41
	v_add_co_u32_e64 v52, s[0:1], s40, v52
	v_addc_co_u32_e64 v53, s[0:1], v49, v53, s[0:1]
	global_store_dword v[54:55], v27, off
	s_waitcnt vmcnt(1)
	global_store_dwordx2 v[52:53], v[50:51], off
.LBB168_45:                             ;   in Loop: Header=BB168_21 Depth=1
	s_or_b64 exec, exec, s[88:89]
	s_mov_b64 s[88:89], exec
	v_readlane_b32 s0, v57, 25
	v_readlane_b32 s1, v57, 26
	s_and_b64 s[0:1], s[88:89], s[0:1]
	s_mov_b64 exec, s[0:1]
	s_cbranch_execz .LBB168_47
; %bb.46:                               ;   in Loop: Header=BB168_21 Depth=1
	v_add_u32_e32 v49, 0x80, v48
	v_add3_u32 v50, v12, s39, 32
	v_cndmask_b32_e32 v50, v50, v49, vcc
	v_ashrrev_i32_e32 v51, 31, v50
	v_lshlrev_b64 v[50:51], 3, v[50:51]
	v_mov_b32_e32 v49, s43
	v_add_co_u32_e64 v50, s[0:1], s42, v50
	v_addc_co_u32_e64 v51, s[0:1], v49, v51, s[0:1]
	global_load_dwordx2 v[50:51], v[50:51], off
	v_add3_u32 v52, v0, v15, s90
	v_ashrrev_i32_e32 v53, 31, v52
	v_lshlrev_b64 v[54:55], 2, v[52:53]
	v_mov_b32_e32 v49, s5
	v_add_co_u32_e64 v54, s[0:1], s4, v54
	v_addc_co_u32_e64 v55, s[0:1], v49, v55, s[0:1]
	v_lshlrev_b64 v[52:53], 3, v[52:53]
	v_mov_b32_e32 v49, s41
	v_add_co_u32_e64 v52, s[0:1], s40, v52
	v_addc_co_u32_e64 v53, s[0:1], v49, v53, s[0:1]
	global_store_dword v[54:55], v29, off
	s_waitcnt vmcnt(1)
	global_store_dwordx2 v[52:53], v[50:51], off
.LBB168_47:                             ;   in Loop: Header=BB168_21 Depth=1
	;; [unrolled: 31-line block ×4, first 2 shown]
	s_or_b64 exec, exec, s[88:89]
	s_mov_b64 s[88:89], exec
	v_readlane_b32 s0, v57, 31
	v_readlane_b32 s1, v57, 32
	s_and_b64 s[0:1], s[88:89], s[0:1]
	s_mov_b64 exec, s[0:1]
	s_cbranch_execz .LBB168_53
; %bb.52:                               ;   in Loop: Header=BB168_21 Depth=1
	v_add_u32_e32 v48, 0xe0, v48
	v_add3_u32 v49, v6, s39, 32
	v_cndmask_b32_e32 v48, v49, v48, vcc
	v_ashrrev_i32_e32 v49, 31, v48
	v_lshlrev_b64 v[48:49], 3, v[48:49]
	v_mov_b32_e32 v50, s43
	v_add_co_u32_e64 v48, s[0:1], s42, v48
	v_addc_co_u32_e64 v49, s[0:1], v50, v49, s[0:1]
	global_load_dwordx2 v[48:49], v[48:49], off
	v_add3_u32 v50, v0, v15, s93
	v_ashrrev_i32_e32 v51, 31, v50
	v_lshlrev_b64 v[52:53], 2, v[50:51]
	v_mov_b32_e32 v54, s5
	v_add_co_u32_e64 v52, s[0:1], s4, v52
	v_addc_co_u32_e64 v53, s[0:1], v54, v53, s[0:1]
	v_lshlrev_b64 v[50:51], 3, v[50:51]
	global_store_dword v[52:53], v40, off
	v_mov_b32_e32 v52, s41
	v_add_co_u32_e64 v50, s[0:1], s40, v50
	v_addc_co_u32_e64 v51, s[0:1], v52, v51, s[0:1]
	s_waitcnt vmcnt(1)
	global_store_dwordx2 v[50:51], v[48:49], off
.LBB168_53:                             ;   in Loop: Header=BB168_21 Depth=1
	s_or_b64 exec, exec, s[88:89]
	v_add_u32_e32 v48, s39, v22
	s_mov_b64 s[88:89], exec
	v_readlane_b32 s0, v57, 33
	v_readlane_b32 s1, v57, 34
	s_and_b64 s[0:1], s[88:89], s[0:1]
	s_mov_b64 exec, s[0:1]
	s_cbranch_execz .LBB168_55
; %bb.54:                               ;   in Loop: Header=BB168_21 Depth=1
	v_add3_u32 v49, v2, s39, 64
	v_cndmask_b32_e32 v50, v49, v48, vcc
	v_ashrrev_i32_e32 v51, 31, v50
	v_lshlrev_b64 v[50:51], 3, v[50:51]
	v_mov_b32_e32 v49, s43
	v_add_co_u32_e64 v50, s[0:1], s42, v50
	v_addc_co_u32_e64 v51, s[0:1], v49, v51, s[0:1]
	global_load_dwordx2 v[50:51], v[50:51], off
	v_add_u32_e32 v52, v0, v13
	v_ashrrev_i32_e32 v53, 31, v52
	v_lshlrev_b64 v[54:55], 2, v[52:53]
	v_mov_b32_e32 v49, s5
	v_add_co_u32_e64 v54, s[0:1], s4, v54
	v_addc_co_u32_e64 v55, s[0:1], v49, v55, s[0:1]
	v_lshlrev_b64 v[52:53], 3, v[52:53]
	v_mov_b32_e32 v49, s41
	v_add_co_u32_e64 v52, s[0:1], s40, v52
	v_addc_co_u32_e64 v53, s[0:1], v49, v53, s[0:1]
	global_store_dword v[54:55], v21, off
	s_waitcnt vmcnt(1)
	global_store_dwordx2 v[52:53], v[50:51], off
.LBB168_55:                             ;   in Loop: Header=BB168_21 Depth=1
	s_or_b64 exec, exec, s[88:89]
	s_mov_b64 s[88:89], exec
	v_readlane_b32 s0, v57, 35
	v_readlane_b32 s1, v57, 36
	s_and_b64 s[0:1], s[88:89], s[0:1]
	s_mov_b64 exec, s[0:1]
	s_cbranch_execz .LBB168_57
; %bb.56:                               ;   in Loop: Header=BB168_21 Depth=1
	v_add3_u32 v49, v22, s39, 32
	v_add3_u32 v50, v18, s39, 64
	v_cndmask_b32_e32 v50, v50, v49, vcc
	v_ashrrev_i32_e32 v51, 31, v50
	v_lshlrev_b64 v[50:51], 3, v[50:51]
	v_mov_b32_e32 v49, s43
	v_add_co_u32_e64 v50, s[0:1], s42, v50
	v_addc_co_u32_e64 v51, s[0:1], v49, v51, s[0:1]
	global_load_dwordx2 v[50:51], v[50:51], off
	v_add3_u32 v52, v0, v13, 32
	v_ashrrev_i32_e32 v53, 31, v52
	v_lshlrev_b64 v[54:55], 2, v[52:53]
	v_mov_b32_e32 v49, s5
	v_add_co_u32_e64 v54, s[0:1], s4, v54
	v_addc_co_u32_e64 v55, s[0:1], v49, v55, s[0:1]
	v_lshlrev_b64 v[52:53], 3, v[52:53]
	v_mov_b32_e32 v49, s41
	v_add_co_u32_e64 v52, s[0:1], s40, v52
	v_addc_co_u32_e64 v53, s[0:1], v49, v53, s[0:1]
	global_store_dword v[54:55], v23, off
	s_waitcnt vmcnt(1)
	global_store_dwordx2 v[52:53], v[50:51], off
.LBB168_57:                             ;   in Loop: Header=BB168_21 Depth=1
	s_or_b64 exec, exec, s[88:89]
	s_mov_b64 s[88:89], exec
	v_readlane_b32 s0, v57, 37
	v_readlane_b32 s1, v57, 38
	s_and_b64 s[0:1], s[88:89], s[0:1]
	s_mov_b64 exec, s[0:1]
	s_cbranch_execz .LBB168_59
; %bb.58:                               ;   in Loop: Header=BB168_21 Depth=1
	v_cndmask_b32_e32 v49, v16, v22, vcc
	v_add3_u32 v50, v49, s39, 64
	v_ashrrev_i32_e32 v51, 31, v50
	v_lshlrev_b64 v[50:51], 3, v[50:51]
	v_mov_b32_e32 v49, s43
	v_add_co_u32_e64 v50, s[0:1], s42, v50
	v_addc_co_u32_e64 v51, s[0:1], v49, v51, s[0:1]
	global_load_dwordx2 v[50:51], v[50:51], off
	v_add3_u32 v52, v0, v13, 64
	v_ashrrev_i32_e32 v53, 31, v52
	v_lshlrev_b64 v[54:55], 2, v[52:53]
	v_mov_b32_e32 v49, s5
	v_add_co_u32_e64 v54, s[0:1], s4, v54
	v_addc_co_u32_e64 v55, s[0:1], v49, v55, s[0:1]
	v_lshlrev_b64 v[52:53], 3, v[52:53]
	v_mov_b32_e32 v49, s41
	v_add_co_u32_e64 v52, s[0:1], s40, v52
	v_addc_co_u32_e64 v53, s[0:1], v49, v53, s[0:1]
	global_store_dword v[54:55], v25, off
	s_waitcnt vmcnt(1)
	global_store_dwordx2 v[52:53], v[50:51], off
.LBB168_59:                             ;   in Loop: Header=BB168_21 Depth=1
	s_or_b64 exec, exec, s[88:89]
	s_mov_b64 s[88:89], exec
	v_readlane_b32 s0, v57, 39
	v_readlane_b32 s1, v57, 40
	s_and_b64 s[0:1], s[88:89], s[0:1]
	s_mov_b64 exec, s[0:1]
	s_cbranch_execz .LBB168_61
; %bb.60:                               ;   in Loop: Header=BB168_21 Depth=1
	v_add_u32_e32 v49, 0x60, v48
	v_add3_u32 v50, v14, s39, 64
	v_cndmask_b32_e32 v50, v50, v49, vcc
	v_ashrrev_i32_e32 v51, 31, v50
	v_lshlrev_b64 v[50:51], 3, v[50:51]
	v_mov_b32_e32 v49, s43
	v_add_co_u32_e64 v50, s[0:1], s42, v50
	v_addc_co_u32_e64 v51, s[0:1], v49, v51, s[0:1]
	global_load_dwordx2 v[50:51], v[50:51], off
	v_add3_u32 v52, v0, v13, s33
	v_ashrrev_i32_e32 v53, 31, v52
	v_lshlrev_b64 v[54:55], 2, v[52:53]
	v_mov_b32_e32 v49, s5
	v_add_co_u32_e64 v54, s[0:1], s4, v54
	v_addc_co_u32_e64 v55, s[0:1], v49, v55, s[0:1]
	v_lshlrev_b64 v[52:53], 3, v[52:53]
	v_mov_b32_e32 v49, s41
	v_add_co_u32_e64 v52, s[0:1], s40, v52
	v_addc_co_u32_e64 v53, s[0:1], v49, v53, s[0:1]
	global_store_dword v[54:55], v27, off
	s_waitcnt vmcnt(1)
	global_store_dwordx2 v[52:53], v[50:51], off
.LBB168_61:                             ;   in Loop: Header=BB168_21 Depth=1
	s_or_b64 exec, exec, s[88:89]
	s_mov_b64 s[88:89], exec
	v_readlane_b32 s0, v57, 41
	v_readlane_b32 s1, v57, 42
	s_and_b64 s[0:1], s[88:89], s[0:1]
	s_mov_b64 exec, s[0:1]
	s_cbranch_execz .LBB168_63
; %bb.62:                               ;   in Loop: Header=BB168_21 Depth=1
	v_add_u32_e32 v49, 0x80, v48
	v_add3_u32 v50, v12, s39, 64
	v_cndmask_b32_e32 v50, v50, v49, vcc
	v_ashrrev_i32_e32 v51, 31, v50
	v_lshlrev_b64 v[50:51], 3, v[50:51]
	v_mov_b32_e32 v49, s43
	v_add_co_u32_e64 v50, s[0:1], s42, v50
	v_addc_co_u32_e64 v51, s[0:1], v49, v51, s[0:1]
	global_load_dwordx2 v[50:51], v[50:51], off
	v_add3_u32 v52, v0, v13, s90
	v_ashrrev_i32_e32 v53, 31, v52
	v_lshlrev_b64 v[54:55], 2, v[52:53]
	v_mov_b32_e32 v49, s5
	v_add_co_u32_e64 v54, s[0:1], s4, v54
	v_addc_co_u32_e64 v55, s[0:1], v49, v55, s[0:1]
	v_lshlrev_b64 v[52:53], 3, v[52:53]
	v_mov_b32_e32 v49, s41
	v_add_co_u32_e64 v52, s[0:1], s40, v52
	v_addc_co_u32_e64 v53, s[0:1], v49, v53, s[0:1]
	global_store_dword v[54:55], v29, off
	s_waitcnt vmcnt(1)
	global_store_dwordx2 v[52:53], v[50:51], off
.LBB168_63:                             ;   in Loop: Header=BB168_21 Depth=1
	;; [unrolled: 31-line block ×4, first 2 shown]
	s_or_b64 exec, exec, s[88:89]
	s_mov_b64 s[88:89], exec
	v_readlane_b32 s0, v57, 47
	v_readlane_b32 s1, v57, 48
	s_and_b64 s[0:1], s[88:89], s[0:1]
	s_mov_b64 exec, s[0:1]
	s_cbranch_execz .LBB168_69
; %bb.68:                               ;   in Loop: Header=BB168_21 Depth=1
	v_add_u32_e32 v48, 0xe0, v48
	v_add3_u32 v49, v6, s39, 64
	v_cndmask_b32_e32 v48, v49, v48, vcc
	v_ashrrev_i32_e32 v49, 31, v48
	v_lshlrev_b64 v[48:49], 3, v[48:49]
	v_mov_b32_e32 v50, s43
	v_add_co_u32_e64 v48, s[0:1], s42, v48
	v_addc_co_u32_e64 v49, s[0:1], v50, v49, s[0:1]
	global_load_dwordx2 v[48:49], v[48:49], off
	v_add3_u32 v50, v0, v13, s93
	v_ashrrev_i32_e32 v51, 31, v50
	v_lshlrev_b64 v[52:53], 2, v[50:51]
	v_mov_b32_e32 v54, s5
	v_add_co_u32_e64 v52, s[0:1], s4, v52
	v_addc_co_u32_e64 v53, s[0:1], v54, v53, s[0:1]
	v_lshlrev_b64 v[50:51], 3, v[50:51]
	global_store_dword v[52:53], v40, off
	v_mov_b32_e32 v52, s41
	v_add_co_u32_e64 v50, s[0:1], s40, v50
	v_addc_co_u32_e64 v51, s[0:1], v52, v51, s[0:1]
	s_waitcnt vmcnt(1)
	global_store_dwordx2 v[50:51], v[48:49], off
.LBB168_69:                             ;   in Loop: Header=BB168_21 Depth=1
	s_or_b64 exec, exec, s[88:89]
	v_add_u32_e32 v49, s39, v24
	v_add_u32_e32 v48, s39, v2
	s_mov_b64 s[88:89], exec
	v_readlane_b32 s0, v57, 49
	v_readlane_b32 s1, v57, 50
	s_and_b64 s[0:1], s[88:89], s[0:1]
	s_mov_b64 exec, s[0:1]
	s_cbranch_execz .LBB168_71
; %bb.70:                               ;   in Loop: Header=BB168_21 Depth=1
	v_add_u32_e32 v50, 0x60, v48
	v_cndmask_b32_e32 v50, v50, v49, vcc
	v_ashrrev_i32_e32 v51, 31, v50
	v_lshlrev_b64 v[50:51], 3, v[50:51]
	v_mov_b32_e32 v52, s43
	v_add_co_u32_e64 v50, s[0:1], s42, v50
	v_addc_co_u32_e64 v51, s[0:1], v52, v51, s[0:1]
	global_load_dwordx2 v[50:51], v[50:51], off
	v_add_u32_e32 v52, v0, v11
	v_ashrrev_i32_e32 v53, 31, v52
	v_lshlrev_b64 v[54:55], 2, v[52:53]
	v_mov_b32_e32 v56, s5
	v_add_co_u32_e64 v54, s[0:1], s4, v54
	v_addc_co_u32_e64 v55, s[0:1], v56, v55, s[0:1]
	v_lshlrev_b64 v[52:53], 3, v[52:53]
	global_store_dword v[54:55], v21, off
	v_mov_b32_e32 v54, s41
	v_add_co_u32_e64 v52, s[0:1], s40, v52
	v_addc_co_u32_e64 v53, s[0:1], v54, v53, s[0:1]
	s_waitcnt vmcnt(1)
	global_store_dwordx2 v[52:53], v[50:51], off
.LBB168_71:                             ;   in Loop: Header=BB168_21 Depth=1
	s_or_b64 exec, exec, s[88:89]
	s_mov_b64 s[88:89], exec
	v_readlane_b32 s0, v57, 51
	v_readlane_b32 s1, v57, 52
	s_and_b64 s[0:1], s[88:89], s[0:1]
	s_mov_b64 exec, s[0:1]
	s_cbranch_execz .LBB168_73
; %bb.72:                               ;   in Loop: Header=BB168_21 Depth=1
	v_add3_u32 v50, v24, s39, 32
	v_add_u32_e32 v51, 0x60, v41
	v_cndmask_b32_e32 v50, v51, v50, vcc
	v_ashrrev_i32_e32 v51, 31, v50
	v_lshlrev_b64 v[50:51], 3, v[50:51]
	v_mov_b32_e32 v52, s43
	v_add_co_u32_e64 v50, s[0:1], s42, v50
	v_addc_co_u32_e64 v51, s[0:1], v52, v51, s[0:1]
	global_load_dwordx2 v[50:51], v[50:51], off
	v_add3_u32 v52, v0, v11, 32
	v_ashrrev_i32_e32 v53, 31, v52
	v_lshlrev_b64 v[54:55], 2, v[52:53]
	v_mov_b32_e32 v56, s5
	v_add_co_u32_e64 v54, s[0:1], s4, v54
	v_addc_co_u32_e64 v55, s[0:1], v56, v55, s[0:1]
	v_lshlrev_b64 v[52:53], 3, v[52:53]
	global_store_dword v[54:55], v23, off
	v_mov_b32_e32 v54, s41
	v_add_co_u32_e64 v52, s[0:1], s40, v52
	v_addc_co_u32_e64 v53, s[0:1], v54, v53, s[0:1]
	s_waitcnt vmcnt(1)
	global_store_dwordx2 v[52:53], v[50:51], off
.LBB168_73:                             ;   in Loop: Header=BB168_21 Depth=1
	s_or_b64 exec, exec, s[88:89]
	s_mov_b64 s[88:89], exec
	v_readlane_b32 s0, v57, 53
	v_readlane_b32 s1, v57, 54
	s_and_b64 s[0:1], s[88:89], s[0:1]
	s_mov_b64 exec, s[0:1]
	s_cbranch_execz .LBB168_75
; %bb.74:                               ;   in Loop: Header=BB168_21 Depth=1
	v_add3_u32 v50, v24, s39, 64
	v_add_u32_e32 v51, 0x60, v42
	v_cndmask_b32_e32 v50, v51, v50, vcc
	v_ashrrev_i32_e32 v51, 31, v50
	v_lshlrev_b64 v[50:51], 3, v[50:51]
	v_mov_b32_e32 v52, s43
	v_add_co_u32_e64 v50, s[0:1], s42, v50
	v_addc_co_u32_e64 v51, s[0:1], v52, v51, s[0:1]
	global_load_dwordx2 v[50:51], v[50:51], off
	v_add3_u32 v52, v0, v11, 64
	v_ashrrev_i32_e32 v53, 31, v52
	v_lshlrev_b64 v[54:55], 2, v[52:53]
	v_mov_b32_e32 v56, s5
	v_add_co_u32_e64 v54, s[0:1], s4, v54
	v_addc_co_u32_e64 v55, s[0:1], v56, v55, s[0:1]
	v_lshlrev_b64 v[52:53], 3, v[52:53]
	global_store_dword v[54:55], v25, off
	v_mov_b32_e32 v54, s41
	v_add_co_u32_e64 v52, s[0:1], s40, v52
	v_addc_co_u32_e64 v53, s[0:1], v54, v53, s[0:1]
	s_waitcnt vmcnt(1)
	global_store_dwordx2 v[52:53], v[50:51], off
.LBB168_75:                             ;   in Loop: Header=BB168_21 Depth=1
	s_or_b64 exec, exec, s[88:89]
	s_mov_b64 s[88:89], exec
	v_readlane_b32 s0, v57, 55
	v_readlane_b32 s1, v57, 56
	s_and_b64 s[0:1], s[88:89], s[0:1]
	s_mov_b64 exec, s[0:1]
	s_cbranch_execnz .LBB168_112
; %bb.76:                               ;   in Loop: Header=BB168_21 Depth=1
	s_or_b64 exec, exec, s[88:89]
	s_and_saveexec_b64 s[88:89], s[44:45]
	s_cbranch_execnz .LBB168_113
.LBB168_77:                             ;   in Loop: Header=BB168_21 Depth=1
	s_or_b64 exec, exec, s[88:89]
	s_and_saveexec_b64 s[88:89], s[46:47]
	s_cbranch_execnz .LBB168_114
.LBB168_78:                             ;   in Loop: Header=BB168_21 Depth=1
	s_or_b64 exec, exec, s[88:89]
	s_and_saveexec_b64 s[88:89], s[48:49]
	s_cbranch_execnz .LBB168_115
.LBB168_79:                             ;   in Loop: Header=BB168_21 Depth=1
	s_or_b64 exec, exec, s[88:89]
	s_and_saveexec_b64 s[88:89], s[8:9]
	s_cbranch_execnz .LBB168_116
.LBB168_80:                             ;   in Loop: Header=BB168_21 Depth=1
	s_or_b64 exec, exec, s[88:89]
	v_add_u32_e32 v49, s39, v26
	s_and_saveexec_b64 s[88:89], s[50:51]
	s_cbranch_execnz .LBB168_117
.LBB168_81:                             ;   in Loop: Header=BB168_21 Depth=1
	s_or_b64 exec, exec, s[88:89]
	s_and_saveexec_b64 s[88:89], s[52:53]
	s_cbranch_execnz .LBB168_118
.LBB168_82:                             ;   in Loop: Header=BB168_21 Depth=1
	s_or_b64 exec, exec, s[88:89]
	s_and_saveexec_b64 s[88:89], s[54:55]
	s_cbranch_execnz .LBB168_119
.LBB168_83:                             ;   in Loop: Header=BB168_21 Depth=1
	s_or_b64 exec, exec, s[88:89]
	s_and_saveexec_b64 s[88:89], s[56:57]
	s_cbranch_execnz .LBB168_120
.LBB168_84:                             ;   in Loop: Header=BB168_21 Depth=1
	s_or_b64 exec, exec, s[88:89]
	s_and_saveexec_b64 s[88:89], s[58:59]
	s_cbranch_execnz .LBB168_121
.LBB168_85:                             ;   in Loop: Header=BB168_21 Depth=1
	s_or_b64 exec, exec, s[88:89]
	s_and_saveexec_b64 s[88:89], s[60:61]
	s_cbranch_execnz .LBB168_122
.LBB168_86:                             ;   in Loop: Header=BB168_21 Depth=1
	s_or_b64 exec, exec, s[88:89]
	s_and_saveexec_b64 s[88:89], s[62:63]
	s_cbranch_execnz .LBB168_123
.LBB168_87:                             ;   in Loop: Header=BB168_21 Depth=1
	s_or_b64 exec, exec, s[88:89]
	s_and_saveexec_b64 s[88:89], s[10:11]
	s_cbranch_execnz .LBB168_124
.LBB168_88:                             ;   in Loop: Header=BB168_21 Depth=1
	s_or_b64 exec, exec, s[88:89]
	v_add_u32_e32 v49, s39, v28
	s_and_saveexec_b64 s[88:89], s[64:65]
	s_cbranch_execnz .LBB168_125
.LBB168_89:                             ;   in Loop: Header=BB168_21 Depth=1
	s_or_b64 exec, exec, s[88:89]
	s_and_saveexec_b64 s[88:89], s[66:67]
	s_cbranch_execnz .LBB168_126
.LBB168_90:                             ;   in Loop: Header=BB168_21 Depth=1
	s_or_b64 exec, exec, s[88:89]
	s_and_saveexec_b64 s[88:89], s[68:69]
	s_cbranch_execnz .LBB168_127
.LBB168_91:                             ;   in Loop: Header=BB168_21 Depth=1
	s_or_b64 exec, exec, s[88:89]
	s_and_saveexec_b64 s[88:89], s[70:71]
	s_cbranch_execnz .LBB168_128
.LBB168_92:                             ;   in Loop: Header=BB168_21 Depth=1
	s_or_b64 exec, exec, s[88:89]
	s_and_saveexec_b64 s[88:89], s[72:73]
	s_cbranch_execnz .LBB168_129
.LBB168_93:                             ;   in Loop: Header=BB168_21 Depth=1
	s_or_b64 exec, exec, s[88:89]
	s_and_saveexec_b64 s[88:89], s[2:3]
	s_cbranch_execnz .LBB168_130
.LBB168_94:                             ;   in Loop: Header=BB168_21 Depth=1
	s_or_b64 exec, exec, s[88:89]
	s_and_saveexec_b64 s[88:89], s[74:75]
	s_cbranch_execnz .LBB168_131
.LBB168_95:                             ;   in Loop: Header=BB168_21 Depth=1
	s_or_b64 exec, exec, s[88:89]
	s_and_saveexec_b64 s[88:89], s[12:13]
	s_cbranch_execnz .LBB168_132
.LBB168_96:                             ;   in Loop: Header=BB168_21 Depth=1
	s_or_b64 exec, exec, s[88:89]
	v_add_u32_e32 v49, s39, v30
	s_and_saveexec_b64 s[88:89], s[76:77]
	s_cbranch_execnz .LBB168_133
.LBB168_97:                             ;   in Loop: Header=BB168_21 Depth=1
	s_or_b64 exec, exec, s[88:89]
	s_and_saveexec_b64 s[88:89], s[78:79]
	s_cbranch_execnz .LBB168_134
.LBB168_98:                             ;   in Loop: Header=BB168_21 Depth=1
	s_or_b64 exec, exec, s[88:89]
	s_and_saveexec_b64 s[88:89], s[80:81]
	s_cbranch_execnz .LBB168_135
.LBB168_99:                             ;   in Loop: Header=BB168_21 Depth=1
	s_or_b64 exec, exec, s[88:89]
	s_and_saveexec_b64 s[88:89], s[82:83]
	s_cbranch_execnz .LBB168_136
.LBB168_100:                            ;   in Loop: Header=BB168_21 Depth=1
	s_or_b64 exec, exec, s[88:89]
	s_and_saveexec_b64 s[88:89], s[84:85]
	s_cbranch_execnz .LBB168_137
.LBB168_101:                            ;   in Loop: Header=BB168_21 Depth=1
	s_or_b64 exec, exec, s[88:89]
	s_and_saveexec_b64 s[88:89], s[86:87]
	s_cbranch_execnz .LBB168_138
.LBB168_102:                            ;   in Loop: Header=BB168_21 Depth=1
	s_or_b64 exec, exec, s[88:89]
	s_and_saveexec_b64 s[88:89], s[6:7]
	s_cbranch_execnz .LBB168_139
.LBB168_103:                            ;   in Loop: Header=BB168_21 Depth=1
	s_or_b64 exec, exec, s[88:89]
	s_and_saveexec_b64 s[88:89], s[14:15]
	s_cbranch_execnz .LBB168_140
.LBB168_104:                            ;   in Loop: Header=BB168_21 Depth=1
	s_or_b64 exec, exec, s[88:89]
	v_add_u32_e32 v47, s39, v32
	s_and_saveexec_b64 s[88:89], s[18:19]
	s_cbranch_execnz .LBB168_141
.LBB168_105:                            ;   in Loop: Header=BB168_21 Depth=1
	s_or_b64 exec, exec, s[88:89]
	s_and_saveexec_b64 s[88:89], s[20:21]
	s_cbranch_execnz .LBB168_142
.LBB168_106:                            ;   in Loop: Header=BB168_21 Depth=1
	s_or_b64 exec, exec, s[88:89]
	s_and_saveexec_b64 s[88:89], s[22:23]
	s_cbranch_execnz .LBB168_143
.LBB168_107:                            ;   in Loop: Header=BB168_21 Depth=1
	s_or_b64 exec, exec, s[88:89]
	s_and_saveexec_b64 s[88:89], s[24:25]
	s_cbranch_execnz .LBB168_144
.LBB168_108:                            ;   in Loop: Header=BB168_21 Depth=1
	s_or_b64 exec, exec, s[88:89]
	s_and_saveexec_b64 s[88:89], s[26:27]
	s_cbranch_execnz .LBB168_145
.LBB168_109:                            ;   in Loop: Header=BB168_21 Depth=1
	s_or_b64 exec, exec, s[88:89]
	s_and_saveexec_b64 s[88:89], s[28:29]
	s_cbranch_execnz .LBB168_146
.LBB168_110:                            ;   in Loop: Header=BB168_21 Depth=1
	s_or_b64 exec, exec, s[88:89]
	s_and_saveexec_b64 s[88:89], s[30:31]
	s_cbranch_execnz .LBB168_147
.LBB168_111:                            ;   in Loop: Header=BB168_21 Depth=1
	s_or_b64 exec, exec, s[88:89]
	s_and_saveexec_b64 s[88:89], s[16:17]
	s_cbranch_execz .LBB168_20
	s_branch .LBB168_148
.LBB168_112:                            ;   in Loop: Header=BB168_21 Depth=1
	v_cndmask_b32_e32 v50, v14, v24, vcc
	v_add_u32_e32 v50, s39, v50
	v_add_u32_e32 v50, 0x60, v50
	v_ashrrev_i32_e32 v51, 31, v50
	v_lshlrev_b64 v[50:51], 3, v[50:51]
	v_mov_b32_e32 v52, s43
	v_add_co_u32_e64 v50, s[0:1], s42, v50
	v_addc_co_u32_e64 v51, s[0:1], v52, v51, s[0:1]
	global_load_dwordx2 v[50:51], v[50:51], off
	v_add3_u32 v52, v0, v11, s33
	v_ashrrev_i32_e32 v53, 31, v52
	v_lshlrev_b64 v[54:55], 2, v[52:53]
	v_mov_b32_e32 v56, s5
	v_add_co_u32_e64 v54, s[0:1], s4, v54
	v_addc_co_u32_e64 v55, s[0:1], v56, v55, s[0:1]
	v_lshlrev_b64 v[52:53], 3, v[52:53]
	global_store_dword v[54:55], v27, off
	v_mov_b32_e32 v54, s41
	v_add_co_u32_e64 v52, s[0:1], s40, v52
	v_addc_co_u32_e64 v53, s[0:1], v54, v53, s[0:1]
	s_waitcnt vmcnt(1)
	global_store_dwordx2 v[52:53], v[50:51], off
	s_or_b64 exec, exec, s[88:89]
	s_and_saveexec_b64 s[88:89], s[44:45]
	s_cbranch_execz .LBB168_77
.LBB168_113:                            ;   in Loop: Header=BB168_21 Depth=1
	v_add_u32_e32 v50, 0x80, v49
	v_add_u32_e32 v51, 0x60, v44
	v_cndmask_b32_e32 v50, v51, v50, vcc
	v_ashrrev_i32_e32 v51, 31, v50
	v_lshlrev_b64 v[50:51], 3, v[50:51]
	v_mov_b32_e32 v52, s43
	v_add_co_u32_e64 v50, s[0:1], s42, v50
	v_addc_co_u32_e64 v51, s[0:1], v52, v51, s[0:1]
	global_load_dwordx2 v[50:51], v[50:51], off
	v_add3_u32 v52, v0, v11, s90
	v_ashrrev_i32_e32 v53, 31, v52
	v_lshlrev_b64 v[54:55], 2, v[52:53]
	v_mov_b32_e32 v56, s5
	v_add_co_u32_e64 v54, s[0:1], s4, v54
	v_addc_co_u32_e64 v55, s[0:1], v56, v55, s[0:1]
	v_lshlrev_b64 v[52:53], 3, v[52:53]
	global_store_dword v[54:55], v29, off
	v_mov_b32_e32 v54, s41
	v_add_co_u32_e64 v52, s[0:1], s40, v52
	v_addc_co_u32_e64 v53, s[0:1], v54, v53, s[0:1]
	s_waitcnt vmcnt(1)
	global_store_dwordx2 v[52:53], v[50:51], off
	s_or_b64 exec, exec, s[88:89]
	s_and_saveexec_b64 s[88:89], s[46:47]
	s_cbranch_execz .LBB168_78
.LBB168_114:                            ;   in Loop: Header=BB168_21 Depth=1
	v_add_u32_e32 v50, 0xa0, v49
	v_add_u32_e32 v51, 0x60, v45
	v_cndmask_b32_e32 v50, v51, v50, vcc
	v_ashrrev_i32_e32 v51, 31, v50
	v_lshlrev_b64 v[50:51], 3, v[50:51]
	v_mov_b32_e32 v52, s43
	v_add_co_u32_e64 v50, s[0:1], s42, v50
	v_addc_co_u32_e64 v51, s[0:1], v52, v51, s[0:1]
	global_load_dwordx2 v[50:51], v[50:51], off
	v_add3_u32 v52, v0, v11, s91
	v_ashrrev_i32_e32 v53, 31, v52
	v_lshlrev_b64 v[54:55], 2, v[52:53]
	v_mov_b32_e32 v56, s5
	v_add_co_u32_e64 v54, s[0:1], s4, v54
	v_addc_co_u32_e64 v55, s[0:1], v56, v55, s[0:1]
	v_lshlrev_b64 v[52:53], 3, v[52:53]
	global_store_dword v[54:55], v31, off
	v_mov_b32_e32 v54, s41
	v_add_co_u32_e64 v52, s[0:1], s40, v52
	v_addc_co_u32_e64 v53, s[0:1], v54, v53, s[0:1]
	s_waitcnt vmcnt(1)
	global_store_dwordx2 v[52:53], v[50:51], off
	s_or_b64 exec, exec, s[88:89]
	s_and_saveexec_b64 s[88:89], s[48:49]
	s_cbranch_execz .LBB168_79
.LBB168_115:                            ;   in Loop: Header=BB168_21 Depth=1
	v_add_u32_e32 v50, 0xc0, v49
	v_add_u32_e32 v51, 0x60, v46
	v_cndmask_b32_e32 v50, v51, v50, vcc
	v_ashrrev_i32_e32 v51, 31, v50
	v_lshlrev_b64 v[50:51], 3, v[50:51]
	v_mov_b32_e32 v52, s43
	v_add_co_u32_e64 v50, s[0:1], s42, v50
	v_addc_co_u32_e64 v51, s[0:1], v52, v51, s[0:1]
	global_load_dwordx2 v[50:51], v[50:51], off
	v_add3_u32 v52, v0, v11, s92
	v_ashrrev_i32_e32 v53, 31, v52
	v_lshlrev_b64 v[54:55], 2, v[52:53]
	v_mov_b32_e32 v56, s5
	v_add_co_u32_e64 v54, s[0:1], s4, v54
	v_addc_co_u32_e64 v55, s[0:1], v56, v55, s[0:1]
	v_lshlrev_b64 v[52:53], 3, v[52:53]
	global_store_dword v[54:55], v33, off
	v_mov_b32_e32 v54, s41
	v_add_co_u32_e64 v52, s[0:1], s40, v52
	v_addc_co_u32_e64 v53, s[0:1], v54, v53, s[0:1]
	s_waitcnt vmcnt(1)
	global_store_dwordx2 v[52:53], v[50:51], off
	s_or_b64 exec, exec, s[88:89]
	s_and_saveexec_b64 s[88:89], s[8:9]
	s_cbranch_execz .LBB168_80
.LBB168_116:                            ;   in Loop: Header=BB168_21 Depth=1
	v_add_u32_e32 v49, 0xe0, v49
	v_add_u32_e32 v50, 0x60, v47
	v_cndmask_b32_e32 v50, v50, v49, vcc
	v_ashrrev_i32_e32 v51, 31, v50
	v_lshlrev_b64 v[50:51], 3, v[50:51]
	v_mov_b32_e32 v49, s43
	v_add_co_u32_e64 v50, s[0:1], s42, v50
	v_addc_co_u32_e64 v51, s[0:1], v49, v51, s[0:1]
	global_load_dwordx2 v[50:51], v[50:51], off
	v_add3_u32 v52, v0, v11, s93
	v_ashrrev_i32_e32 v53, 31, v52
	v_lshlrev_b64 v[54:55], 2, v[52:53]
	v_mov_b32_e32 v49, s5
	v_add_co_u32_e64 v54, s[0:1], s4, v54
	v_addc_co_u32_e64 v55, s[0:1], v49, v55, s[0:1]
	v_lshlrev_b64 v[52:53], 3, v[52:53]
	v_mov_b32_e32 v49, s41
	v_add_co_u32_e64 v52, s[0:1], s40, v52
	v_addc_co_u32_e64 v53, s[0:1], v49, v53, s[0:1]
	global_store_dword v[54:55], v40, off
	s_waitcnt vmcnt(1)
	global_store_dwordx2 v[52:53], v[50:51], off
	s_or_b64 exec, exec, s[88:89]
	v_add_u32_e32 v49, s39, v26
	s_and_saveexec_b64 s[88:89], s[50:51]
	s_cbranch_execz .LBB168_81
.LBB168_117:                            ;   in Loop: Header=BB168_21 Depth=1
	v_add_u32_e32 v50, 0x80, v48
	v_cndmask_b32_e32 v50, v50, v49, vcc
	v_ashrrev_i32_e32 v51, 31, v50
	v_lshlrev_b64 v[50:51], 3, v[50:51]
	v_mov_b32_e32 v52, s43
	v_add_co_u32_e64 v50, s[0:1], s42, v50
	v_addc_co_u32_e64 v51, s[0:1], v52, v51, s[0:1]
	global_load_dwordx2 v[50:51], v[50:51], off
	v_add_u32_e32 v52, v0, v9
	v_ashrrev_i32_e32 v53, 31, v52
	v_lshlrev_b64 v[54:55], 2, v[52:53]
	v_mov_b32_e32 v56, s5
	v_add_co_u32_e64 v54, s[0:1], s4, v54
	v_addc_co_u32_e64 v55, s[0:1], v56, v55, s[0:1]
	v_lshlrev_b64 v[52:53], 3, v[52:53]
	global_store_dword v[54:55], v21, off
	v_mov_b32_e32 v54, s41
	v_add_co_u32_e64 v52, s[0:1], s40, v52
	v_addc_co_u32_e64 v53, s[0:1], v54, v53, s[0:1]
	s_waitcnt vmcnt(1)
	global_store_dwordx2 v[52:53], v[50:51], off
	s_or_b64 exec, exec, s[88:89]
	s_and_saveexec_b64 s[88:89], s[52:53]
	s_cbranch_execz .LBB168_82
.LBB168_118:                            ;   in Loop: Header=BB168_21 Depth=1
	v_add3_u32 v50, v26, s39, 32
	v_add_u32_e32 v51, 0x80, v41
	v_cndmask_b32_e32 v50, v51, v50, vcc
	v_ashrrev_i32_e32 v51, 31, v50
	v_lshlrev_b64 v[50:51], 3, v[50:51]
	v_mov_b32_e32 v52, s43
	v_add_co_u32_e64 v50, s[0:1], s42, v50
	v_addc_co_u32_e64 v51, s[0:1], v52, v51, s[0:1]
	global_load_dwordx2 v[50:51], v[50:51], off
	v_add3_u32 v52, v0, v9, 32
	v_ashrrev_i32_e32 v53, 31, v52
	v_lshlrev_b64 v[54:55], 2, v[52:53]
	v_mov_b32_e32 v56, s5
	v_add_co_u32_e64 v54, s[0:1], s4, v54
	v_addc_co_u32_e64 v55, s[0:1], v56, v55, s[0:1]
	v_lshlrev_b64 v[52:53], 3, v[52:53]
	global_store_dword v[54:55], v23, off
	v_mov_b32_e32 v54, s41
	v_add_co_u32_e64 v52, s[0:1], s40, v52
	v_addc_co_u32_e64 v53, s[0:1], v54, v53, s[0:1]
	s_waitcnt vmcnt(1)
	global_store_dwordx2 v[52:53], v[50:51], off
	s_or_b64 exec, exec, s[88:89]
	s_and_saveexec_b64 s[88:89], s[54:55]
	s_cbranch_execz .LBB168_83
.LBB168_119:                            ;   in Loop: Header=BB168_21 Depth=1
	v_add3_u32 v50, v26, s39, 64
	v_add_u32_e32 v51, 0x80, v42
	v_cndmask_b32_e32 v50, v51, v50, vcc
	v_ashrrev_i32_e32 v51, 31, v50
	v_lshlrev_b64 v[50:51], 3, v[50:51]
	v_mov_b32_e32 v52, s43
	v_add_co_u32_e64 v50, s[0:1], s42, v50
	v_addc_co_u32_e64 v51, s[0:1], v52, v51, s[0:1]
	global_load_dwordx2 v[50:51], v[50:51], off
	v_add3_u32 v52, v0, v9, 64
	v_ashrrev_i32_e32 v53, 31, v52
	v_lshlrev_b64 v[54:55], 2, v[52:53]
	v_mov_b32_e32 v56, s5
	v_add_co_u32_e64 v54, s[0:1], s4, v54
	v_addc_co_u32_e64 v55, s[0:1], v56, v55, s[0:1]
	v_lshlrev_b64 v[52:53], 3, v[52:53]
	global_store_dword v[54:55], v25, off
	v_mov_b32_e32 v54, s41
	v_add_co_u32_e64 v52, s[0:1], s40, v52
	v_addc_co_u32_e64 v53, s[0:1], v54, v53, s[0:1]
	s_waitcnt vmcnt(1)
	global_store_dwordx2 v[52:53], v[50:51], off
	s_or_b64 exec, exec, s[88:89]
	s_and_saveexec_b64 s[88:89], s[56:57]
	s_cbranch_execz .LBB168_84
.LBB168_120:                            ;   in Loop: Header=BB168_21 Depth=1
	v_add_u32_e32 v50, 0x60, v49
	v_add_u32_e32 v51, 0x80, v43
	v_cndmask_b32_e32 v50, v51, v50, vcc
	v_ashrrev_i32_e32 v51, 31, v50
	v_lshlrev_b64 v[50:51], 3, v[50:51]
	v_mov_b32_e32 v52, s43
	v_add_co_u32_e64 v50, s[0:1], s42, v50
	v_addc_co_u32_e64 v51, s[0:1], v52, v51, s[0:1]
	global_load_dwordx2 v[50:51], v[50:51], off
	v_add3_u32 v52, v0, v9, s33
	v_ashrrev_i32_e32 v53, 31, v52
	v_lshlrev_b64 v[54:55], 2, v[52:53]
	v_mov_b32_e32 v56, s5
	v_add_co_u32_e64 v54, s[0:1], s4, v54
	v_addc_co_u32_e64 v55, s[0:1], v56, v55, s[0:1]
	v_lshlrev_b64 v[52:53], 3, v[52:53]
	global_store_dword v[54:55], v27, off
	v_mov_b32_e32 v54, s41
	v_add_co_u32_e64 v52, s[0:1], s40, v52
	v_addc_co_u32_e64 v53, s[0:1], v54, v53, s[0:1]
	s_waitcnt vmcnt(1)
	global_store_dwordx2 v[52:53], v[50:51], off
	s_or_b64 exec, exec, s[88:89]
	s_and_saveexec_b64 s[88:89], s[58:59]
	s_cbranch_execz .LBB168_85
.LBB168_121:                            ;   in Loop: Header=BB168_21 Depth=1
	v_cndmask_b32_e32 v50, v12, v26, vcc
	v_add_u32_e32 v50, s39, v50
	v_add_u32_e32 v50, 0x80, v50
	v_ashrrev_i32_e32 v51, 31, v50
	v_lshlrev_b64 v[50:51], 3, v[50:51]
	v_mov_b32_e32 v52, s43
	v_add_co_u32_e64 v50, s[0:1], s42, v50
	v_addc_co_u32_e64 v51, s[0:1], v52, v51, s[0:1]
	global_load_dwordx2 v[50:51], v[50:51], off
	v_add3_u32 v52, v0, v9, s90
	v_ashrrev_i32_e32 v53, 31, v52
	v_lshlrev_b64 v[54:55], 2, v[52:53]
	v_mov_b32_e32 v56, s5
	v_add_co_u32_e64 v54, s[0:1], s4, v54
	v_addc_co_u32_e64 v55, s[0:1], v56, v55, s[0:1]
	v_lshlrev_b64 v[52:53], 3, v[52:53]
	global_store_dword v[54:55], v29, off
	v_mov_b32_e32 v54, s41
	v_add_co_u32_e64 v52, s[0:1], s40, v52
	v_addc_co_u32_e64 v53, s[0:1], v54, v53, s[0:1]
	s_waitcnt vmcnt(1)
	global_store_dwordx2 v[52:53], v[50:51], off
	s_or_b64 exec, exec, s[88:89]
	s_and_saveexec_b64 s[88:89], s[60:61]
	s_cbranch_execz .LBB168_86
.LBB168_122:                            ;   in Loop: Header=BB168_21 Depth=1
	v_add_u32_e32 v50, 0xa0, v49
	v_add_u32_e32 v51, 0x80, v45
	v_cndmask_b32_e32 v50, v51, v50, vcc
	v_ashrrev_i32_e32 v51, 31, v50
	v_lshlrev_b64 v[50:51], 3, v[50:51]
	v_mov_b32_e32 v52, s43
	v_add_co_u32_e64 v50, s[0:1], s42, v50
	v_addc_co_u32_e64 v51, s[0:1], v52, v51, s[0:1]
	global_load_dwordx2 v[50:51], v[50:51], off
	v_add3_u32 v52, v0, v9, s91
	v_ashrrev_i32_e32 v53, 31, v52
	v_lshlrev_b64 v[54:55], 2, v[52:53]
	v_mov_b32_e32 v56, s5
	v_add_co_u32_e64 v54, s[0:1], s4, v54
	v_addc_co_u32_e64 v55, s[0:1], v56, v55, s[0:1]
	v_lshlrev_b64 v[52:53], 3, v[52:53]
	global_store_dword v[54:55], v31, off
	v_mov_b32_e32 v54, s41
	v_add_co_u32_e64 v52, s[0:1], s40, v52
	v_addc_co_u32_e64 v53, s[0:1], v54, v53, s[0:1]
	s_waitcnt vmcnt(1)
	global_store_dwordx2 v[52:53], v[50:51], off
	s_or_b64 exec, exec, s[88:89]
	s_and_saveexec_b64 s[88:89], s[62:63]
	s_cbranch_execz .LBB168_87
.LBB168_123:                            ;   in Loop: Header=BB168_21 Depth=1
	v_add_u32_e32 v50, 0xc0, v49
	v_add_u32_e32 v51, 0x80, v46
	v_cndmask_b32_e32 v50, v51, v50, vcc
	v_ashrrev_i32_e32 v51, 31, v50
	v_lshlrev_b64 v[50:51], 3, v[50:51]
	v_mov_b32_e32 v52, s43
	v_add_co_u32_e64 v50, s[0:1], s42, v50
	v_addc_co_u32_e64 v51, s[0:1], v52, v51, s[0:1]
	global_load_dwordx2 v[50:51], v[50:51], off
	v_add3_u32 v52, v0, v9, s92
	v_ashrrev_i32_e32 v53, 31, v52
	v_lshlrev_b64 v[54:55], 2, v[52:53]
	v_mov_b32_e32 v56, s5
	v_add_co_u32_e64 v54, s[0:1], s4, v54
	v_addc_co_u32_e64 v55, s[0:1], v56, v55, s[0:1]
	v_lshlrev_b64 v[52:53], 3, v[52:53]
	global_store_dword v[54:55], v33, off
	v_mov_b32_e32 v54, s41
	v_add_co_u32_e64 v52, s[0:1], s40, v52
	v_addc_co_u32_e64 v53, s[0:1], v54, v53, s[0:1]
	s_waitcnt vmcnt(1)
	global_store_dwordx2 v[52:53], v[50:51], off
	s_or_b64 exec, exec, s[88:89]
	s_and_saveexec_b64 s[88:89], s[10:11]
	s_cbranch_execz .LBB168_88
.LBB168_124:                            ;   in Loop: Header=BB168_21 Depth=1
	v_add_u32_e32 v49, 0xe0, v49
	v_add_u32_e32 v50, 0x80, v47
	v_cndmask_b32_e32 v50, v50, v49, vcc
	v_ashrrev_i32_e32 v51, 31, v50
	v_lshlrev_b64 v[50:51], 3, v[50:51]
	v_mov_b32_e32 v49, s43
	v_add_co_u32_e64 v50, s[0:1], s42, v50
	v_addc_co_u32_e64 v51, s[0:1], v49, v51, s[0:1]
	global_load_dwordx2 v[50:51], v[50:51], off
	v_add3_u32 v52, v0, v9, s93
	v_ashrrev_i32_e32 v53, 31, v52
	v_lshlrev_b64 v[54:55], 2, v[52:53]
	v_mov_b32_e32 v49, s5
	v_add_co_u32_e64 v54, s[0:1], s4, v54
	v_addc_co_u32_e64 v55, s[0:1], v49, v55, s[0:1]
	v_lshlrev_b64 v[52:53], 3, v[52:53]
	v_mov_b32_e32 v49, s41
	v_add_co_u32_e64 v52, s[0:1], s40, v52
	v_addc_co_u32_e64 v53, s[0:1], v49, v53, s[0:1]
	global_store_dword v[54:55], v40, off
	s_waitcnt vmcnt(1)
	global_store_dwordx2 v[52:53], v[50:51], off
	s_or_b64 exec, exec, s[88:89]
	v_add_u32_e32 v49, s39, v28
	s_and_saveexec_b64 s[88:89], s[64:65]
	s_cbranch_execz .LBB168_89
.LBB168_125:                            ;   in Loop: Header=BB168_21 Depth=1
	v_add_u32_e32 v50, 0xa0, v48
	v_cndmask_b32_e32 v50, v50, v49, vcc
	v_ashrrev_i32_e32 v51, 31, v50
	v_lshlrev_b64 v[50:51], 3, v[50:51]
	v_mov_b32_e32 v52, s43
	v_add_co_u32_e64 v50, s[0:1], s42, v50
	v_addc_co_u32_e64 v51, s[0:1], v52, v51, s[0:1]
	global_load_dwordx2 v[50:51], v[50:51], off
	v_add_u32_e32 v52, v0, v7
	v_ashrrev_i32_e32 v53, 31, v52
	v_lshlrev_b64 v[54:55], 2, v[52:53]
	v_mov_b32_e32 v56, s5
	v_add_co_u32_e64 v54, s[0:1], s4, v54
	v_addc_co_u32_e64 v55, s[0:1], v56, v55, s[0:1]
	v_lshlrev_b64 v[52:53], 3, v[52:53]
	global_store_dword v[54:55], v21, off
	v_mov_b32_e32 v54, s41
	v_add_co_u32_e64 v52, s[0:1], s40, v52
	v_addc_co_u32_e64 v53, s[0:1], v54, v53, s[0:1]
	s_waitcnt vmcnt(1)
	global_store_dwordx2 v[52:53], v[50:51], off
	s_or_b64 exec, exec, s[88:89]
	s_and_saveexec_b64 s[88:89], s[66:67]
	s_cbranch_execz .LBB168_90
.LBB168_126:                            ;   in Loop: Header=BB168_21 Depth=1
	v_add3_u32 v50, v28, s39, 32
	v_add_u32_e32 v51, 0xa0, v41
	v_cndmask_b32_e32 v50, v51, v50, vcc
	v_ashrrev_i32_e32 v51, 31, v50
	v_lshlrev_b64 v[50:51], 3, v[50:51]
	v_mov_b32_e32 v52, s43
	v_add_co_u32_e64 v50, s[0:1], s42, v50
	v_addc_co_u32_e64 v51, s[0:1], v52, v51, s[0:1]
	global_load_dwordx2 v[50:51], v[50:51], off
	v_add3_u32 v52, v0, v7, 32
	v_ashrrev_i32_e32 v53, 31, v52
	v_lshlrev_b64 v[54:55], 2, v[52:53]
	v_mov_b32_e32 v56, s5
	v_add_co_u32_e64 v54, s[0:1], s4, v54
	v_addc_co_u32_e64 v55, s[0:1], v56, v55, s[0:1]
	v_lshlrev_b64 v[52:53], 3, v[52:53]
	global_store_dword v[54:55], v23, off
	v_mov_b32_e32 v54, s41
	v_add_co_u32_e64 v52, s[0:1], s40, v52
	v_addc_co_u32_e64 v53, s[0:1], v54, v53, s[0:1]
	s_waitcnt vmcnt(1)
	global_store_dwordx2 v[52:53], v[50:51], off
	s_or_b64 exec, exec, s[88:89]
	s_and_saveexec_b64 s[88:89], s[68:69]
	s_cbranch_execz .LBB168_91
.LBB168_127:                            ;   in Loop: Header=BB168_21 Depth=1
	v_add3_u32 v50, v28, s39, 64
	v_add_u32_e32 v51, 0xa0, v42
	v_cndmask_b32_e32 v50, v51, v50, vcc
	v_ashrrev_i32_e32 v51, 31, v50
	v_lshlrev_b64 v[50:51], 3, v[50:51]
	v_mov_b32_e32 v52, s43
	v_add_co_u32_e64 v50, s[0:1], s42, v50
	v_addc_co_u32_e64 v51, s[0:1], v52, v51, s[0:1]
	global_load_dwordx2 v[50:51], v[50:51], off
	v_add3_u32 v52, v0, v7, 64
	v_ashrrev_i32_e32 v53, 31, v52
	v_lshlrev_b64 v[54:55], 2, v[52:53]
	v_mov_b32_e32 v56, s5
	v_add_co_u32_e64 v54, s[0:1], s4, v54
	v_addc_co_u32_e64 v55, s[0:1], v56, v55, s[0:1]
	v_lshlrev_b64 v[52:53], 3, v[52:53]
	global_store_dword v[54:55], v25, off
	v_mov_b32_e32 v54, s41
	v_add_co_u32_e64 v52, s[0:1], s40, v52
	v_addc_co_u32_e64 v53, s[0:1], v54, v53, s[0:1]
	s_waitcnt vmcnt(1)
	global_store_dwordx2 v[52:53], v[50:51], off
	s_or_b64 exec, exec, s[88:89]
	s_and_saveexec_b64 s[88:89], s[70:71]
	s_cbranch_execz .LBB168_92
.LBB168_128:                            ;   in Loop: Header=BB168_21 Depth=1
	v_add_u32_e32 v50, 0x60, v49
	v_add_u32_e32 v51, 0xa0, v43
	v_cndmask_b32_e32 v50, v51, v50, vcc
	v_ashrrev_i32_e32 v51, 31, v50
	v_lshlrev_b64 v[50:51], 3, v[50:51]
	v_mov_b32_e32 v52, s43
	v_add_co_u32_e64 v50, s[0:1], s42, v50
	v_addc_co_u32_e64 v51, s[0:1], v52, v51, s[0:1]
	global_load_dwordx2 v[50:51], v[50:51], off
	v_add3_u32 v52, v0, v7, s33
	v_ashrrev_i32_e32 v53, 31, v52
	v_lshlrev_b64 v[54:55], 2, v[52:53]
	v_mov_b32_e32 v56, s5
	v_add_co_u32_e64 v54, s[0:1], s4, v54
	v_addc_co_u32_e64 v55, s[0:1], v56, v55, s[0:1]
	v_lshlrev_b64 v[52:53], 3, v[52:53]
	global_store_dword v[54:55], v27, off
	v_mov_b32_e32 v54, s41
	v_add_co_u32_e64 v52, s[0:1], s40, v52
	v_addc_co_u32_e64 v53, s[0:1], v54, v53, s[0:1]
	s_waitcnt vmcnt(1)
	global_store_dwordx2 v[52:53], v[50:51], off
	s_or_b64 exec, exec, s[88:89]
	s_and_saveexec_b64 s[88:89], s[72:73]
	s_cbranch_execz .LBB168_93
.LBB168_129:                            ;   in Loop: Header=BB168_21 Depth=1
	v_add_u32_e32 v50, 0x80, v49
	v_add_u32_e32 v51, 0xa0, v44
	v_cndmask_b32_e32 v50, v51, v50, vcc
	v_ashrrev_i32_e32 v51, 31, v50
	v_lshlrev_b64 v[50:51], 3, v[50:51]
	v_mov_b32_e32 v52, s43
	v_add_co_u32_e64 v50, s[0:1], s42, v50
	v_addc_co_u32_e64 v51, s[0:1], v52, v51, s[0:1]
	global_load_dwordx2 v[50:51], v[50:51], off
	v_add3_u32 v52, v0, v7, s90
	v_ashrrev_i32_e32 v53, 31, v52
	v_lshlrev_b64 v[54:55], 2, v[52:53]
	v_mov_b32_e32 v56, s5
	v_add_co_u32_e64 v54, s[0:1], s4, v54
	v_addc_co_u32_e64 v55, s[0:1], v56, v55, s[0:1]
	v_lshlrev_b64 v[52:53], 3, v[52:53]
	global_store_dword v[54:55], v29, off
	v_mov_b32_e32 v54, s41
	v_add_co_u32_e64 v52, s[0:1], s40, v52
	v_addc_co_u32_e64 v53, s[0:1], v54, v53, s[0:1]
	s_waitcnt vmcnt(1)
	global_store_dwordx2 v[52:53], v[50:51], off
	s_or_b64 exec, exec, s[88:89]
	s_and_saveexec_b64 s[88:89], s[2:3]
	s_cbranch_execz .LBB168_94
.LBB168_130:                            ;   in Loop: Header=BB168_21 Depth=1
	v_cndmask_b32_e32 v50, v10, v28, vcc
	v_add_u32_e32 v50, s39, v50
	v_add_u32_e32 v50, 0xa0, v50
	v_ashrrev_i32_e32 v51, 31, v50
	v_lshlrev_b64 v[50:51], 3, v[50:51]
	v_mov_b32_e32 v52, s43
	v_add_co_u32_e64 v50, s[0:1], s42, v50
	v_addc_co_u32_e64 v51, s[0:1], v52, v51, s[0:1]
	global_load_dwordx2 v[50:51], v[50:51], off
	v_add3_u32 v52, v0, v7, s91
	v_ashrrev_i32_e32 v53, 31, v52
	v_lshlrev_b64 v[54:55], 2, v[52:53]
	v_mov_b32_e32 v56, s5
	v_add_co_u32_e64 v54, s[0:1], s4, v54
	v_addc_co_u32_e64 v55, s[0:1], v56, v55, s[0:1]
	v_lshlrev_b64 v[52:53], 3, v[52:53]
	global_store_dword v[54:55], v31, off
	v_mov_b32_e32 v54, s41
	v_add_co_u32_e64 v52, s[0:1], s40, v52
	v_addc_co_u32_e64 v53, s[0:1], v54, v53, s[0:1]
	s_waitcnt vmcnt(1)
	global_store_dwordx2 v[52:53], v[50:51], off
	s_or_b64 exec, exec, s[88:89]
	s_and_saveexec_b64 s[88:89], s[74:75]
	s_cbranch_execz .LBB168_95
.LBB168_131:                            ;   in Loop: Header=BB168_21 Depth=1
	v_add_u32_e32 v50, 0xc0, v49
	v_add_u32_e32 v51, 0xa0, v46
	v_cndmask_b32_e32 v50, v51, v50, vcc
	v_ashrrev_i32_e32 v51, 31, v50
	v_lshlrev_b64 v[50:51], 3, v[50:51]
	v_mov_b32_e32 v52, s43
	v_add_co_u32_e64 v50, s[0:1], s42, v50
	v_addc_co_u32_e64 v51, s[0:1], v52, v51, s[0:1]
	global_load_dwordx2 v[50:51], v[50:51], off
	v_add3_u32 v52, v0, v7, s92
	v_ashrrev_i32_e32 v53, 31, v52
	v_lshlrev_b64 v[54:55], 2, v[52:53]
	v_mov_b32_e32 v56, s5
	v_add_co_u32_e64 v54, s[0:1], s4, v54
	v_addc_co_u32_e64 v55, s[0:1], v56, v55, s[0:1]
	v_lshlrev_b64 v[52:53], 3, v[52:53]
	global_store_dword v[54:55], v33, off
	v_mov_b32_e32 v54, s41
	v_add_co_u32_e64 v52, s[0:1], s40, v52
	v_addc_co_u32_e64 v53, s[0:1], v54, v53, s[0:1]
	s_waitcnt vmcnt(1)
	global_store_dwordx2 v[52:53], v[50:51], off
	s_or_b64 exec, exec, s[88:89]
	s_and_saveexec_b64 s[88:89], s[12:13]
	s_cbranch_execz .LBB168_96
.LBB168_132:                            ;   in Loop: Header=BB168_21 Depth=1
	v_add_u32_e32 v49, 0xe0, v49
	v_add_u32_e32 v50, 0xa0, v47
	v_cndmask_b32_e32 v50, v50, v49, vcc
	v_ashrrev_i32_e32 v51, 31, v50
	v_lshlrev_b64 v[50:51], 3, v[50:51]
	v_mov_b32_e32 v49, s43
	v_add_co_u32_e64 v50, s[0:1], s42, v50
	v_addc_co_u32_e64 v51, s[0:1], v49, v51, s[0:1]
	global_load_dwordx2 v[50:51], v[50:51], off
	v_add3_u32 v52, v0, v7, s93
	v_ashrrev_i32_e32 v53, 31, v52
	v_lshlrev_b64 v[54:55], 2, v[52:53]
	v_mov_b32_e32 v49, s5
	v_add_co_u32_e64 v54, s[0:1], s4, v54
	v_addc_co_u32_e64 v55, s[0:1], v49, v55, s[0:1]
	v_lshlrev_b64 v[52:53], 3, v[52:53]
	v_mov_b32_e32 v49, s41
	v_add_co_u32_e64 v52, s[0:1], s40, v52
	v_addc_co_u32_e64 v53, s[0:1], v49, v53, s[0:1]
	global_store_dword v[54:55], v40, off
	s_waitcnt vmcnt(1)
	global_store_dwordx2 v[52:53], v[50:51], off
	s_or_b64 exec, exec, s[88:89]
	v_add_u32_e32 v49, s39, v30
	s_and_saveexec_b64 s[88:89], s[76:77]
	s_cbranch_execz .LBB168_97
.LBB168_133:                            ;   in Loop: Header=BB168_21 Depth=1
	v_add_u32_e32 v50, 0xc0, v48
	v_cndmask_b32_e32 v50, v50, v49, vcc
	v_ashrrev_i32_e32 v51, 31, v50
	v_lshlrev_b64 v[50:51], 3, v[50:51]
	v_mov_b32_e32 v52, s43
	v_add_co_u32_e64 v50, s[0:1], s42, v50
	v_addc_co_u32_e64 v51, s[0:1], v52, v51, s[0:1]
	global_load_dwordx2 v[50:51], v[50:51], off
	v_add_u32_e32 v52, v0, v5
	v_ashrrev_i32_e32 v53, 31, v52
	v_lshlrev_b64 v[54:55], 2, v[52:53]
	v_mov_b32_e32 v56, s5
	v_add_co_u32_e64 v54, s[0:1], s4, v54
	v_addc_co_u32_e64 v55, s[0:1], v56, v55, s[0:1]
	v_lshlrev_b64 v[52:53], 3, v[52:53]
	global_store_dword v[54:55], v21, off
	v_mov_b32_e32 v54, s41
	v_add_co_u32_e64 v52, s[0:1], s40, v52
	v_addc_co_u32_e64 v53, s[0:1], v54, v53, s[0:1]
	s_waitcnt vmcnt(1)
	global_store_dwordx2 v[52:53], v[50:51], off
	s_or_b64 exec, exec, s[88:89]
	s_and_saveexec_b64 s[88:89], s[78:79]
	s_cbranch_execz .LBB168_98
.LBB168_134:                            ;   in Loop: Header=BB168_21 Depth=1
	v_add3_u32 v50, v30, s39, 32
	v_add_u32_e32 v51, 0xc0, v41
	v_cndmask_b32_e32 v50, v51, v50, vcc
	v_ashrrev_i32_e32 v51, 31, v50
	v_lshlrev_b64 v[50:51], 3, v[50:51]
	v_mov_b32_e32 v52, s43
	v_add_co_u32_e64 v50, s[0:1], s42, v50
	v_addc_co_u32_e64 v51, s[0:1], v52, v51, s[0:1]
	global_load_dwordx2 v[50:51], v[50:51], off
	v_add3_u32 v52, v0, v5, 32
	v_ashrrev_i32_e32 v53, 31, v52
	v_lshlrev_b64 v[54:55], 2, v[52:53]
	v_mov_b32_e32 v56, s5
	v_add_co_u32_e64 v54, s[0:1], s4, v54
	v_addc_co_u32_e64 v55, s[0:1], v56, v55, s[0:1]
	v_lshlrev_b64 v[52:53], 3, v[52:53]
	global_store_dword v[54:55], v23, off
	v_mov_b32_e32 v54, s41
	v_add_co_u32_e64 v52, s[0:1], s40, v52
	v_addc_co_u32_e64 v53, s[0:1], v54, v53, s[0:1]
	s_waitcnt vmcnt(1)
	global_store_dwordx2 v[52:53], v[50:51], off
	s_or_b64 exec, exec, s[88:89]
	s_and_saveexec_b64 s[88:89], s[80:81]
	s_cbranch_execz .LBB168_99
.LBB168_135:                            ;   in Loop: Header=BB168_21 Depth=1
	v_add3_u32 v50, v30, s39, 64
	v_add_u32_e32 v51, 0xc0, v42
	v_cndmask_b32_e32 v50, v51, v50, vcc
	v_ashrrev_i32_e32 v51, 31, v50
	v_lshlrev_b64 v[50:51], 3, v[50:51]
	v_mov_b32_e32 v52, s43
	v_add_co_u32_e64 v50, s[0:1], s42, v50
	v_addc_co_u32_e64 v51, s[0:1], v52, v51, s[0:1]
	global_load_dwordx2 v[50:51], v[50:51], off
	v_add3_u32 v52, v0, v5, 64
	v_ashrrev_i32_e32 v53, 31, v52
	v_lshlrev_b64 v[54:55], 2, v[52:53]
	v_mov_b32_e32 v56, s5
	v_add_co_u32_e64 v54, s[0:1], s4, v54
	v_addc_co_u32_e64 v55, s[0:1], v56, v55, s[0:1]
	v_lshlrev_b64 v[52:53], 3, v[52:53]
	global_store_dword v[54:55], v25, off
	v_mov_b32_e32 v54, s41
	v_add_co_u32_e64 v52, s[0:1], s40, v52
	v_addc_co_u32_e64 v53, s[0:1], v54, v53, s[0:1]
	s_waitcnt vmcnt(1)
	global_store_dwordx2 v[52:53], v[50:51], off
	s_or_b64 exec, exec, s[88:89]
	s_and_saveexec_b64 s[88:89], s[82:83]
	s_cbranch_execz .LBB168_100
.LBB168_136:                            ;   in Loop: Header=BB168_21 Depth=1
	v_add_u32_e32 v50, 0x60, v49
	v_add_u32_e32 v51, 0xc0, v43
	v_cndmask_b32_e32 v50, v51, v50, vcc
	v_ashrrev_i32_e32 v51, 31, v50
	v_lshlrev_b64 v[50:51], 3, v[50:51]
	v_mov_b32_e32 v52, s43
	v_add_co_u32_e64 v50, s[0:1], s42, v50
	v_addc_co_u32_e64 v51, s[0:1], v52, v51, s[0:1]
	global_load_dwordx2 v[50:51], v[50:51], off
	v_add3_u32 v52, v0, v5, s33
	v_ashrrev_i32_e32 v53, 31, v52
	v_lshlrev_b64 v[54:55], 2, v[52:53]
	v_mov_b32_e32 v56, s5
	v_add_co_u32_e64 v54, s[0:1], s4, v54
	v_addc_co_u32_e64 v55, s[0:1], v56, v55, s[0:1]
	v_lshlrev_b64 v[52:53], 3, v[52:53]
	global_store_dword v[54:55], v27, off
	v_mov_b32_e32 v54, s41
	v_add_co_u32_e64 v52, s[0:1], s40, v52
	v_addc_co_u32_e64 v53, s[0:1], v54, v53, s[0:1]
	s_waitcnt vmcnt(1)
	global_store_dwordx2 v[52:53], v[50:51], off
	s_or_b64 exec, exec, s[88:89]
	s_and_saveexec_b64 s[88:89], s[84:85]
	s_cbranch_execz .LBB168_101
.LBB168_137:                            ;   in Loop: Header=BB168_21 Depth=1
	v_add_u32_e32 v50, 0x80, v49
	v_add_u32_e32 v51, 0xc0, v44
	v_cndmask_b32_e32 v50, v51, v50, vcc
	v_ashrrev_i32_e32 v51, 31, v50
	v_lshlrev_b64 v[50:51], 3, v[50:51]
	v_mov_b32_e32 v52, s43
	v_add_co_u32_e64 v50, s[0:1], s42, v50
	v_addc_co_u32_e64 v51, s[0:1], v52, v51, s[0:1]
	global_load_dwordx2 v[50:51], v[50:51], off
	v_add3_u32 v52, v0, v5, s90
	v_ashrrev_i32_e32 v53, 31, v52
	v_lshlrev_b64 v[54:55], 2, v[52:53]
	v_mov_b32_e32 v56, s5
	v_add_co_u32_e64 v54, s[0:1], s4, v54
	v_addc_co_u32_e64 v55, s[0:1], v56, v55, s[0:1]
	v_lshlrev_b64 v[52:53], 3, v[52:53]
	global_store_dword v[54:55], v29, off
	v_mov_b32_e32 v54, s41
	v_add_co_u32_e64 v52, s[0:1], s40, v52
	v_addc_co_u32_e64 v53, s[0:1], v54, v53, s[0:1]
	s_waitcnt vmcnt(1)
	global_store_dwordx2 v[52:53], v[50:51], off
	s_or_b64 exec, exec, s[88:89]
	s_and_saveexec_b64 s[88:89], s[86:87]
	s_cbranch_execz .LBB168_102
.LBB168_138:                            ;   in Loop: Header=BB168_21 Depth=1
	v_add_u32_e32 v50, 0xa0, v49
	v_add_u32_e32 v51, 0xc0, v45
	v_cndmask_b32_e32 v50, v51, v50, vcc
	v_ashrrev_i32_e32 v51, 31, v50
	v_lshlrev_b64 v[50:51], 3, v[50:51]
	v_mov_b32_e32 v52, s43
	v_add_co_u32_e64 v50, s[0:1], s42, v50
	v_addc_co_u32_e64 v51, s[0:1], v52, v51, s[0:1]
	global_load_dwordx2 v[50:51], v[50:51], off
	v_add3_u32 v52, v0, v5, s91
	v_ashrrev_i32_e32 v53, 31, v52
	v_lshlrev_b64 v[54:55], 2, v[52:53]
	v_mov_b32_e32 v56, s5
	v_add_co_u32_e64 v54, s[0:1], s4, v54
	v_addc_co_u32_e64 v55, s[0:1], v56, v55, s[0:1]
	v_lshlrev_b64 v[52:53], 3, v[52:53]
	global_store_dword v[54:55], v31, off
	v_mov_b32_e32 v54, s41
	v_add_co_u32_e64 v52, s[0:1], s40, v52
	v_addc_co_u32_e64 v53, s[0:1], v54, v53, s[0:1]
	s_waitcnt vmcnt(1)
	global_store_dwordx2 v[52:53], v[50:51], off
	s_or_b64 exec, exec, s[88:89]
	s_and_saveexec_b64 s[88:89], s[6:7]
	s_cbranch_execz .LBB168_103
.LBB168_139:                            ;   in Loop: Header=BB168_21 Depth=1
	v_cndmask_b32_e32 v50, v8, v30, vcc
	v_add_u32_e32 v50, s39, v50
	v_add_u32_e32 v50, 0xc0, v50
	v_ashrrev_i32_e32 v51, 31, v50
	v_lshlrev_b64 v[50:51], 3, v[50:51]
	v_mov_b32_e32 v52, s43
	v_add_co_u32_e64 v50, s[0:1], s42, v50
	v_addc_co_u32_e64 v51, s[0:1], v52, v51, s[0:1]
	global_load_dwordx2 v[50:51], v[50:51], off
	v_add3_u32 v52, v0, v5, s92
	v_ashrrev_i32_e32 v53, 31, v52
	v_lshlrev_b64 v[54:55], 2, v[52:53]
	v_mov_b32_e32 v56, s5
	v_add_co_u32_e64 v54, s[0:1], s4, v54
	v_addc_co_u32_e64 v55, s[0:1], v56, v55, s[0:1]
	v_lshlrev_b64 v[52:53], 3, v[52:53]
	global_store_dword v[54:55], v33, off
	v_mov_b32_e32 v54, s41
	v_add_co_u32_e64 v52, s[0:1], s40, v52
	v_addc_co_u32_e64 v53, s[0:1], v54, v53, s[0:1]
	s_waitcnt vmcnt(1)
	global_store_dwordx2 v[52:53], v[50:51], off
	s_or_b64 exec, exec, s[88:89]
	s_and_saveexec_b64 s[88:89], s[14:15]
	s_cbranch_execz .LBB168_104
.LBB168_140:                            ;   in Loop: Header=BB168_21 Depth=1
	v_add_u32_e32 v49, 0xe0, v49
	v_add_u32_e32 v47, 0xc0, v47
	v_cndmask_b32_e32 v50, v47, v49, vcc
	v_ashrrev_i32_e32 v51, 31, v50
	v_lshlrev_b64 v[50:51], 3, v[50:51]
	v_mov_b32_e32 v47, s43
	v_add_co_u32_e64 v50, s[0:1], s42, v50
	v_addc_co_u32_e64 v51, s[0:1], v47, v51, s[0:1]
	global_load_dwordx2 v[50:51], v[50:51], off
	v_add3_u32 v52, v0, v5, s93
	v_ashrrev_i32_e32 v53, 31, v52
	v_lshlrev_b64 v[54:55], 2, v[52:53]
	v_mov_b32_e32 v47, s5
	v_add_co_u32_e64 v54, s[0:1], s4, v54
	v_addc_co_u32_e64 v55, s[0:1], v47, v55, s[0:1]
	v_lshlrev_b64 v[52:53], 3, v[52:53]
	v_mov_b32_e32 v47, s41
	v_add_co_u32_e64 v52, s[0:1], s40, v52
	v_addc_co_u32_e64 v53, s[0:1], v47, v53, s[0:1]
	global_store_dword v[54:55], v40, off
	s_waitcnt vmcnt(1)
	global_store_dwordx2 v[52:53], v[50:51], off
	s_or_b64 exec, exec, s[88:89]
	v_add_u32_e32 v47, s39, v32
	s_and_saveexec_b64 s[88:89], s[18:19]
	s_cbranch_execz .LBB168_105
.LBB168_141:                            ;   in Loop: Header=BB168_21 Depth=1
	v_add_u32_e32 v48, 0xe0, v48
	v_cndmask_b32_e32 v48, v48, v47, vcc
	v_ashrrev_i32_e32 v49, 31, v48
	v_lshlrev_b64 v[48:49], 3, v[48:49]
	v_mov_b32_e32 v50, s43
	v_add_co_u32_e64 v48, s[0:1], s42, v48
	v_addc_co_u32_e64 v49, s[0:1], v50, v49, s[0:1]
	global_load_dwordx2 v[48:49], v[48:49], off
	v_add_u32_e32 v50, v0, v3
	v_ashrrev_i32_e32 v51, 31, v50
	v_lshlrev_b64 v[52:53], 2, v[50:51]
	v_mov_b32_e32 v54, s5
	v_add_co_u32_e64 v52, s[0:1], s4, v52
	v_addc_co_u32_e64 v53, s[0:1], v54, v53, s[0:1]
	v_lshlrev_b64 v[50:51], 3, v[50:51]
	global_store_dword v[52:53], v21, off
	v_mov_b32_e32 v21, s41
	v_add_co_u32_e64 v50, s[0:1], s40, v50
	v_addc_co_u32_e64 v51, s[0:1], v21, v51, s[0:1]
	s_waitcnt vmcnt(1)
	global_store_dwordx2 v[50:51], v[48:49], off
	s_or_b64 exec, exec, s[88:89]
	s_and_saveexec_b64 s[88:89], s[20:21]
	s_cbranch_execz .LBB168_106
.LBB168_142:                            ;   in Loop: Header=BB168_21 Depth=1
	v_add3_u32 v21, v32, s39, 32
	v_add_u32_e32 v41, 0xe0, v41
	v_cndmask_b32_e32 v48, v41, v21, vcc
	v_ashrrev_i32_e32 v49, 31, v48
	v_lshlrev_b64 v[48:49], 3, v[48:49]
	v_mov_b32_e32 v21, s43
	v_add_co_u32_e64 v48, s[0:1], s42, v48
	v_addc_co_u32_e64 v49, s[0:1], v21, v49, s[0:1]
	global_load_dwordx2 v[48:49], v[48:49], off
	v_add3_u32 v50, v0, v3, 32
	v_ashrrev_i32_e32 v51, 31, v50
	v_lshlrev_b64 v[52:53], 2, v[50:51]
	v_mov_b32_e32 v21, s5
	v_add_co_u32_e64 v52, s[0:1], s4, v52
	v_addc_co_u32_e64 v53, s[0:1], v21, v53, s[0:1]
	v_lshlrev_b64 v[50:51], 3, v[50:51]
	v_mov_b32_e32 v21, s41
	v_add_co_u32_e64 v50, s[0:1], s40, v50
	v_addc_co_u32_e64 v51, s[0:1], v21, v51, s[0:1]
	global_store_dword v[52:53], v23, off
	s_waitcnt vmcnt(1)
	global_store_dwordx2 v[50:51], v[48:49], off
	s_or_b64 exec, exec, s[88:89]
	s_and_saveexec_b64 s[88:89], s[22:23]
	s_cbranch_execz .LBB168_107
.LBB168_143:                            ;   in Loop: Header=BB168_21 Depth=1
	v_add3_u32 v21, v32, s39, 64
	v_add_u32_e32 v23, 0xe0, v42
	v_cndmask_b32_e32 v48, v23, v21, vcc
	v_ashrrev_i32_e32 v49, 31, v48
	v_lshlrev_b64 v[48:49], 3, v[48:49]
	v_mov_b32_e32 v21, s43
	v_add_co_u32_e64 v48, s[0:1], s42, v48
	v_addc_co_u32_e64 v49, s[0:1], v21, v49, s[0:1]
	global_load_dwordx2 v[48:49], v[48:49], off
	v_add3_u32 v50, v0, v3, 64
	v_ashrrev_i32_e32 v51, 31, v50
	v_lshlrev_b64 v[52:53], 2, v[50:51]
	v_mov_b32_e32 v21, s5
	v_add_co_u32_e64 v52, s[0:1], s4, v52
	v_addc_co_u32_e64 v53, s[0:1], v21, v53, s[0:1]
	v_lshlrev_b64 v[50:51], 3, v[50:51]
	v_mov_b32_e32 v21, s41
	v_add_co_u32_e64 v50, s[0:1], s40, v50
	v_addc_co_u32_e64 v51, s[0:1], v21, v51, s[0:1]
	global_store_dword v[52:53], v25, off
	s_waitcnt vmcnt(1)
	global_store_dwordx2 v[50:51], v[48:49], off
	s_or_b64 exec, exec, s[88:89]
	s_and_saveexec_b64 s[88:89], s[24:25]
	s_cbranch_execz .LBB168_108
.LBB168_144:                            ;   in Loop: Header=BB168_21 Depth=1
	v_add_u32_e32 v21, 0x60, v47
	v_add_u32_e32 v23, 0xe0, v43
	v_cndmask_b32_e32 v42, v23, v21, vcc
	v_ashrrev_i32_e32 v43, 31, v42
	v_lshlrev_b64 v[42:43], 3, v[42:43]
	v_mov_b32_e32 v21, s43
	v_add_co_u32_e64 v42, s[0:1], s42, v42
	v_addc_co_u32_e64 v43, s[0:1], v21, v43, s[0:1]
	global_load_dwordx2 v[42:43], v[42:43], off
	v_add3_u32 v48, v0, v3, s33
	v_ashrrev_i32_e32 v49, 31, v48
	v_lshlrev_b64 v[50:51], 2, v[48:49]
	v_mov_b32_e32 v21, s5
	v_add_co_u32_e64 v50, s[0:1], s4, v50
	v_addc_co_u32_e64 v51, s[0:1], v21, v51, s[0:1]
	v_lshlrev_b64 v[48:49], 3, v[48:49]
	v_mov_b32_e32 v21, s41
	v_add_co_u32_e64 v48, s[0:1], s40, v48
	v_addc_co_u32_e64 v49, s[0:1], v21, v49, s[0:1]
	global_store_dword v[50:51], v27, off
	s_waitcnt vmcnt(1)
	global_store_dwordx2 v[48:49], v[42:43], off
	s_or_b64 exec, exec, s[88:89]
	s_and_saveexec_b64 s[88:89], s[26:27]
	s_cbranch_execz .LBB168_109
.LBB168_145:                            ;   in Loop: Header=BB168_21 Depth=1
	v_add_u32_e32 v21, 0x80, v47
	v_add_u32_e32 v23, 0xe0, v44
	v_cndmask_b32_e32 v42, v23, v21, vcc
	v_ashrrev_i32_e32 v43, 31, v42
	v_lshlrev_b64 v[42:43], 3, v[42:43]
	v_mov_b32_e32 v21, s43
	v_add_co_u32_e64 v42, s[0:1], s42, v42
	v_addc_co_u32_e64 v43, s[0:1], v21, v43, s[0:1]
	global_load_dwordx2 v[42:43], v[42:43], off
	v_add3_u32 v48, v0, v3, s90
	v_ashrrev_i32_e32 v49, 31, v48
	v_lshlrev_b64 v[50:51], 2, v[48:49]
	v_mov_b32_e32 v21, s5
	v_add_co_u32_e64 v50, s[0:1], s4, v50
	v_addc_co_u32_e64 v51, s[0:1], v21, v51, s[0:1]
	v_lshlrev_b64 v[48:49], 3, v[48:49]
	v_mov_b32_e32 v21, s41
	v_add_co_u32_e64 v48, s[0:1], s40, v48
	v_addc_co_u32_e64 v49, s[0:1], v21, v49, s[0:1]
	global_store_dword v[50:51], v29, off
	s_waitcnt vmcnt(1)
	global_store_dwordx2 v[48:49], v[42:43], off
	s_or_b64 exec, exec, s[88:89]
	s_and_saveexec_b64 s[88:89], s[28:29]
	s_cbranch_execz .LBB168_110
.LBB168_146:                            ;   in Loop: Header=BB168_21 Depth=1
	v_add_u32_e32 v21, 0xa0, v47
	v_add_u32_e32 v23, 0xe0, v45
	v_cndmask_b32_e32 v42, v23, v21, vcc
	v_ashrrev_i32_e32 v43, 31, v42
	v_lshlrev_b64 v[42:43], 3, v[42:43]
	v_mov_b32_e32 v21, s43
	v_add_co_u32_e64 v42, s[0:1], s42, v42
	v_addc_co_u32_e64 v43, s[0:1], v21, v43, s[0:1]
	global_load_dwordx2 v[42:43], v[42:43], off
	v_add3_u32 v44, v0, v3, s91
	v_ashrrev_i32_e32 v45, 31, v44
	v_lshlrev_b64 v[48:49], 2, v[44:45]
	v_mov_b32_e32 v21, s5
	v_add_co_u32_e64 v48, s[0:1], s4, v48
	v_addc_co_u32_e64 v49, s[0:1], v21, v49, s[0:1]
	v_lshlrev_b64 v[44:45], 3, v[44:45]
	v_mov_b32_e32 v21, s41
	v_add_co_u32_e64 v44, s[0:1], s40, v44
	v_addc_co_u32_e64 v45, s[0:1], v21, v45, s[0:1]
	global_store_dword v[48:49], v31, off
	s_waitcnt vmcnt(1)
	global_store_dwordx2 v[44:45], v[42:43], off
	s_or_b64 exec, exec, s[88:89]
	s_and_saveexec_b64 s[88:89], s[30:31]
	s_cbranch_execz .LBB168_111
.LBB168_147:                            ;   in Loop: Header=BB168_21 Depth=1
	v_add_u32_e32 v21, 0xc0, v47
	v_add_u32_e32 v23, 0xe0, v46
	v_cndmask_b32_e32 v42, v23, v21, vcc
	v_ashrrev_i32_e32 v43, 31, v42
	v_lshlrev_b64 v[42:43], 3, v[42:43]
	v_mov_b32_e32 v21, s43
	v_add_co_u32_e64 v42, s[0:1], s42, v42
	v_addc_co_u32_e64 v43, s[0:1], v21, v43, s[0:1]
	global_load_dwordx2 v[42:43], v[42:43], off
	v_add3_u32 v44, v0, v3, s92
	v_ashrrev_i32_e32 v45, 31, v44
	v_lshlrev_b64 v[46:47], 2, v[44:45]
	v_mov_b32_e32 v21, s5
	v_add_co_u32_e64 v46, s[0:1], s4, v46
	v_addc_co_u32_e64 v47, s[0:1], v21, v47, s[0:1]
	v_lshlrev_b64 v[44:45], 3, v[44:45]
	v_mov_b32_e32 v21, s41
	v_add_co_u32_e64 v44, s[0:1], s40, v44
	v_addc_co_u32_e64 v45, s[0:1], v21, v45, s[0:1]
	global_store_dword v[46:47], v33, off
	s_waitcnt vmcnt(1)
	global_store_dwordx2 v[44:45], v[42:43], off
	s_or_b64 exec, exec, s[88:89]
	s_and_saveexec_b64 s[88:89], s[16:17]
	s_cbranch_execz .LBB168_20
.LBB168_148:                            ;   in Loop: Header=BB168_21 Depth=1
	v_cndmask_b32_e32 v21, v6, v32, vcc
	v_add_u32_e32 v21, s39, v21
	v_add_u32_e32 v42, 0xe0, v21
	v_ashrrev_i32_e32 v43, 31, v42
	v_lshlrev_b64 v[42:43], 3, v[42:43]
	v_mov_b32_e32 v21, s43
	v_add_co_u32_e64 v42, s[0:1], s42, v42
	v_addc_co_u32_e64 v43, s[0:1], v21, v43, s[0:1]
	global_load_dwordx2 v[42:43], v[42:43], off
	v_add3_u32 v44, v0, v3, s93
	v_ashrrev_i32_e32 v45, 31, v44
	v_lshlrev_b64 v[46:47], 2, v[44:45]
	v_mov_b32_e32 v21, s5
	v_add_co_u32_e64 v46, s[0:1], s4, v46
	v_addc_co_u32_e64 v47, s[0:1], v21, v47, s[0:1]
	global_store_dword v[46:47], v40, off
	v_lshlrev_b64 v[40:41], 3, v[44:45]
	v_mov_b32_e32 v21, s41
	v_add_co_u32_e64 v40, s[0:1], s40, v40
	v_addc_co_u32_e64 v41, s[0:1], v21, v41, s[0:1]
	s_waitcnt vmcnt(1)
	global_store_dwordx2 v[40:41], v[42:43], off
	s_branch .LBB168_20
.LBB168_149:
	s_endpgm
	.section	.rodata,"a",@progbits
	.p2align	6, 0x0
	.amdhsa_kernel _ZN9rocsparseL35bsr2csr_block_per_row_33_256_kernelILj1024ELj256ELj32E21rocsparse_complex_numIfEiiEEv20rocsparse_direction_T4_S4_21rocsparse_index_base_PKT2_PKT3_PKS4_S4_S5_PS6_PS9_PS4_
		.amdhsa_group_segment_fixed_size 0
		.amdhsa_private_segment_fixed_size 0
		.amdhsa_kernarg_size 72
		.amdhsa_user_sgpr_count 6
		.amdhsa_user_sgpr_private_segment_buffer 1
		.amdhsa_user_sgpr_dispatch_ptr 0
		.amdhsa_user_sgpr_queue_ptr 0
		.amdhsa_user_sgpr_kernarg_segment_ptr 1
		.amdhsa_user_sgpr_dispatch_id 0
		.amdhsa_user_sgpr_flat_scratch_init 0
		.amdhsa_user_sgpr_kernarg_preload_length 0
		.amdhsa_user_sgpr_kernarg_preload_offset 0
		.amdhsa_user_sgpr_private_segment_size 0
		.amdhsa_uses_dynamic_stack 0
		.amdhsa_system_sgpr_private_segment_wavefront_offset 0
		.amdhsa_system_sgpr_workgroup_id_x 1
		.amdhsa_system_sgpr_workgroup_id_y 0
		.amdhsa_system_sgpr_workgroup_id_z 0
		.amdhsa_system_sgpr_workgroup_info 0
		.amdhsa_system_vgpr_workitem_id 0
		.amdhsa_next_free_vgpr 58
		.amdhsa_next_free_sgpr 96
		.amdhsa_accum_offset 60
		.amdhsa_reserve_vcc 1
		.amdhsa_reserve_flat_scratch 0
		.amdhsa_float_round_mode_32 0
		.amdhsa_float_round_mode_16_64 0
		.amdhsa_float_denorm_mode_32 3
		.amdhsa_float_denorm_mode_16_64 3
		.amdhsa_dx10_clamp 1
		.amdhsa_ieee_mode 1
		.amdhsa_fp16_overflow 0
		.amdhsa_tg_split 0
		.amdhsa_exception_fp_ieee_invalid_op 0
		.amdhsa_exception_fp_denorm_src 0
		.amdhsa_exception_fp_ieee_div_zero 0
		.amdhsa_exception_fp_ieee_overflow 0
		.amdhsa_exception_fp_ieee_underflow 0
		.amdhsa_exception_fp_ieee_inexact 0
		.amdhsa_exception_int_div_zero 0
	.end_amdhsa_kernel
	.section	.text._ZN9rocsparseL35bsr2csr_block_per_row_33_256_kernelILj1024ELj256ELj32E21rocsparse_complex_numIfEiiEEv20rocsparse_direction_T4_S4_21rocsparse_index_base_PKT2_PKT3_PKS4_S4_S5_PS6_PS9_PS4_,"axG",@progbits,_ZN9rocsparseL35bsr2csr_block_per_row_33_256_kernelILj1024ELj256ELj32E21rocsparse_complex_numIfEiiEEv20rocsparse_direction_T4_S4_21rocsparse_index_base_PKT2_PKT3_PKS4_S4_S5_PS6_PS9_PS4_,comdat
.Lfunc_end168:
	.size	_ZN9rocsparseL35bsr2csr_block_per_row_33_256_kernelILj1024ELj256ELj32E21rocsparse_complex_numIfEiiEEv20rocsparse_direction_T4_S4_21rocsparse_index_base_PKT2_PKT3_PKS4_S4_S5_PS6_PS9_PS4_, .Lfunc_end168-_ZN9rocsparseL35bsr2csr_block_per_row_33_256_kernelILj1024ELj256ELj32E21rocsparse_complex_numIfEiiEEv20rocsparse_direction_T4_S4_21rocsparse_index_base_PKT2_PKT3_PKS4_S4_S5_PS6_PS9_PS4_
                                        ; -- End function
	.section	.AMDGPU.csdata,"",@progbits
; Kernel info:
; codeLenInByte = 13556
; NumSgprs: 100
; NumVgprs: 58
; NumAgprs: 0
; TotalNumVgprs: 58
; ScratchSize: 0
; MemoryBound: 0
; FloatMode: 240
; IeeeMode: 1
; LDSByteSize: 0 bytes/workgroup (compile time only)
; SGPRBlocks: 12
; VGPRBlocks: 7
; NumSGPRsForWavesPerEU: 100
; NumVGPRsForWavesPerEU: 58
; AccumOffset: 60
; Occupancy: 8
; WaveLimiterHint : 1
; COMPUTE_PGM_RSRC2:SCRATCH_EN: 0
; COMPUTE_PGM_RSRC2:USER_SGPR: 6
; COMPUTE_PGM_RSRC2:TRAP_HANDLER: 0
; COMPUTE_PGM_RSRC2:TGID_X_EN: 1
; COMPUTE_PGM_RSRC2:TGID_Y_EN: 0
; COMPUTE_PGM_RSRC2:TGID_Z_EN: 0
; COMPUTE_PGM_RSRC2:TIDIG_COMP_CNT: 0
; COMPUTE_PGM_RSRC3_GFX90A:ACCUM_OFFSET: 14
; COMPUTE_PGM_RSRC3_GFX90A:TG_SPLIT: 0
	.section	.text._ZN9rocsparseL35bsr2csr_block_dim_equals_one_kernelILj1024E21rocsparse_complex_numIfEliEEvT2_S3_21rocsparse_index_base_PKT0_PKT1_PKS3_S4_PS5_PS8_PS3_,"axG",@progbits,_ZN9rocsparseL35bsr2csr_block_dim_equals_one_kernelILj1024E21rocsparse_complex_numIfEliEEvT2_S3_21rocsparse_index_base_PKT0_PKT1_PKS3_S4_PS5_PS8_PS3_,comdat
	.globl	_ZN9rocsparseL35bsr2csr_block_dim_equals_one_kernelILj1024E21rocsparse_complex_numIfEliEEvT2_S3_21rocsparse_index_base_PKT0_PKT1_PKS3_S4_PS5_PS8_PS3_ ; -- Begin function _ZN9rocsparseL35bsr2csr_block_dim_equals_one_kernelILj1024E21rocsparse_complex_numIfEliEEvT2_S3_21rocsparse_index_base_PKT0_PKT1_PKS3_S4_PS5_PS8_PS3_
	.p2align	8
	.type	_ZN9rocsparseL35bsr2csr_block_dim_equals_one_kernelILj1024E21rocsparse_complex_numIfEliEEvT2_S3_21rocsparse_index_base_PKT0_PKT1_PKS3_S4_PS5_PS8_PS3_,@function
_ZN9rocsparseL35bsr2csr_block_dim_equals_one_kernelILj1024E21rocsparse_complex_numIfEliEEvT2_S3_21rocsparse_index_base_PKT0_PKT1_PKS3_S4_PS5_PS8_PS3_: ; @_ZN9rocsparseL35bsr2csr_block_dim_equals_one_kernelILj1024E21rocsparse_complex_numIfEliEEvT2_S3_21rocsparse_index_base_PKT0_PKT1_PKS3_S4_PS5_PS8_PS3_
; %bb.0:
	s_load_dword s12, s[4:5], 0x0
	s_load_dwordx2 s[10:11], s[4:5], 0x18
	s_lshl_b32 s22, s6, 10
	v_or_b32_e32 v2, s22, v0
	v_ashrrev_i32_e32 v3, 31, v2
	s_waitcnt lgkmcnt(0)
	v_cmp_le_i32_e32 vcc, s12, v2
	s_and_saveexec_b64 s[0:1], vcc
	s_xor_b64 s[0:1], exec, s[0:1]
	s_or_saveexec_b64 s[14:15], s[0:1]
	s_load_dwordx2 s[0:1], s[4:5], 0x40
	s_load_dwordx2 s[2:3], s[4:5], 0x30
	s_load_dwordx2 s[6:7], s[4:5], 0x20
	s_load_dword s23, s[4:5], 0x28
	s_load_dwordx2 s[8:9], s[4:5], 0x10
	s_load_dword s24, s[4:5], 0x8
	s_xor_b64 exec, exec, s[14:15]
	s_cbranch_execz .LBB169_6
; %bb.1:
	s_load_dwordx2 s[16:17], s[4:5], 0x38
	v_cmp_ne_u32_e32 vcc, 0, v2
                                        ; implicit-def: $sgpr20_sgpr21
	s_and_saveexec_b64 s[18:19], vcc
	s_xor_b64 s[18:19], exec, s[18:19]
	s_cbranch_execz .LBB169_3
; %bb.2:
	s_waitcnt lgkmcnt(0)
	s_sub_u32 s20, s23, s24
	s_subb_u32 s21, 0, 0
.LBB169_3:
	s_or_saveexec_b64 s[18:19], s[18:19]
	v_pk_mov_b32 v[4:5], s[20:21], s[20:21] op_sel:[0,1]
	s_xor_b64 exec, exec, s[18:19]
	s_cbranch_execz .LBB169_5
; %bb.4:
	s_load_dwordx2 s[20:21], s[10:11], 0x0
	s_waitcnt lgkmcnt(0)
	s_sub_u32 s26, s23, s24
	s_subb_u32 s27, 0, 0
	v_mov_b32_e32 v1, 0
	s_add_u32 s20, s26, s20
	s_addc_u32 s21, s27, s21
	v_pk_mov_b32 v[4:5], s[20:21], s[20:21] op_sel:[0,1]
	global_store_dwordx2 v1, v[4:5], s[16:17]
	v_pk_mov_b32 v[4:5], s[26:27], s[26:27] op_sel:[0,1]
.LBB169_5:
	s_or_b64 exec, exec, s[18:19]
	v_lshlrev_b64 v[6:7], 3, v[2:3]
	v_mov_b32_e32 v1, s11
	v_add_co_u32_e32 v8, vcc, s10, v6
	v_addc_co_u32_e32 v9, vcc, v1, v7, vcc
	global_load_dwordx2 v[8:9], v[8:9], off offset:8
	s_waitcnt lgkmcnt(0)
	v_mov_b32_e32 v1, s17
	s_waitcnt vmcnt(0)
	v_add_co_u32_e32 v4, vcc, v4, v8
	v_addc_co_u32_e32 v5, vcc, v5, v9, vcc
	v_add_co_u32_e32 v6, vcc, s16, v6
	v_addc_co_u32_e32 v7, vcc, v1, v7, vcc
	global_store_dwordx2 v[6:7], v[4:5], off offset:8
.LBB169_6:
	s_or_b64 exec, exec, s[14:15]
	s_ashr_i32 s13, s12, 31
	s_lshl_b64 s[12:13], s[12:13], 3
	s_add_u32 s12, s10, s12
	s_addc_u32 s13, s11, s13
	s_load_dwordx2 s[14:15], s[12:13], 0x0
	s_load_dwordx2 s[16:17], s[10:11], 0x0
	s_waitcnt lgkmcnt(0)
	s_sub_u32 s10, s14, s16
	s_subb_u32 s11, s15, s17
	v_cmp_gt_i64_e32 vcc, s[10:11], v[2:3]
	s_and_saveexec_b64 s[12:13], vcc
	s_cbranch_execz .LBB169_9
; %bb.7:
	s_load_dword s13, s[4:5], 0x48
	v_mov_b32_e32 v5, s1
	v_mov_b32_e32 v4, s7
	s_sub_i32 s12, s23, s24
	s_mov_b64 s[4:5], 0
	s_waitcnt lgkmcnt(0)
	s_lshl_b32 s1, s13, 10
	s_add_i32 s7, s1, s22
	v_add_u32_e32 v0, s7, v0
	v_mov_b32_e32 v6, s9
	v_mov_b32_e32 v7, s3
.LBB169_8:                              ; =>This Inner Loop Header: Depth=1
	v_lshlrev_b64 v[8:9], 2, v[2:3]
	v_add_co_u32_e32 v10, vcc, s6, v8
	v_lshlrev_b64 v[2:3], 3, v[2:3]
	v_addc_co_u32_e32 v11, vcc, v4, v9, vcc
	v_add_co_u32_e32 v12, vcc, s8, v2
	v_addc_co_u32_e32 v13, vcc, v6, v3, vcc
	global_load_dword v16, v[10:11], off
	global_load_dwordx2 v[14:15], v[12:13], off
	v_add_co_u32_e32 v8, vcc, s0, v8
	v_addc_co_u32_e32 v9, vcc, v5, v9, vcc
	v_add_co_u32_e32 v10, vcc, s2, v2
	v_ashrrev_i32_e32 v1, 31, v0
	v_addc_co_u32_e32 v11, vcc, v7, v3, vcc
	v_cmp_le_i64_e32 vcc, s[10:11], v[0:1]
	v_pk_mov_b32 v[2:3], v[0:1], v[0:1] op_sel:[0,1]
	v_add_u32_e32 v0, s1, v0
	s_or_b64 s[4:5], vcc, s[4:5]
	s_waitcnt vmcnt(1)
	v_add_u32_e32 v1, s12, v16
	s_waitcnt vmcnt(0)
	global_store_dwordx2 v[10:11], v[14:15], off
	global_store_dword v[8:9], v1, off
	s_andn2_b64 exec, exec, s[4:5]
	s_cbranch_execnz .LBB169_8
.LBB169_9:
	s_endpgm
	.section	.rodata,"a",@progbits
	.p2align	6, 0x0
	.amdhsa_kernel _ZN9rocsparseL35bsr2csr_block_dim_equals_one_kernelILj1024E21rocsparse_complex_numIfEliEEvT2_S3_21rocsparse_index_base_PKT0_PKT1_PKS3_S4_PS5_PS8_PS3_
		.amdhsa_group_segment_fixed_size 0
		.amdhsa_private_segment_fixed_size 0
		.amdhsa_kernarg_size 328
		.amdhsa_user_sgpr_count 6
		.amdhsa_user_sgpr_private_segment_buffer 1
		.amdhsa_user_sgpr_dispatch_ptr 0
		.amdhsa_user_sgpr_queue_ptr 0
		.amdhsa_user_sgpr_kernarg_segment_ptr 1
		.amdhsa_user_sgpr_dispatch_id 0
		.amdhsa_user_sgpr_flat_scratch_init 0
		.amdhsa_user_sgpr_kernarg_preload_length 0
		.amdhsa_user_sgpr_kernarg_preload_offset 0
		.amdhsa_user_sgpr_private_segment_size 0
		.amdhsa_uses_dynamic_stack 0
		.amdhsa_system_sgpr_private_segment_wavefront_offset 0
		.amdhsa_system_sgpr_workgroup_id_x 1
		.amdhsa_system_sgpr_workgroup_id_y 0
		.amdhsa_system_sgpr_workgroup_id_z 0
		.amdhsa_system_sgpr_workgroup_info 0
		.amdhsa_system_vgpr_workitem_id 0
		.amdhsa_next_free_vgpr 17
		.amdhsa_next_free_sgpr 28
		.amdhsa_accum_offset 20
		.amdhsa_reserve_vcc 1
		.amdhsa_reserve_flat_scratch 0
		.amdhsa_float_round_mode_32 0
		.amdhsa_float_round_mode_16_64 0
		.amdhsa_float_denorm_mode_32 3
		.amdhsa_float_denorm_mode_16_64 3
		.amdhsa_dx10_clamp 1
		.amdhsa_ieee_mode 1
		.amdhsa_fp16_overflow 0
		.amdhsa_tg_split 0
		.amdhsa_exception_fp_ieee_invalid_op 0
		.amdhsa_exception_fp_denorm_src 0
		.amdhsa_exception_fp_ieee_div_zero 0
		.amdhsa_exception_fp_ieee_overflow 0
		.amdhsa_exception_fp_ieee_underflow 0
		.amdhsa_exception_fp_ieee_inexact 0
		.amdhsa_exception_int_div_zero 0
	.end_amdhsa_kernel
	.section	.text._ZN9rocsparseL35bsr2csr_block_dim_equals_one_kernelILj1024E21rocsparse_complex_numIfEliEEvT2_S3_21rocsparse_index_base_PKT0_PKT1_PKS3_S4_PS5_PS8_PS3_,"axG",@progbits,_ZN9rocsparseL35bsr2csr_block_dim_equals_one_kernelILj1024E21rocsparse_complex_numIfEliEEvT2_S3_21rocsparse_index_base_PKT0_PKT1_PKS3_S4_PS5_PS8_PS3_,comdat
.Lfunc_end169:
	.size	_ZN9rocsparseL35bsr2csr_block_dim_equals_one_kernelILj1024E21rocsparse_complex_numIfEliEEvT2_S3_21rocsparse_index_base_PKT0_PKT1_PKS3_S4_PS5_PS8_PS3_, .Lfunc_end169-_ZN9rocsparseL35bsr2csr_block_dim_equals_one_kernelILj1024E21rocsparse_complex_numIfEliEEvT2_S3_21rocsparse_index_base_PKT0_PKT1_PKS3_S4_PS5_PS8_PS3_
                                        ; -- End function
	.section	.AMDGPU.csdata,"",@progbits
; Kernel info:
; codeLenInByte = 520
; NumSgprs: 32
; NumVgprs: 17
; NumAgprs: 0
; TotalNumVgprs: 17
; ScratchSize: 0
; MemoryBound: 0
; FloatMode: 240
; IeeeMode: 1
; LDSByteSize: 0 bytes/workgroup (compile time only)
; SGPRBlocks: 3
; VGPRBlocks: 2
; NumSGPRsForWavesPerEU: 32
; NumVGPRsForWavesPerEU: 17
; AccumOffset: 20
; Occupancy: 8
; WaveLimiterHint : 0
; COMPUTE_PGM_RSRC2:SCRATCH_EN: 0
; COMPUTE_PGM_RSRC2:USER_SGPR: 6
; COMPUTE_PGM_RSRC2:TRAP_HANDLER: 0
; COMPUTE_PGM_RSRC2:TGID_X_EN: 1
; COMPUTE_PGM_RSRC2:TGID_Y_EN: 0
; COMPUTE_PGM_RSRC2:TGID_Z_EN: 0
; COMPUTE_PGM_RSRC2:TIDIG_COMP_CNT: 0
; COMPUTE_PGM_RSRC3_GFX90A:ACCUM_OFFSET: 4
; COMPUTE_PGM_RSRC3_GFX90A:TG_SPLIT: 0
	.section	.text._ZN9rocsparseL32bsr2csr_block_per_row_2_7_kernelILj256ELj2E21rocsparse_complex_numIfEliEEv20rocsparse_direction_T3_S4_21rocsparse_index_base_PKT1_PKT2_PKS4_S4_S5_PS6_PS9_PS4_,"axG",@progbits,_ZN9rocsparseL32bsr2csr_block_per_row_2_7_kernelILj256ELj2E21rocsparse_complex_numIfEliEEv20rocsparse_direction_T3_S4_21rocsparse_index_base_PKT1_PKT2_PKS4_S4_S5_PS6_PS9_PS4_,comdat
	.globl	_ZN9rocsparseL32bsr2csr_block_per_row_2_7_kernelILj256ELj2E21rocsparse_complex_numIfEliEEv20rocsparse_direction_T3_S4_21rocsparse_index_base_PKT1_PKT2_PKS4_S4_S5_PS6_PS9_PS4_ ; -- Begin function _ZN9rocsparseL32bsr2csr_block_per_row_2_7_kernelILj256ELj2E21rocsparse_complex_numIfEliEEv20rocsparse_direction_T3_S4_21rocsparse_index_base_PKT1_PKT2_PKS4_S4_S5_PS6_PS9_PS4_
	.p2align	8
	.type	_ZN9rocsparseL32bsr2csr_block_per_row_2_7_kernelILj256ELj2E21rocsparse_complex_numIfEliEEv20rocsparse_direction_T3_S4_21rocsparse_index_base_PKT1_PKT2_PKS4_S4_S5_PS6_PS9_PS4_,@function
_ZN9rocsparseL32bsr2csr_block_per_row_2_7_kernelILj256ELj2E21rocsparse_complex_numIfEliEEv20rocsparse_direction_T3_S4_21rocsparse_index_base_PKT1_PKT2_PKS4_S4_S5_PS6_PS9_PS4_: ; @_ZN9rocsparseL32bsr2csr_block_per_row_2_7_kernelILj256ELj2E21rocsparse_complex_numIfEliEEv20rocsparse_direction_T3_S4_21rocsparse_index_base_PKT1_PKT2_PKS4_S4_S5_PS6_PS9_PS4_
; %bb.0:
	s_load_dwordx2 s[2:3], s[4:5], 0x18
	s_load_dword s12, s[4:5], 0x2c
	s_load_dwordx2 s[0:1], s[4:5], 0x38
	s_ashr_i32 s7, s6, 31
	s_lshl_b64 s[8:9], s[6:7], 3
	s_waitcnt lgkmcnt(0)
	s_add_u32 s2, s2, s8
	s_addc_u32 s3, s3, s9
	s_load_dwordx4 s[8:11], s[2:3], 0x0
	v_or_b32_e32 v1, s6, v0
	s_mov_b32 s15, 0
	v_cmp_eq_u32_e32 vcc, 0, v1
	s_and_saveexec_b64 s[2:3], vcc
	s_cbranch_execz .LBB170_2
; %bb.1:
	s_mov_b32 s13, s15
	v_mov_b32_e32 v1, 0
	v_pk_mov_b32 v[2:3], s[12:13], s[12:13] op_sel:[0,1]
	global_store_dwordx2 v1, v[2:3], s[0:1]
.LBB170_2:
	s_or_b64 exec, exec, s[2:3]
	s_load_dword s14, s[4:5], 0xc
	v_and_b32_e32 v16, 1, v0
	v_lshrrev_b32_e32 v6, 1, v0
	v_mov_b32_e32 v1, 0
	v_mov_b32_e32 v4, s1
	s_waitcnt lgkmcnt(0)
	s_sub_u32 s16, s8, s14
	s_subb_u32 s17, s9, 0
	s_sub_u32 s10, s10, s14
	s_subb_u32 s11, s11, 0
	s_lshl_b64 s[18:19], s[16:17], 2
	s_sub_u32 s20, s10, s16
	s_subb_u32 s21, s11, s17
	s_lshl_b64 s[2:3], s[20:21], 1
	v_mov_b32_e32 v0, s20
	s_add_u32 s7, s2, s12
	v_alignbit_b32 v0, s21, v0, 31
	s_addc_u32 s3, s3, 0
	v_mul_lo_u32 v7, v0, v16
	s_add_u32 s18, s7, s18
	v_lshl_or_b32 v0, s6, 1, v16
	s_addc_u32 s19, s3, s19
	v_add_u32_e32 v0, 1, v0
	v_pk_mov_b32 v[2:3], s[18:19], s[18:19] op_sel:[0,1]
	v_lshlrev_b64 v[0:1], 3, v[0:1]
	v_mad_u64_u32 v[2:3], s[18:19], s2, v16, v[2:3]
	v_add_co_u32_e32 v0, vcc, s0, v0
	v_add_u32_e32 v3, v7, v3
	v_addc_co_u32_e32 v1, vcc, v4, v1, vcc
	global_store_dwordx2 v[0:1], v[2:3], off
	v_mov_b32_e32 v1, s17
	v_add_co_u32_e32 v0, vcc, s16, v6
	v_addc_co_u32_e32 v1, vcc, 0, v1, vcc
	v_cmp_gt_i64_e32 vcc, s[10:11], v[0:1]
	s_and_saveexec_b64 s[0:1], vcc
	s_cbranch_execz .LBB170_7
; %bb.3:
	s_load_dwordx2 s[18:19], s[4:5], 0x20
	s_load_dwordx2 s[20:21], s[4:5], 0x30
	s_load_dword s3, s[4:5], 0x0
	s_load_dwordx2 s[6:7], s[4:5], 0x10
	s_load_dwordx2 s[22:23], s[4:5], 0x40
	v_lshlrev_b64 v[2:3], 2, v[0:1]
	v_mul_lo_u32 v8, s2, v16
	s_waitcnt lgkmcnt(0)
	s_cmp_eq_u32 s3, 0
	s_cselect_b64 s[0:1], -1, 0
	s_cmp_lg_u32 s3, 0
	s_cselect_b64 s[2:3], -1, 0
	s_add_u32 s13, s6, 16
	v_mov_b32_e32 v5, s19
	v_add_co_u32_e32 v4, vcc, s18, v2
	s_addc_u32 s16, s7, 0
	v_addc_co_u32_e32 v5, vcc, v5, v3, vcc
	s_lshl_b64 s[4:5], s[8:9], 2
	v_mov_b32_e32 v9, s5
	v_add_co_u32_e32 v8, vcc, s4, v8
	v_addc_co_u32_e32 v7, vcc, v7, v9, vcc
	v_lshlrev_b32_e32 v6, 1, v6
	v_add_co_u32_e32 v6, vcc, v8, v6
	v_addc_co_u32_e32 v7, vcc, 0, v7, vcc
	s_lshl_b64 s[4:5], s[14:15], 2
	v_mov_b32_e32 v8, s5
	v_subrev_co_u32_e32 v10, vcc, s4, v6
	v_subb_co_u32_e32 v11, vcc, v7, v8, vcc
	v_lshlrev_b64 v[6:7], 3, v[10:11]
	v_mov_b32_e32 v8, s21
	v_add_co_u32_e32 v6, vcc, s20, v6
	v_addc_co_u32_e32 v7, vcc, v7, v8, vcc
	v_add_co_u32_e32 v6, vcc, 8, v6
	v_addc_co_u32_e32 v7, vcc, 0, v7, vcc
	v_lshlrev_b64 v[10:11], 2, v[10:11]
	v_mov_b32_e32 v12, s23
	v_add_co_u32_e32 v10, vcc, s22, v10
	v_addc_co_u32_e32 v11, vcc, v11, v12, vcc
	v_add_co_u32_e32 v10, vcc, 4, v10
	v_lshlrev_b64 v[12:13], 5, v[0:1]
	v_addc_co_u32_e32 v11, vcc, 0, v11, vcc
	v_lshl_or_b32 v12, v16, 4, v12
	v_mov_b32_e32 v17, s7
	v_add_co_u32_e32 v12, vcc, s6, v12
	v_addc_co_u32_e32 v13, vcc, v13, v17, vcc
	v_add_co_u32_e32 v12, vcc, 8, v12
	v_cndmask_b32_e64 v14, 0, 1, s[2:3]
	v_or_b32_e32 v8, v2, v16
	v_mov_b32_e32 v9, v3
	v_addc_co_u32_e32 v13, vcc, 0, v13, vcc
	v_lshl_or_b32 v2, v16, 1, v2
	s_mov_b64 s[4:5], 0
	v_cmp_ne_u32_e64 s[2:3], 1, v14
	s_branch .LBB170_5
.LBB170_4:                              ;   in Loop: Header=BB170_5 Depth=1
	global_load_dwordx2 v[14:15], v[14:15], off
	v_add_co_u32_e32 v0, vcc, 0x80, v0
	v_addc_co_u32_e32 v1, vcc, 0, v1, vcc
	v_add_co_u32_e32 v4, vcc, 0x200, v4
	v_addc_co_u32_e32 v5, vcc, 0, v5, vcc
	v_cmp_le_i64_e32 vcc, s[10:11], v[0:1]
	s_or_b64 s[4:5], vcc, s[4:5]
	s_waitcnt vmcnt(0)
	global_store_dwordx2 v[6:7], v[14:15], off
	v_add_co_u32_e32 v6, vcc, 0x800, v6
	v_addc_co_u32_e32 v7, vcc, 0, v7, vcc
	v_add_co_u32_e32 v8, vcc, 0x200, v8
	v_addc_co_u32_e32 v9, vcc, 0, v9, vcc
	;; [unrolled: 2-line block ×5, first 2 shown]
	s_andn2_b64 exec, exec, s[4:5]
	s_cbranch_execz .LBB170_7
.LBB170_5:                              ; =>This Inner Loop Header: Depth=1
	v_cndmask_b32_e64 v15, v9, v3, s[0:1]
	v_cndmask_b32_e64 v14, v8, v2, s[0:1]
	v_lshlrev_b64 v[14:15], 3, v[14:15]
	global_load_dword v18, v[4:5], off
	v_add_co_u32_e32 v14, vcc, s6, v14
	v_addc_co_u32_e32 v15, vcc, v17, v15, vcc
	global_load_dwordx2 v[14:15], v[14:15], off
	s_and_b64 vcc, exec, s[2:3]
	s_waitcnt vmcnt(1)
	v_subrev_u32_e32 v18, s14, v18
	v_lshl_add_u32 v18, v18, 1, s12
	v_add_u32_e32 v19, 1, v18
	s_waitcnt vmcnt(0)
	global_store_dwordx2 v[6:7], v[14:15], off offset:-8
	global_store_dwordx2 v[10:11], v[18:19], off offset:-4
	v_pk_mov_b32 v[14:15], v[12:13], v[12:13] op_sel:[0,1]
	s_cbranch_vccnz .LBB170_4
; %bb.6:                                ;   in Loop: Header=BB170_5 Depth=1
	v_lshlrev_b64 v[14:15], 5, v[0:1]
	v_lshl_or_b32 v14, v16, 3, v14
	v_mov_b32_e32 v18, s16
	v_add_co_u32_e32 v14, vcc, s13, v14
	v_addc_co_u32_e32 v15, vcc, v18, v15, vcc
	s_branch .LBB170_4
.LBB170_7:
	s_endpgm
	.section	.rodata,"a",@progbits
	.p2align	6, 0x0
	.amdhsa_kernel _ZN9rocsparseL32bsr2csr_block_per_row_2_7_kernelILj256ELj2E21rocsparse_complex_numIfEliEEv20rocsparse_direction_T3_S4_21rocsparse_index_base_PKT1_PKT2_PKS4_S4_S5_PS6_PS9_PS4_
		.amdhsa_group_segment_fixed_size 0
		.amdhsa_private_segment_fixed_size 0
		.amdhsa_kernarg_size 72
		.amdhsa_user_sgpr_count 6
		.amdhsa_user_sgpr_private_segment_buffer 1
		.amdhsa_user_sgpr_dispatch_ptr 0
		.amdhsa_user_sgpr_queue_ptr 0
		.amdhsa_user_sgpr_kernarg_segment_ptr 1
		.amdhsa_user_sgpr_dispatch_id 0
		.amdhsa_user_sgpr_flat_scratch_init 0
		.amdhsa_user_sgpr_kernarg_preload_length 0
		.amdhsa_user_sgpr_kernarg_preload_offset 0
		.amdhsa_user_sgpr_private_segment_size 0
		.amdhsa_uses_dynamic_stack 0
		.amdhsa_system_sgpr_private_segment_wavefront_offset 0
		.amdhsa_system_sgpr_workgroup_id_x 1
		.amdhsa_system_sgpr_workgroup_id_y 0
		.amdhsa_system_sgpr_workgroup_id_z 0
		.amdhsa_system_sgpr_workgroup_info 0
		.amdhsa_system_vgpr_workitem_id 0
		.amdhsa_next_free_vgpr 20
		.amdhsa_next_free_sgpr 24
		.amdhsa_accum_offset 20
		.amdhsa_reserve_vcc 1
		.amdhsa_reserve_flat_scratch 0
		.amdhsa_float_round_mode_32 0
		.amdhsa_float_round_mode_16_64 0
		.amdhsa_float_denorm_mode_32 3
		.amdhsa_float_denorm_mode_16_64 3
		.amdhsa_dx10_clamp 1
		.amdhsa_ieee_mode 1
		.amdhsa_fp16_overflow 0
		.amdhsa_tg_split 0
		.amdhsa_exception_fp_ieee_invalid_op 0
		.amdhsa_exception_fp_denorm_src 0
		.amdhsa_exception_fp_ieee_div_zero 0
		.amdhsa_exception_fp_ieee_overflow 0
		.amdhsa_exception_fp_ieee_underflow 0
		.amdhsa_exception_fp_ieee_inexact 0
		.amdhsa_exception_int_div_zero 0
	.end_amdhsa_kernel
	.section	.text._ZN9rocsparseL32bsr2csr_block_per_row_2_7_kernelILj256ELj2E21rocsparse_complex_numIfEliEEv20rocsparse_direction_T3_S4_21rocsparse_index_base_PKT1_PKT2_PKS4_S4_S5_PS6_PS9_PS4_,"axG",@progbits,_ZN9rocsparseL32bsr2csr_block_per_row_2_7_kernelILj256ELj2E21rocsparse_complex_numIfEliEEv20rocsparse_direction_T3_S4_21rocsparse_index_base_PKT1_PKT2_PKS4_S4_S5_PS6_PS9_PS4_,comdat
.Lfunc_end170:
	.size	_ZN9rocsparseL32bsr2csr_block_per_row_2_7_kernelILj256ELj2E21rocsparse_complex_numIfEliEEv20rocsparse_direction_T3_S4_21rocsparse_index_base_PKT1_PKT2_PKS4_S4_S5_PS6_PS9_PS4_, .Lfunc_end170-_ZN9rocsparseL32bsr2csr_block_per_row_2_7_kernelILj256ELj2E21rocsparse_complex_numIfEliEEv20rocsparse_direction_T3_S4_21rocsparse_index_base_PKT1_PKT2_PKS4_S4_S5_PS6_PS9_PS4_
                                        ; -- End function
	.section	.AMDGPU.csdata,"",@progbits
; Kernel info:
; codeLenInByte = 808
; NumSgprs: 28
; NumVgprs: 20
; NumAgprs: 0
; TotalNumVgprs: 20
; ScratchSize: 0
; MemoryBound: 0
; FloatMode: 240
; IeeeMode: 1
; LDSByteSize: 0 bytes/workgroup (compile time only)
; SGPRBlocks: 3
; VGPRBlocks: 2
; NumSGPRsForWavesPerEU: 28
; NumVGPRsForWavesPerEU: 20
; AccumOffset: 20
; Occupancy: 8
; WaveLimiterHint : 0
; COMPUTE_PGM_RSRC2:SCRATCH_EN: 0
; COMPUTE_PGM_RSRC2:USER_SGPR: 6
; COMPUTE_PGM_RSRC2:TRAP_HANDLER: 0
; COMPUTE_PGM_RSRC2:TGID_X_EN: 1
; COMPUTE_PGM_RSRC2:TGID_Y_EN: 0
; COMPUTE_PGM_RSRC2:TGID_Z_EN: 0
; COMPUTE_PGM_RSRC2:TIDIG_COMP_CNT: 0
; COMPUTE_PGM_RSRC3_GFX90A:ACCUM_OFFSET: 4
; COMPUTE_PGM_RSRC3_GFX90A:TG_SPLIT: 0
	.section	.text._ZN9rocsparseL32bsr2csr_block_per_row_2_7_kernelILj256ELj3E21rocsparse_complex_numIfEliEEv20rocsparse_direction_T3_S4_21rocsparse_index_base_PKT1_PKT2_PKS4_S4_S5_PS6_PS9_PS4_,"axG",@progbits,_ZN9rocsparseL32bsr2csr_block_per_row_2_7_kernelILj256ELj3E21rocsparse_complex_numIfEliEEv20rocsparse_direction_T3_S4_21rocsparse_index_base_PKT1_PKT2_PKS4_S4_S5_PS6_PS9_PS4_,comdat
	.globl	_ZN9rocsparseL32bsr2csr_block_per_row_2_7_kernelILj256ELj3E21rocsparse_complex_numIfEliEEv20rocsparse_direction_T3_S4_21rocsparse_index_base_PKT1_PKT2_PKS4_S4_S5_PS6_PS9_PS4_ ; -- Begin function _ZN9rocsparseL32bsr2csr_block_per_row_2_7_kernelILj256ELj3E21rocsparse_complex_numIfEliEEv20rocsparse_direction_T3_S4_21rocsparse_index_base_PKT1_PKT2_PKS4_S4_S5_PS6_PS9_PS4_
	.p2align	8
	.type	_ZN9rocsparseL32bsr2csr_block_per_row_2_7_kernelILj256ELj3E21rocsparse_complex_numIfEliEEv20rocsparse_direction_T3_S4_21rocsparse_index_base_PKT1_PKT2_PKS4_S4_S5_PS6_PS9_PS4_,@function
_ZN9rocsparseL32bsr2csr_block_per_row_2_7_kernelILj256ELj3E21rocsparse_complex_numIfEliEEv20rocsparse_direction_T3_S4_21rocsparse_index_base_PKT1_PKT2_PKS4_S4_S5_PS6_PS9_PS4_: ; @_ZN9rocsparseL32bsr2csr_block_per_row_2_7_kernelILj256ELj3E21rocsparse_complex_numIfEliEEv20rocsparse_direction_T3_S4_21rocsparse_index_base_PKT1_PKT2_PKS4_S4_S5_PS6_PS9_PS4_
; %bb.0:
	s_load_dwordx2 s[2:3], s[4:5], 0x18
	s_load_dword s12, s[4:5], 0x2c
	s_load_dwordx2 s[0:1], s[4:5], 0x38
	s_ashr_i32 s7, s6, 31
	s_lshl_b64 s[8:9], s[6:7], 3
	s_waitcnt lgkmcnt(0)
	s_add_u32 s2, s2, s8
	v_or_b32_e32 v1, s6, v0
	s_addc_u32 s3, s3, s9
	v_cmp_eq_u32_e32 vcc, 0, v1
	s_and_saveexec_b64 s[8:9], vcc
	s_cbranch_execz .LBB171_2
; %bb.1:
	v_mov_b32_e32 v2, s12
	v_mov_b32_e32 v3, 0
	global_store_dwordx2 v3, v[2:3], s[0:1]
.LBB171_2:
	s_or_b64 exec, exec, s[8:9]
	v_and_b32_e32 v4, 3, v0
	v_cmp_ne_u32_e32 vcc, 3, v4
	s_and_saveexec_b64 s[8:9], vcc
	s_cbranch_execz .LBB171_6
; %bb.3:
	s_load_dwordx4 s[8:11], s[2:3], 0x0
	s_load_dword s7, s[4:5], 0xc
	s_mul_i32 s6, s6, 3
	v_lshrrev_b32_e32 v8, 2, v0
	v_mov_b32_e32 v1, 0
	v_add3_u32 v0, v4, s6, 1
	s_waitcnt lgkmcnt(0)
	s_sub_u32 s3, s8, s7
	s_subb_u32 s13, s9, 0
	s_mul_hi_u32 s2, s3, 9
	s_sub_u32 s10, s10, s7
	s_mul_i32 s14, s13, 9
	s_subb_u32 s11, s11, 0
	s_add_i32 s15, s2, s14
	s_sub_u32 s2, s10, s3
	s_subb_u32 s16, s11, s13
	s_mul_i32 s16, s16, 3
	s_mul_hi_u32 s17, s2, 3
	s_add_i32 s17, s17, s16
	s_mul_i32 s2, s2, 3
	s_add_u32 s16, s2, s12
	s_mul_i32 s14, s3, 9
	v_mul_lo_u32 v2, s17, v4
	s_addc_u32 s17, s17, 0
	s_add_u32 s14, s16, s14
	s_addc_u32 s15, s17, s15
	v_pk_mov_b32 v[6:7], s[14:15], s[14:15] op_sel:[0,1]
	v_lshlrev_b64 v[0:1], 3, v[0:1]
	v_mad_u64_u32 v[6:7], s[14:15], s2, v4, v[6:7]
	v_mov_b32_e32 v3, s1
	v_add_co_u32_e32 v0, vcc, s0, v0
	v_add_u32_e32 v7, v2, v7
	v_addc_co_u32_e32 v1, vcc, v3, v1, vcc
	global_store_dwordx2 v[0:1], v[6:7], off
	v_mov_b32_e32 v1, s13
	v_add_co_u32_e32 v0, vcc, s3, v8
	v_addc_co_u32_e32 v1, vcc, 0, v1, vcc
	v_cmp_gt_i64_e32 vcc, s[10:11], v[0:1]
	s_and_b64 exec, exec, vcc
	s_cbranch_execz .LBB171_6
; %bb.4:
	s_load_dwordx2 s[14:15], s[4:5], 0x20
	s_load_dwordx2 s[16:17], s[4:5], 0x30
	;; [unrolled: 1-line block ×3, first 2 shown]
	s_load_dword s3, s[4:5], 0x0
	s_load_dwordx2 s[20:21], s[4:5], 0x40
	s_movk_i32 s4, 0x48
	v_mad_u64_u32 v[10:11], s[0:1], s2, v4, 0
	s_waitcnt lgkmcnt(0)
	v_pk_mov_b32 v[6:7], s[18:19], s[18:19] op_sel:[0,1]
	s_cmp_eq_u32 s3, 0
	v_mad_u64_u32 v[6:7], s[2:3], v0, s4, v[6:7]
	v_add_u32_e32 v11, v11, v2
	v_lshlrev_b64 v[2:3], 2, v[0:1]
	v_mov_b32_e32 v12, v7
	v_mov_b32_e32 v5, s15
	v_add_co_u32_e32 v2, vcc, s14, v2
	v_mad_u64_u32 v[12:13], s[2:3], v1, s4, v[12:13]
	v_mad_u64_u32 v[10:11], s[2:3], s8, 9, v[10:11]
	v_addc_co_u32_e32 v3, vcc, v5, v3, vcc
	v_mov_b32_e32 v5, v12
	v_mov_b32_e32 v12, v11
	v_mad_u64_u32 v[12:13], s[2:3], s9, 9, v[12:13]
	v_mov_b32_e32 v11, v12
	v_mad_u64_u32 v[8:9], s[2:3], v8, 3, v[10:11]
	s_mul_hi_u32 s2, s7, 9
	s_mul_i32 s3, s7, 9
	v_mov_b32_e32 v7, s2
	v_subrev_co_u32_e32 v10, vcc, s3, v8
	v_subb_co_u32_e32 v11, vcc, v9, v7, vcc
	v_lshlrev_b64 v[8:9], 3, v[10:11]
	v_mov_b32_e32 v7, s17
	v_add_co_u32_e32 v8, vcc, s16, v8
	v_addc_co_u32_e32 v7, vcc, v9, v7, vcc
	v_add_co_u32_e32 v8, vcc, 8, v8
	v_addc_co_u32_e32 v9, vcc, 0, v7, vcc
	v_lshlrev_b64 v[10:11], 2, v[10:11]
	v_mov_b32_e32 v7, s21
	v_add_co_u32_e32 v10, vcc, s20, v10
	v_addc_co_u32_e32 v7, vcc, v11, v7, vcc
	v_mul_u32_u24_e32 v14, 3, v4
	v_add_co_u32_e32 v10, vcc, 4, v10
	s_cselect_b64 s[0:1], -1, 0
	v_lshlrev_b32_e32 v4, 3, v4
	v_addc_co_u32_e32 v11, vcc, 0, v7, vcc
	v_lshlrev_b32_e32 v12, 3, v14
	s_mov_b64 s[4:5], 0
	v_mov_b32_e32 v14, s12
	s_movk_i32 s6, 0x100
	s_movk_i32 s8, 0x1200
.LBB171_5:                              ; =>This Inner Loop Header: Depth=1
	v_add_co_u32_e32 v13, vcc, v6, v4
	v_addc_co_u32_e32 v15, vcc, 0, v5, vcc
	v_add_co_u32_e32 v18, vcc, v6, v12
	v_addc_co_u32_e32 v19, vcc, 0, v5, vcc
	;; [unrolled: 2-line block ×4, first 2 shown]
	v_cndmask_b32_e64 v16, v13, v18, s[0:1]
	v_add_co_u32_e32 v18, vcc, 16, v18
	v_cndmask_b32_e64 v17, v15, v19, s[0:1]
	v_addc_co_u32_e32 v19, vcc, 0, v19, vcc
	global_load_dword v7, v[2:3], off
	v_add_co_u32_e32 v13, vcc, 48, v13
	v_addc_co_u32_e32 v15, vcc, 0, v15, vcc
	v_cndmask_b32_e64 v21, v23, v21, s[0:1]
	v_cndmask_b32_e64 v20, v22, v20, s[0:1]
	global_load_dwordx2 v[16:17], v[16:17], off
	v_cndmask_b32_e64 v23, v15, v19, s[0:1]
	v_cndmask_b32_e64 v22, v13, v18, s[0:1]
	global_load_dwordx2 v[18:19], v[20:21], off
	global_load_dwordx2 v[24:25], v[22:23], off
	v_add_co_u32_e32 v0, vcc, 64, v0
	v_addc_co_u32_e32 v1, vcc, 0, v1, vcc
	v_add_co_u32_e32 v2, vcc, s6, v2
	v_addc_co_u32_e32 v3, vcc, 0, v3, vcc
	v_add_co_u32_e32 v6, vcc, s8, v6
	v_cmp_le_i64_e64 s[2:3], s[10:11], v[0:1]
	v_addc_co_u32_e32 v5, vcc, 0, v5, vcc
	s_or_b64 s[4:5], s[2:3], s[4:5]
	s_waitcnt vmcnt(3)
	v_subrev_u32_e32 v7, s7, v7
	v_mad_u64_u32 v[20:21], s[2:3], v7, 3, v[14:15]
	v_add_u32_e32 v22, 2, v20
	v_add_u32_e32 v21, 1, v20
	s_waitcnt vmcnt(1)
	global_store_dwordx4 v[8:9], v[16:19], off offset:-8
	global_store_dwordx3 v[10:11], v[20:22], off offset:-4
	s_waitcnt vmcnt(2)
	global_store_dwordx2 v[8:9], v[24:25], off offset:8
	v_add_co_u32_e32 v8, vcc, 0x600, v8
	v_addc_co_u32_e32 v9, vcc, 0, v9, vcc
	v_add_co_u32_e32 v10, vcc, 0x300, v10
	v_addc_co_u32_e32 v11, vcc, 0, v11, vcc
	s_andn2_b64 exec, exec, s[4:5]
	s_cbranch_execnz .LBB171_5
.LBB171_6:
	s_endpgm
	.section	.rodata,"a",@progbits
	.p2align	6, 0x0
	.amdhsa_kernel _ZN9rocsparseL32bsr2csr_block_per_row_2_7_kernelILj256ELj3E21rocsparse_complex_numIfEliEEv20rocsparse_direction_T3_S4_21rocsparse_index_base_PKT1_PKT2_PKS4_S4_S5_PS6_PS9_PS4_
		.amdhsa_group_segment_fixed_size 0
		.amdhsa_private_segment_fixed_size 0
		.amdhsa_kernarg_size 72
		.amdhsa_user_sgpr_count 6
		.amdhsa_user_sgpr_private_segment_buffer 1
		.amdhsa_user_sgpr_dispatch_ptr 0
		.amdhsa_user_sgpr_queue_ptr 0
		.amdhsa_user_sgpr_kernarg_segment_ptr 1
		.amdhsa_user_sgpr_dispatch_id 0
		.amdhsa_user_sgpr_flat_scratch_init 0
		.amdhsa_user_sgpr_kernarg_preload_length 0
		.amdhsa_user_sgpr_kernarg_preload_offset 0
		.amdhsa_user_sgpr_private_segment_size 0
		.amdhsa_uses_dynamic_stack 0
		.amdhsa_system_sgpr_private_segment_wavefront_offset 0
		.amdhsa_system_sgpr_workgroup_id_x 1
		.amdhsa_system_sgpr_workgroup_id_y 0
		.amdhsa_system_sgpr_workgroup_id_z 0
		.amdhsa_system_sgpr_workgroup_info 0
		.amdhsa_system_vgpr_workitem_id 0
		.amdhsa_next_free_vgpr 26
		.amdhsa_next_free_sgpr 22
		.amdhsa_accum_offset 28
		.amdhsa_reserve_vcc 1
		.amdhsa_reserve_flat_scratch 0
		.amdhsa_float_round_mode_32 0
		.amdhsa_float_round_mode_16_64 0
		.amdhsa_float_denorm_mode_32 3
		.amdhsa_float_denorm_mode_16_64 3
		.amdhsa_dx10_clamp 1
		.amdhsa_ieee_mode 1
		.amdhsa_fp16_overflow 0
		.amdhsa_tg_split 0
		.amdhsa_exception_fp_ieee_invalid_op 0
		.amdhsa_exception_fp_denorm_src 0
		.amdhsa_exception_fp_ieee_div_zero 0
		.amdhsa_exception_fp_ieee_overflow 0
		.amdhsa_exception_fp_ieee_underflow 0
		.amdhsa_exception_fp_ieee_inexact 0
		.amdhsa_exception_int_div_zero 0
	.end_amdhsa_kernel
	.section	.text._ZN9rocsparseL32bsr2csr_block_per_row_2_7_kernelILj256ELj3E21rocsparse_complex_numIfEliEEv20rocsparse_direction_T3_S4_21rocsparse_index_base_PKT1_PKT2_PKS4_S4_S5_PS6_PS9_PS4_,"axG",@progbits,_ZN9rocsparseL32bsr2csr_block_per_row_2_7_kernelILj256ELj3E21rocsparse_complex_numIfEliEEv20rocsparse_direction_T3_S4_21rocsparse_index_base_PKT1_PKT2_PKS4_S4_S5_PS6_PS9_PS4_,comdat
.Lfunc_end171:
	.size	_ZN9rocsparseL32bsr2csr_block_per_row_2_7_kernelILj256ELj3E21rocsparse_complex_numIfEliEEv20rocsparse_direction_T3_S4_21rocsparse_index_base_PKT1_PKT2_PKS4_S4_S5_PS6_PS9_PS4_, .Lfunc_end171-_ZN9rocsparseL32bsr2csr_block_per_row_2_7_kernelILj256ELj3E21rocsparse_complex_numIfEliEEv20rocsparse_direction_T3_S4_21rocsparse_index_base_PKT1_PKT2_PKS4_S4_S5_PS6_PS9_PS4_
                                        ; -- End function
	.section	.AMDGPU.csdata,"",@progbits
; Kernel info:
; codeLenInByte = 800
; NumSgprs: 26
; NumVgprs: 26
; NumAgprs: 0
; TotalNumVgprs: 26
; ScratchSize: 0
; MemoryBound: 0
; FloatMode: 240
; IeeeMode: 1
; LDSByteSize: 0 bytes/workgroup (compile time only)
; SGPRBlocks: 3
; VGPRBlocks: 3
; NumSGPRsForWavesPerEU: 26
; NumVGPRsForWavesPerEU: 26
; AccumOffset: 28
; Occupancy: 8
; WaveLimiterHint : 0
; COMPUTE_PGM_RSRC2:SCRATCH_EN: 0
; COMPUTE_PGM_RSRC2:USER_SGPR: 6
; COMPUTE_PGM_RSRC2:TRAP_HANDLER: 0
; COMPUTE_PGM_RSRC2:TGID_X_EN: 1
; COMPUTE_PGM_RSRC2:TGID_Y_EN: 0
; COMPUTE_PGM_RSRC2:TGID_Z_EN: 0
; COMPUTE_PGM_RSRC2:TIDIG_COMP_CNT: 0
; COMPUTE_PGM_RSRC3_GFX90A:ACCUM_OFFSET: 6
; COMPUTE_PGM_RSRC3_GFX90A:TG_SPLIT: 0
	.section	.text._ZN9rocsparseL32bsr2csr_block_per_row_2_7_kernelILj256ELj4E21rocsparse_complex_numIfEliEEv20rocsparse_direction_T3_S4_21rocsparse_index_base_PKT1_PKT2_PKS4_S4_S5_PS6_PS9_PS4_,"axG",@progbits,_ZN9rocsparseL32bsr2csr_block_per_row_2_7_kernelILj256ELj4E21rocsparse_complex_numIfEliEEv20rocsparse_direction_T3_S4_21rocsparse_index_base_PKT1_PKT2_PKS4_S4_S5_PS6_PS9_PS4_,comdat
	.globl	_ZN9rocsparseL32bsr2csr_block_per_row_2_7_kernelILj256ELj4E21rocsparse_complex_numIfEliEEv20rocsparse_direction_T3_S4_21rocsparse_index_base_PKT1_PKT2_PKS4_S4_S5_PS6_PS9_PS4_ ; -- Begin function _ZN9rocsparseL32bsr2csr_block_per_row_2_7_kernelILj256ELj4E21rocsparse_complex_numIfEliEEv20rocsparse_direction_T3_S4_21rocsparse_index_base_PKT1_PKT2_PKS4_S4_S5_PS6_PS9_PS4_
	.p2align	8
	.type	_ZN9rocsparseL32bsr2csr_block_per_row_2_7_kernelILj256ELj4E21rocsparse_complex_numIfEliEEv20rocsparse_direction_T3_S4_21rocsparse_index_base_PKT1_PKT2_PKS4_S4_S5_PS6_PS9_PS4_,@function
_ZN9rocsparseL32bsr2csr_block_per_row_2_7_kernelILj256ELj4E21rocsparse_complex_numIfEliEEv20rocsparse_direction_T3_S4_21rocsparse_index_base_PKT1_PKT2_PKS4_S4_S5_PS6_PS9_PS4_: ; @_ZN9rocsparseL32bsr2csr_block_per_row_2_7_kernelILj256ELj4E21rocsparse_complex_numIfEliEEv20rocsparse_direction_T3_S4_21rocsparse_index_base_PKT1_PKT2_PKS4_S4_S5_PS6_PS9_PS4_
; %bb.0:
	s_load_dwordx2 s[2:3], s[4:5], 0x18
	s_load_dword s12, s[4:5], 0x2c
	s_load_dwordx2 s[0:1], s[4:5], 0x38
	s_ashr_i32 s7, s6, 31
	s_lshl_b64 s[8:9], s[6:7], 3
	s_waitcnt lgkmcnt(0)
	s_add_u32 s2, s2, s8
	s_addc_u32 s3, s3, s9
	s_load_dwordx4 s[8:11], s[2:3], 0x0
	v_or_b32_e32 v1, s6, v0
	s_mov_b32 s15, 0
	v_cmp_eq_u32_e32 vcc, 0, v1
	s_and_saveexec_b64 s[2:3], vcc
	s_cbranch_execz .LBB172_2
; %bb.1:
	s_mov_b32 s13, s15
	v_mov_b32_e32 v1, 0
	v_pk_mov_b32 v[2:3], s[12:13], s[12:13] op_sel:[0,1]
	global_store_dwordx2 v1, v[2:3], s[0:1]
.LBB172_2:
	s_or_b64 exec, exec, s[2:3]
	s_load_dword s14, s[4:5], 0xc
	v_and_b32_e32 v20, 3, v0
	v_lshrrev_b32_e32 v8, 2, v0
	v_mov_b32_e32 v1, 0
	v_mov_b32_e32 v3, s1
	s_waitcnt lgkmcnt(0)
	s_sub_u32 s16, s8, s14
	s_subb_u32 s17, s9, 0
	s_sub_u32 s10, s10, s14
	s_subb_u32 s11, s11, 0
	s_lshl_b64 s[18:19], s[16:17], 4
	s_sub_u32 s20, s10, s16
	s_subb_u32 s21, s11, s17
	s_lshl_b64 s[2:3], s[20:21], 2
	v_mov_b32_e32 v0, s20
	s_add_u32 s7, s2, s12
	v_alignbit_b32 v0, s21, v0, 30
	s_addc_u32 s3, s3, 0
	v_mul_lo_u32 v2, v0, v20
	s_add_u32 s18, s7, s18
	v_lshl_or_b32 v0, s6, 2, v20
	s_addc_u32 s19, s3, s19
	v_add_u32_e32 v0, 1, v0
	v_pk_mov_b32 v[4:5], s[18:19], s[18:19] op_sel:[0,1]
	v_lshlrev_b64 v[0:1], 3, v[0:1]
	v_mad_u64_u32 v[4:5], s[18:19], s2, v20, v[4:5]
	v_add_co_u32_e32 v0, vcc, s0, v0
	v_add_u32_e32 v5, v2, v5
	v_addc_co_u32_e32 v1, vcc, v3, v1, vcc
	global_store_dwordx2 v[0:1], v[4:5], off
	v_mov_b32_e32 v1, s17
	v_add_co_u32_e32 v0, vcc, s16, v8
	v_addc_co_u32_e32 v1, vcc, 0, v1, vcc
	v_cmp_gt_i64_e32 vcc, s[10:11], v[0:1]
	s_and_saveexec_b64 s[0:1], vcc
	s_cbranch_execz .LBB172_15
; %bb.3:
	s_load_dwordx2 s[16:17], s[4:5], 0x20
	s_load_dwordx2 s[24:25], s[4:5], 0x30
	;; [unrolled: 1-line block ×3, first 2 shown]
	s_load_dword s3, s[4:5], 0x0
	s_load_dwordx2 s[26:27], s[4:5], 0x40
	v_mad_u64_u32 v[10:11], s[0:1], s2, v20, 0
	v_add_u32_e32 v9, v11, v2
	s_waitcnt lgkmcnt(0)
	s_cmp_eq_u32 s3, 0
	s_cselect_b64 s[0:1], -1, 0
	s_cmp_lg_u32 s3, 0
	s_cselect_b64 s[4:5], -1, 0
	s_add_u32 s13, s6, 32
	s_addc_u32 s18, s7, 0
	s_add_u32 s19, s6, 64
	s_addc_u32 s20, s7, 0
	v_lshlrev_b64 v[2:3], 2, v[0:1]
	s_add_u32 s21, s6, 0x60
	v_mov_b32_e32 v4, s17
	v_add_co_u32_e32 v2, vcc, s16, v2
	s_addc_u32 s22, s7, 0
	v_addc_co_u32_e32 v3, vcc, v4, v3, vcc
	s_lshl_b64 s[2:3], s[8:9], 4
	v_mov_b32_e32 v11, s3
	v_add_co_u32_e32 v10, vcc, s2, v10
	v_addc_co_u32_e32 v9, vcc, v9, v11, vcc
	v_lshlrev_b32_e32 v8, 2, v8
	v_add_co_u32_e32 v8, vcc, v10, v8
	v_addc_co_u32_e32 v9, vcc, 0, v9, vcc
	s_lshl_b64 s[2:3], s[14:15], 4
	v_mov_b32_e32 v10, s3
	v_subrev_co_u32_e32 v12, vcc, s2, v8
	v_subb_co_u32_e32 v13, vcc, v9, v10, vcc
	v_lshlrev_b64 v[8:9], 3, v[12:13]
	v_mov_b32_e32 v10, s25
	v_add_co_u32_e32 v8, vcc, s24, v8
	v_addc_co_u32_e32 v9, vcc, v9, v10, vcc
	v_add_co_u32_e32 v8, vcc, 16, v8
	v_lshlrev_b64 v[10:11], 7, v[0:1]
	v_addc_co_u32_e32 v9, vcc, 0, v9, vcc
	v_lshl_or_b32 v10, v20, 5, v10
	v_mov_b32_e32 v21, s7
	v_add_co_u32_e32 v10, vcc, s6, v10
	v_addc_co_u32_e32 v11, vcc, v11, v21, vcc
	v_add_co_u32_e32 v10, vcc, 24, v10
	v_addc_co_u32_e32 v11, vcc, 0, v11, vcc
	v_lshlrev_b64 v[12:13], 2, v[12:13]
	v_mov_b32_e32 v14, s27
	v_add_co_u32_e32 v12, vcc, s26, v12
	v_addc_co_u32_e32 v13, vcc, v13, v14, vcc
	v_lshlrev_b64 v[4:5], 4, v[0:1]
	v_add_co_u32_e32 v12, vcc, 8, v12
	v_or_b32_e32 v6, v4, v20
	v_mov_b32_e32 v7, v5
	v_lshl_or_b32 v4, v20, 2, v4
	v_addc_co_u32_e32 v13, vcc, 0, v13, vcc
	s_mov_b64 s[8:9], 0
	v_cndmask_b32_e64 v22, 0, 1, s[4:5]
	s_branch .LBB172_5
.LBB172_4:                              ;   in Loop: Header=BB172_5 Depth=1
	global_load_dwordx2 v[14:15], v[16:17], off
	v_add_co_u32_e32 v0, vcc, 64, v0
	v_addc_co_u32_e32 v1, vcc, 0, v1, vcc
	v_add_co_u32_e32 v2, vcc, 0x100, v2
	v_addc_co_u32_e32 v3, vcc, 0, v3, vcc
	;; [unrolled: 2-line block ×4, first 2 shown]
	v_cmp_le_i64_e64 s[2:3], s[10:11], v[0:1]
	s_or_b64 s[8:9], s[2:3], s[8:9]
	s_waitcnt vmcnt(0)
	global_store_dwordx2 v[8:9], v[14:15], off offset:8
	v_add_co_u32_e32 v8, vcc, 0x800, v8
	v_addc_co_u32_e32 v9, vcc, 0, v9, vcc
	v_add_co_u32_e32 v10, vcc, 0x2000, v10
	v_addc_co_u32_e32 v11, vcc, 0, v11, vcc
	;; [unrolled: 2-line block ×3, first 2 shown]
	s_andn2_b64 exec, exec, s[8:9]
	s_cbranch_execz .LBB172_15
.LBB172_5:                              ; =>This Inner Loop Header: Depth=1
	v_cndmask_b32_e64 v15, v7, v5, s[0:1]
	v_cndmask_b32_e64 v14, v6, v4, s[0:1]
	v_lshlrev_b64 v[14:15], 3, v[14:15]
	global_load_dword v16, v[2:3], off
	v_add_co_u32_e32 v14, vcc, s6, v14
	v_addc_co_u32_e32 v15, vcc, v21, v15, vcc
	global_load_dwordx2 v[14:15], v[14:15], off
	v_lshlrev_b64 v[18:19], 4, v[0:1]
	v_or_b32_e32 v18, v18, v20
	v_cmp_ne_u32_e64 s[2:3], 1, v22
	s_andn2_b64 vcc, exec, s[4:5]
	s_waitcnt vmcnt(1)
	v_subrev_u32_e32 v16, s14, v16
	v_lshl_add_u32 v16, v16, 2, s12
	v_add_u32_e32 v17, 1, v16
	s_waitcnt vmcnt(0)
	global_store_dwordx2 v[8:9], v[14:15], off offset:-16
	global_store_dwordx2 v[12:13], v[16:17], off offset:-8
	v_lshlrev_b64 v[14:15], 3, v[18:19]
	s_cbranch_vccnz .LBB172_7
; %bb.6:                                ;   in Loop: Header=BB172_5 Depth=1
	v_mov_b32_e32 v17, s18
	v_add_co_u32_e32 v18, vcc, s13, v14
	v_addc_co_u32_e32 v19, vcc, v17, v15, vcc
	s_cbranch_execz .LBB172_8
	s_branch .LBB172_9
.LBB172_7:                              ;   in Loop: Header=BB172_5 Depth=1
                                        ; implicit-def: $vgpr18_vgpr19
.LBB172_8:                              ;   in Loop: Header=BB172_5 Depth=1
	v_add_co_u32_e32 v18, vcc, -16, v10
	v_addc_co_u32_e32 v19, vcc, -1, v11, vcc
.LBB172_9:                              ;   in Loop: Header=BB172_5 Depth=1
	global_load_dwordx2 v[18:19], v[18:19], off
	s_and_b64 vcc, exec, s[2:3]
	v_add_u32_e32 v17, 2, v16
	s_waitcnt vmcnt(0)
	global_store_dwordx2 v[8:9], v[18:19], off offset:-8
	global_store_dword v[12:13], v17, off
	s_cbranch_vccnz .LBB172_11
; %bb.10:                               ;   in Loop: Header=BB172_5 Depth=1
	v_mov_b32_e32 v17, s20
	v_add_co_u32_e32 v18, vcc, s19, v14
	v_addc_co_u32_e32 v19, vcc, v17, v15, vcc
	s_cbranch_execz .LBB172_12
	s_branch .LBB172_13
.LBB172_11:                             ;   in Loop: Header=BB172_5 Depth=1
                                        ; implicit-def: $vgpr18_vgpr19
.LBB172_12:                             ;   in Loop: Header=BB172_5 Depth=1
	v_add_co_u32_e32 v18, vcc, -8, v10
	v_addc_co_u32_e32 v19, vcc, -1, v11, vcc
.LBB172_13:                             ;   in Loop: Header=BB172_5 Depth=1
	global_load_dwordx2 v[18:19], v[18:19], off
	v_add_u32_e32 v16, 3, v16
	s_and_b64 vcc, exec, s[2:3]
	global_store_dword v[12:13], v16, off offset:4
	s_waitcnt vmcnt(1)
	global_store_dwordx2 v[8:9], v[18:19], off
	v_pk_mov_b32 v[16:17], v[10:11], v[10:11] op_sel:[0,1]
	s_cbranch_vccnz .LBB172_4
; %bb.14:                               ;   in Loop: Header=BB172_5 Depth=1
	v_mov_b32_e32 v17, s22
	v_add_co_u32_e32 v16, vcc, s21, v14
	v_addc_co_u32_e32 v17, vcc, v17, v15, vcc
	s_branch .LBB172_4
.LBB172_15:
	s_endpgm
	.section	.rodata,"a",@progbits
	.p2align	6, 0x0
	.amdhsa_kernel _ZN9rocsparseL32bsr2csr_block_per_row_2_7_kernelILj256ELj4E21rocsparse_complex_numIfEliEEv20rocsparse_direction_T3_S4_21rocsparse_index_base_PKT1_PKT2_PKS4_S4_S5_PS6_PS9_PS4_
		.amdhsa_group_segment_fixed_size 0
		.amdhsa_private_segment_fixed_size 0
		.amdhsa_kernarg_size 72
		.amdhsa_user_sgpr_count 6
		.amdhsa_user_sgpr_private_segment_buffer 1
		.amdhsa_user_sgpr_dispatch_ptr 0
		.amdhsa_user_sgpr_queue_ptr 0
		.amdhsa_user_sgpr_kernarg_segment_ptr 1
		.amdhsa_user_sgpr_dispatch_id 0
		.amdhsa_user_sgpr_flat_scratch_init 0
		.amdhsa_user_sgpr_kernarg_preload_length 0
		.amdhsa_user_sgpr_kernarg_preload_offset 0
		.amdhsa_user_sgpr_private_segment_size 0
		.amdhsa_uses_dynamic_stack 0
		.amdhsa_system_sgpr_private_segment_wavefront_offset 0
		.amdhsa_system_sgpr_workgroup_id_x 1
		.amdhsa_system_sgpr_workgroup_id_y 0
		.amdhsa_system_sgpr_workgroup_id_z 0
		.amdhsa_system_sgpr_workgroup_info 0
		.amdhsa_system_vgpr_workitem_id 0
		.amdhsa_next_free_vgpr 23
		.amdhsa_next_free_sgpr 28
		.amdhsa_accum_offset 24
		.amdhsa_reserve_vcc 1
		.amdhsa_reserve_flat_scratch 0
		.amdhsa_float_round_mode_32 0
		.amdhsa_float_round_mode_16_64 0
		.amdhsa_float_denorm_mode_32 3
		.amdhsa_float_denorm_mode_16_64 3
		.amdhsa_dx10_clamp 1
		.amdhsa_ieee_mode 1
		.amdhsa_fp16_overflow 0
		.amdhsa_tg_split 0
		.amdhsa_exception_fp_ieee_invalid_op 0
		.amdhsa_exception_fp_denorm_src 0
		.amdhsa_exception_fp_ieee_div_zero 0
		.amdhsa_exception_fp_ieee_overflow 0
		.amdhsa_exception_fp_ieee_underflow 0
		.amdhsa_exception_fp_ieee_inexact 0
		.amdhsa_exception_int_div_zero 0
	.end_amdhsa_kernel
	.section	.text._ZN9rocsparseL32bsr2csr_block_per_row_2_7_kernelILj256ELj4E21rocsparse_complex_numIfEliEEv20rocsparse_direction_T3_S4_21rocsparse_index_base_PKT1_PKT2_PKS4_S4_S5_PS6_PS9_PS4_,"axG",@progbits,_ZN9rocsparseL32bsr2csr_block_per_row_2_7_kernelILj256ELj4E21rocsparse_complex_numIfEliEEv20rocsparse_direction_T3_S4_21rocsparse_index_base_PKT1_PKT2_PKS4_S4_S5_PS6_PS9_PS4_,comdat
.Lfunc_end172:
	.size	_ZN9rocsparseL32bsr2csr_block_per_row_2_7_kernelILj256ELj4E21rocsparse_complex_numIfEliEEv20rocsparse_direction_T3_S4_21rocsparse_index_base_PKT1_PKT2_PKS4_S4_S5_PS6_PS9_PS4_, .Lfunc_end172-_ZN9rocsparseL32bsr2csr_block_per_row_2_7_kernelILj256ELj4E21rocsparse_complex_numIfEliEEv20rocsparse_direction_T3_S4_21rocsparse_index_base_PKT1_PKT2_PKS4_S4_S5_PS6_PS9_PS4_
                                        ; -- End function
	.section	.AMDGPU.csdata,"",@progbits
; Kernel info:
; codeLenInByte = 980
; NumSgprs: 32
; NumVgprs: 23
; NumAgprs: 0
; TotalNumVgprs: 23
; ScratchSize: 0
; MemoryBound: 0
; FloatMode: 240
; IeeeMode: 1
; LDSByteSize: 0 bytes/workgroup (compile time only)
; SGPRBlocks: 3
; VGPRBlocks: 2
; NumSGPRsForWavesPerEU: 32
; NumVGPRsForWavesPerEU: 23
; AccumOffset: 24
; Occupancy: 8
; WaveLimiterHint : 0
; COMPUTE_PGM_RSRC2:SCRATCH_EN: 0
; COMPUTE_PGM_RSRC2:USER_SGPR: 6
; COMPUTE_PGM_RSRC2:TRAP_HANDLER: 0
; COMPUTE_PGM_RSRC2:TGID_X_EN: 1
; COMPUTE_PGM_RSRC2:TGID_Y_EN: 0
; COMPUTE_PGM_RSRC2:TGID_Z_EN: 0
; COMPUTE_PGM_RSRC2:TIDIG_COMP_CNT: 0
; COMPUTE_PGM_RSRC3_GFX90A:ACCUM_OFFSET: 5
; COMPUTE_PGM_RSRC3_GFX90A:TG_SPLIT: 0
	.section	.text._ZN9rocsparseL32bsr2csr_block_per_row_2_7_kernelILj256ELj5E21rocsparse_complex_numIfEliEEv20rocsparse_direction_T3_S4_21rocsparse_index_base_PKT1_PKT2_PKS4_S4_S5_PS6_PS9_PS4_,"axG",@progbits,_ZN9rocsparseL32bsr2csr_block_per_row_2_7_kernelILj256ELj5E21rocsparse_complex_numIfEliEEv20rocsparse_direction_T3_S4_21rocsparse_index_base_PKT1_PKT2_PKS4_S4_S5_PS6_PS9_PS4_,comdat
	.globl	_ZN9rocsparseL32bsr2csr_block_per_row_2_7_kernelILj256ELj5E21rocsparse_complex_numIfEliEEv20rocsparse_direction_T3_S4_21rocsparse_index_base_PKT1_PKT2_PKS4_S4_S5_PS6_PS9_PS4_ ; -- Begin function _ZN9rocsparseL32bsr2csr_block_per_row_2_7_kernelILj256ELj5E21rocsparse_complex_numIfEliEEv20rocsparse_direction_T3_S4_21rocsparse_index_base_PKT1_PKT2_PKS4_S4_S5_PS6_PS9_PS4_
	.p2align	8
	.type	_ZN9rocsparseL32bsr2csr_block_per_row_2_7_kernelILj256ELj5E21rocsparse_complex_numIfEliEEv20rocsparse_direction_T3_S4_21rocsparse_index_base_PKT1_PKT2_PKS4_S4_S5_PS6_PS9_PS4_,@function
_ZN9rocsparseL32bsr2csr_block_per_row_2_7_kernelILj256ELj5E21rocsparse_complex_numIfEliEEv20rocsparse_direction_T3_S4_21rocsparse_index_base_PKT1_PKT2_PKS4_S4_S5_PS6_PS9_PS4_: ; @_ZN9rocsparseL32bsr2csr_block_per_row_2_7_kernelILj256ELj5E21rocsparse_complex_numIfEliEEv20rocsparse_direction_T3_S4_21rocsparse_index_base_PKT1_PKT2_PKS4_S4_S5_PS6_PS9_PS4_
; %bb.0:
	s_load_dwordx2 s[2:3], s[4:5], 0x18
	s_load_dword s12, s[4:5], 0x2c
	s_load_dwordx2 s[0:1], s[4:5], 0x38
	s_ashr_i32 s7, s6, 31
	s_lshl_b64 s[8:9], s[6:7], 3
	s_waitcnt lgkmcnt(0)
	s_add_u32 s2, s2, s8
	v_or_b32_e32 v1, s6, v0
	s_addc_u32 s3, s3, s9
	v_cmp_eq_u32_e32 vcc, 0, v1
	s_and_saveexec_b64 s[8:9], vcc
	s_cbranch_execz .LBB173_2
; %bb.1:
	v_mov_b32_e32 v2, s12
	v_mov_b32_e32 v3, 0
	global_store_dwordx2 v3, v[2:3], s[0:1]
.LBB173_2:
	s_or_b64 exec, exec, s[8:9]
	v_and_b32_e32 v4, 7, v0
	v_cmp_gt_u32_e32 vcc, 5, v4
	s_and_saveexec_b64 s[8:9], vcc
	s_cbranch_execz .LBB173_6
; %bb.3:
	s_load_dwordx4 s[8:11], s[2:3], 0x0
	s_load_dword s7, s[4:5], 0xc
	s_mul_i32 s6, s6, 5
	v_lshrrev_b32_e32 v8, 3, v0
	v_mov_b32_e32 v1, 0
	v_add3_u32 v0, v4, s6, 1
	s_waitcnt lgkmcnt(0)
	s_sub_u32 s3, s8, s7
	s_subb_u32 s13, s9, 0
	s_mul_hi_u32 s2, s3, 25
	s_sub_u32 s10, s10, s7
	s_mul_i32 s14, s13, 25
	s_subb_u32 s11, s11, 0
	s_add_i32 s15, s2, s14
	s_sub_u32 s2, s10, s3
	s_subb_u32 s16, s11, s13
	s_mul_i32 s16, s16, 5
	s_mul_hi_u32 s17, s2, 5
	s_add_i32 s17, s17, s16
	s_mul_i32 s2, s2, 5
	s_add_u32 s16, s2, s12
	s_mul_i32 s14, s3, 25
	v_mul_lo_u32 v2, s17, v4
	s_addc_u32 s17, s17, 0
	s_add_u32 s14, s16, s14
	s_addc_u32 s15, s17, s15
	v_pk_mov_b32 v[6:7], s[14:15], s[14:15] op_sel:[0,1]
	v_lshlrev_b64 v[0:1], 3, v[0:1]
	v_mad_u64_u32 v[6:7], s[14:15], s2, v4, v[6:7]
	v_mov_b32_e32 v3, s1
	v_add_co_u32_e32 v0, vcc, s0, v0
	v_add_u32_e32 v7, v2, v7
	v_addc_co_u32_e32 v1, vcc, v3, v1, vcc
	global_store_dwordx2 v[0:1], v[6:7], off
	v_mov_b32_e32 v1, s13
	v_add_co_u32_e32 v0, vcc, s3, v8
	v_addc_co_u32_e32 v1, vcc, 0, v1, vcc
	v_cmp_gt_i64_e32 vcc, s[10:11], v[0:1]
	s_and_b64 exec, exec, vcc
	s_cbranch_execz .LBB173_6
; %bb.4:
	s_load_dwordx2 s[14:15], s[4:5], 0x20
	s_load_dwordx2 s[16:17], s[4:5], 0x30
	;; [unrolled: 1-line block ×3, first 2 shown]
	s_load_dword s3, s[4:5], 0x0
	s_load_dwordx2 s[20:21], s[4:5], 0x40
	s_movk_i32 s4, 0xc8
	v_mad_u64_u32 v[10:11], s[0:1], s2, v4, 0
	s_waitcnt lgkmcnt(0)
	v_pk_mov_b32 v[6:7], s[18:19], s[18:19] op_sel:[0,1]
	s_cmp_eq_u32 s3, 0
	v_mad_u64_u32 v[6:7], s[2:3], v0, s4, v[6:7]
	v_add_u32_e32 v11, v11, v2
	v_lshlrev_b64 v[2:3], 2, v[0:1]
	v_mov_b32_e32 v12, v7
	v_mov_b32_e32 v5, s15
	v_add_co_u32_e32 v2, vcc, s14, v2
	v_mad_u64_u32 v[12:13], s[2:3], v1, s4, v[12:13]
	v_mad_u64_u32 v[10:11], s[2:3], s8, 25, v[10:11]
	v_addc_co_u32_e32 v3, vcc, v5, v3, vcc
	v_mov_b32_e32 v5, v12
	v_mov_b32_e32 v12, v11
	v_mad_u64_u32 v[12:13], s[2:3], s9, 25, v[12:13]
	v_mov_b32_e32 v11, v12
	v_mad_u64_u32 v[8:9], s[2:3], v8, 5, v[10:11]
	s_mul_hi_u32 s2, s7, 25
	s_mul_i32 s3, s7, 25
	v_mov_b32_e32 v7, s2
	v_subrev_co_u32_e32 v10, vcc, s3, v8
	v_subb_co_u32_e32 v11, vcc, v9, v7, vcc
	v_lshlrev_b64 v[8:9], 3, v[10:11]
	v_mov_b32_e32 v7, s17
	v_add_co_u32_e32 v8, vcc, s16, v8
	v_addc_co_u32_e32 v7, vcc, v9, v7, vcc
	v_add_co_u32_e32 v8, vcc, 16, v8
	v_addc_co_u32_e32 v9, vcc, 0, v7, vcc
	v_lshlrev_b64 v[10:11], 2, v[10:11]
	v_mov_b32_e32 v7, s21
	v_add_co_u32_e32 v10, vcc, s20, v10
	v_addc_co_u32_e32 v7, vcc, v11, v7, vcc
	v_mul_u32_u24_e32 v14, 5, v4
	v_add_co_u32_e32 v10, vcc, 12, v10
	s_cselect_b64 s[0:1], -1, 0
	v_lshlrev_b32_e32 v4, 3, v4
	v_addc_co_u32_e32 v11, vcc, 0, v7, vcc
	v_lshlrev_b32_e32 v12, 3, v14
	s_mov_b64 s[4:5], 0
	v_mov_b32_e32 v14, s12
	s_movk_i32 s6, 0x50
	s_movk_i32 s8, 0x78
	;; [unrolled: 1-line block ×5, first 2 shown]
.LBB173_5:                              ; =>This Inner Loop Header: Depth=1
	v_add_co_u32_e32 v13, vcc, v6, v4
	v_addc_co_u32_e32 v15, vcc, 0, v5, vcc
	v_add_co_u32_e32 v18, vcc, v6, v12
	v_addc_co_u32_e32 v19, vcc, 0, v5, vcc
	;; [unrolled: 2-line block ×8, first 2 shown]
	v_cndmask_b32_e64 v16, v13, v18, s[0:1]
	v_add_co_u32_e32 v18, vcc, 32, v18
	v_cndmask_b32_e64 v17, v15, v19, s[0:1]
	v_addc_co_u32_e32 v19, vcc, 0, v19, vcc
	global_load_dword v7, v[2:3], off
	v_add_co_u32_e32 v13, vcc, s9, v13
	v_addc_co_u32_e32 v15, vcc, 0, v15, vcc
	v_cndmask_b32_e64 v25, v23, v21, s[0:1]
	v_cndmask_b32_e64 v24, v22, v20, s[0:1]
	global_load_dwordx2 v[16:17], v[16:17], off
	v_cndmask_b32_e64 v27, v29, v27, s[0:1]
	v_cndmask_b32_e64 v26, v28, v26, s[0:1]
	;; [unrolled: 1-line block ×6, first 2 shown]
	global_load_dwordx2 v[18:19], v[24:25], off
	global_load_dwordx2 v[20:21], v[26:27], off
	;; [unrolled: 1-line block ×4, first 2 shown]
	v_add_co_u32_e32 v0, vcc, 32, v0
	v_addc_co_u32_e32 v1, vcc, 0, v1, vcc
	v_add_co_u32_e32 v2, vcc, s12, v2
	v_addc_co_u32_e32 v3, vcc, 0, v3, vcc
	v_add_co_u32_e32 v6, vcc, s13, v6
	v_cmp_le_i64_e64 s[2:3], s[10:11], v[0:1]
	v_addc_co_u32_e32 v5, vcc, 0, v5, vcc
	s_or_b64 s[4:5], s[2:3], s[4:5]
	s_waitcnt vmcnt(5)
	v_subrev_u32_e32 v7, s7, v7
	v_mad_u64_u32 v[24:25], s[2:3], v7, 5, v[14:15]
	v_add_u32_e32 v26, 2, v24
	v_add_u32_e32 v25, 1, v24
	;; [unrolled: 1-line block ×4, first 2 shown]
	s_waitcnt vmcnt(3)
	global_store_dwordx4 v[8:9], v[16:19], off offset:-16
	global_store_dwordx3 v[10:11], v[24:26], off offset:-12
	s_waitcnt vmcnt(3)
	global_store_dwordx4 v[8:9], v[20:23], off
	global_store_dwordx2 v[10:11], v[28:29], off
	s_waitcnt vmcnt(4)
	global_store_dwordx2 v[8:9], v[32:33], off offset:16
	v_add_co_u32_e32 v8, vcc, 0x500, v8
	v_addc_co_u32_e32 v9, vcc, 0, v9, vcc
	v_add_co_u32_e32 v10, vcc, 0x280, v10
	v_addc_co_u32_e32 v11, vcc, 0, v11, vcc
	s_andn2_b64 exec, exec, s[4:5]
	s_cbranch_execnz .LBB173_5
.LBB173_6:
	s_endpgm
	.section	.rodata,"a",@progbits
	.p2align	6, 0x0
	.amdhsa_kernel _ZN9rocsparseL32bsr2csr_block_per_row_2_7_kernelILj256ELj5E21rocsparse_complex_numIfEliEEv20rocsparse_direction_T3_S4_21rocsparse_index_base_PKT1_PKT2_PKS4_S4_S5_PS6_PS9_PS4_
		.amdhsa_group_segment_fixed_size 0
		.amdhsa_private_segment_fixed_size 0
		.amdhsa_kernarg_size 72
		.amdhsa_user_sgpr_count 6
		.amdhsa_user_sgpr_private_segment_buffer 1
		.amdhsa_user_sgpr_dispatch_ptr 0
		.amdhsa_user_sgpr_queue_ptr 0
		.amdhsa_user_sgpr_kernarg_segment_ptr 1
		.amdhsa_user_sgpr_dispatch_id 0
		.amdhsa_user_sgpr_flat_scratch_init 0
		.amdhsa_user_sgpr_kernarg_preload_length 0
		.amdhsa_user_sgpr_kernarg_preload_offset 0
		.amdhsa_user_sgpr_private_segment_size 0
		.amdhsa_uses_dynamic_stack 0
		.amdhsa_system_sgpr_private_segment_wavefront_offset 0
		.amdhsa_system_sgpr_workgroup_id_x 1
		.amdhsa_system_sgpr_workgroup_id_y 0
		.amdhsa_system_sgpr_workgroup_id_z 0
		.amdhsa_system_sgpr_workgroup_info 0
		.amdhsa_system_vgpr_workitem_id 0
		.amdhsa_next_free_vgpr 34
		.amdhsa_next_free_sgpr 22
		.amdhsa_accum_offset 36
		.amdhsa_reserve_vcc 1
		.amdhsa_reserve_flat_scratch 0
		.amdhsa_float_round_mode_32 0
		.amdhsa_float_round_mode_16_64 0
		.amdhsa_float_denorm_mode_32 3
		.amdhsa_float_denorm_mode_16_64 3
		.amdhsa_dx10_clamp 1
		.amdhsa_ieee_mode 1
		.amdhsa_fp16_overflow 0
		.amdhsa_tg_split 0
		.amdhsa_exception_fp_ieee_invalid_op 0
		.amdhsa_exception_fp_denorm_src 0
		.amdhsa_exception_fp_ieee_div_zero 0
		.amdhsa_exception_fp_ieee_overflow 0
		.amdhsa_exception_fp_ieee_underflow 0
		.amdhsa_exception_fp_ieee_inexact 0
		.amdhsa_exception_int_div_zero 0
	.end_amdhsa_kernel
	.section	.text._ZN9rocsparseL32bsr2csr_block_per_row_2_7_kernelILj256ELj5E21rocsparse_complex_numIfEliEEv20rocsparse_direction_T3_S4_21rocsparse_index_base_PKT1_PKT2_PKS4_S4_S5_PS6_PS9_PS4_,"axG",@progbits,_ZN9rocsparseL32bsr2csr_block_per_row_2_7_kernelILj256ELj5E21rocsparse_complex_numIfEliEEv20rocsparse_direction_T3_S4_21rocsparse_index_base_PKT1_PKT2_PKS4_S4_S5_PS6_PS9_PS4_,comdat
.Lfunc_end173:
	.size	_ZN9rocsparseL32bsr2csr_block_per_row_2_7_kernelILj256ELj5E21rocsparse_complex_numIfEliEEv20rocsparse_direction_T3_S4_21rocsparse_index_base_PKT1_PKT2_PKS4_S4_S5_PS6_PS9_PS4_, .Lfunc_end173-_ZN9rocsparseL32bsr2csr_block_per_row_2_7_kernelILj256ELj5E21rocsparse_complex_numIfEliEEv20rocsparse_direction_T3_S4_21rocsparse_index_base_PKT1_PKT2_PKS4_S4_S5_PS6_PS9_PS4_
                                        ; -- End function
	.section	.AMDGPU.csdata,"",@progbits
; Kernel info:
; codeLenInByte = 920
; NumSgprs: 26
; NumVgprs: 34
; NumAgprs: 0
; TotalNumVgprs: 34
; ScratchSize: 0
; MemoryBound: 0
; FloatMode: 240
; IeeeMode: 1
; LDSByteSize: 0 bytes/workgroup (compile time only)
; SGPRBlocks: 3
; VGPRBlocks: 4
; NumSGPRsForWavesPerEU: 26
; NumVGPRsForWavesPerEU: 34
; AccumOffset: 36
; Occupancy: 8
; WaveLimiterHint : 0
; COMPUTE_PGM_RSRC2:SCRATCH_EN: 0
; COMPUTE_PGM_RSRC2:USER_SGPR: 6
; COMPUTE_PGM_RSRC2:TRAP_HANDLER: 0
; COMPUTE_PGM_RSRC2:TGID_X_EN: 1
; COMPUTE_PGM_RSRC2:TGID_Y_EN: 0
; COMPUTE_PGM_RSRC2:TGID_Z_EN: 0
; COMPUTE_PGM_RSRC2:TIDIG_COMP_CNT: 0
; COMPUTE_PGM_RSRC3_GFX90A:ACCUM_OFFSET: 8
; COMPUTE_PGM_RSRC3_GFX90A:TG_SPLIT: 0
	.section	.text._ZN9rocsparseL32bsr2csr_block_per_row_2_7_kernelILj256ELj6E21rocsparse_complex_numIfEliEEv20rocsparse_direction_T3_S4_21rocsparse_index_base_PKT1_PKT2_PKS4_S4_S5_PS6_PS9_PS4_,"axG",@progbits,_ZN9rocsparseL32bsr2csr_block_per_row_2_7_kernelILj256ELj6E21rocsparse_complex_numIfEliEEv20rocsparse_direction_T3_S4_21rocsparse_index_base_PKT1_PKT2_PKS4_S4_S5_PS6_PS9_PS4_,comdat
	.globl	_ZN9rocsparseL32bsr2csr_block_per_row_2_7_kernelILj256ELj6E21rocsparse_complex_numIfEliEEv20rocsparse_direction_T3_S4_21rocsparse_index_base_PKT1_PKT2_PKS4_S4_S5_PS6_PS9_PS4_ ; -- Begin function _ZN9rocsparseL32bsr2csr_block_per_row_2_7_kernelILj256ELj6E21rocsparse_complex_numIfEliEEv20rocsparse_direction_T3_S4_21rocsparse_index_base_PKT1_PKT2_PKS4_S4_S5_PS6_PS9_PS4_
	.p2align	8
	.type	_ZN9rocsparseL32bsr2csr_block_per_row_2_7_kernelILj256ELj6E21rocsparse_complex_numIfEliEEv20rocsparse_direction_T3_S4_21rocsparse_index_base_PKT1_PKT2_PKS4_S4_S5_PS6_PS9_PS4_,@function
_ZN9rocsparseL32bsr2csr_block_per_row_2_7_kernelILj256ELj6E21rocsparse_complex_numIfEliEEv20rocsparse_direction_T3_S4_21rocsparse_index_base_PKT1_PKT2_PKS4_S4_S5_PS6_PS9_PS4_: ; @_ZN9rocsparseL32bsr2csr_block_per_row_2_7_kernelILj256ELj6E21rocsparse_complex_numIfEliEEv20rocsparse_direction_T3_S4_21rocsparse_index_base_PKT1_PKT2_PKS4_S4_S5_PS6_PS9_PS4_
; %bb.0:
	s_load_dwordx2 s[2:3], s[4:5], 0x18
	s_load_dword s12, s[4:5], 0x2c
	s_load_dwordx2 s[0:1], s[4:5], 0x38
	s_ashr_i32 s7, s6, 31
	s_lshl_b64 s[8:9], s[6:7], 3
	s_waitcnt lgkmcnt(0)
	s_add_u32 s2, s2, s8
	v_or_b32_e32 v1, s6, v0
	s_addc_u32 s3, s3, s9
	v_cmp_eq_u32_e32 vcc, 0, v1
	s_and_saveexec_b64 s[8:9], vcc
	s_cbranch_execz .LBB174_2
; %bb.1:
	v_mov_b32_e32 v2, s12
	v_mov_b32_e32 v3, 0
	global_store_dwordx2 v3, v[2:3], s[0:1]
.LBB174_2:
	s_or_b64 exec, exec, s[8:9]
	v_and_b32_e32 v4, 7, v0
	v_cmp_gt_u32_e32 vcc, 6, v4
	s_and_saveexec_b64 s[8:9], vcc
	s_cbranch_execz .LBB174_6
; %bb.3:
	s_load_dwordx4 s[8:11], s[2:3], 0x0
	s_load_dword s7, s[4:5], 0xc
	s_mul_i32 s6, s6, 6
	v_lshrrev_b32_e32 v8, 3, v0
	v_mov_b32_e32 v1, 0
	v_add3_u32 v0, v4, s6, 1
	s_waitcnt lgkmcnt(0)
	s_sub_u32 s3, s8, s7
	s_subb_u32 s13, s9, 0
	s_mul_hi_u32 s2, s3, 36
	s_sub_u32 s10, s10, s7
	s_mul_i32 s14, s13, 36
	s_subb_u32 s11, s11, 0
	s_add_i32 s15, s2, s14
	s_sub_u32 s2, s10, s3
	s_subb_u32 s16, s11, s13
	s_mul_i32 s16, s16, 6
	s_mul_hi_u32 s17, s2, 6
	s_add_i32 s17, s17, s16
	s_mul_i32 s2, s2, 6
	s_add_u32 s16, s2, s12
	s_mul_i32 s14, s3, 36
	v_mul_lo_u32 v2, s17, v4
	s_addc_u32 s17, s17, 0
	s_add_u32 s14, s16, s14
	s_addc_u32 s15, s17, s15
	v_pk_mov_b32 v[6:7], s[14:15], s[14:15] op_sel:[0,1]
	v_lshlrev_b64 v[0:1], 3, v[0:1]
	v_mad_u64_u32 v[6:7], s[14:15], s2, v4, v[6:7]
	v_mov_b32_e32 v3, s1
	v_add_co_u32_e32 v0, vcc, s0, v0
	v_add_u32_e32 v7, v2, v7
	v_addc_co_u32_e32 v1, vcc, v3, v1, vcc
	global_store_dwordx2 v[0:1], v[6:7], off
	v_mov_b32_e32 v1, s13
	v_add_co_u32_e32 v0, vcc, s3, v8
	v_addc_co_u32_e32 v1, vcc, 0, v1, vcc
	v_cmp_gt_i64_e32 vcc, s[10:11], v[0:1]
	s_and_b64 exec, exec, vcc
	s_cbranch_execz .LBB174_6
; %bb.4:
	s_load_dwordx2 s[14:15], s[4:5], 0x20
	s_load_dwordx2 s[16:17], s[4:5], 0x30
	;; [unrolled: 1-line block ×3, first 2 shown]
	s_load_dword s3, s[4:5], 0x0
	s_load_dwordx2 s[20:21], s[4:5], 0x40
	s_movk_i32 s4, 0x120
	v_mad_u64_u32 v[10:11], s[0:1], s2, v4, 0
	s_waitcnt lgkmcnt(0)
	v_pk_mov_b32 v[6:7], s[18:19], s[18:19] op_sel:[0,1]
	s_cmp_eq_u32 s3, 0
	v_mad_u64_u32 v[6:7], s[2:3], v0, s4, v[6:7]
	v_add_u32_e32 v11, v11, v2
	v_lshlrev_b64 v[2:3], 2, v[0:1]
	v_mov_b32_e32 v12, v7
	v_mov_b32_e32 v5, s15
	v_add_co_u32_e32 v2, vcc, s14, v2
	v_mad_u64_u32 v[12:13], s[2:3], v1, s4, v[12:13]
	v_mad_u64_u32 v[10:11], s[2:3], s8, 36, v[10:11]
	v_addc_co_u32_e32 v3, vcc, v5, v3, vcc
	v_mov_b32_e32 v5, v12
	v_mov_b32_e32 v12, v11
	v_mad_u64_u32 v[12:13], s[2:3], s9, 36, v[12:13]
	v_mov_b32_e32 v11, v12
	v_mad_u64_u32 v[8:9], s[2:3], v8, 6, v[10:11]
	s_mul_hi_u32 s2, s7, 36
	s_mul_i32 s3, s7, 36
	v_mov_b32_e32 v7, s2
	v_subrev_co_u32_e32 v10, vcc, s3, v8
	v_subb_co_u32_e32 v11, vcc, v9, v7, vcc
	v_lshlrev_b64 v[8:9], 3, v[10:11]
	v_mov_b32_e32 v7, s17
	v_add_co_u32_e32 v8, vcc, s16, v8
	v_addc_co_u32_e32 v7, vcc, v9, v7, vcc
	v_add_co_u32_e32 v8, vcc, 24, v8
	v_addc_co_u32_e32 v9, vcc, 0, v7, vcc
	v_lshlrev_b64 v[10:11], 2, v[10:11]
	v_mov_b32_e32 v7, s21
	v_add_co_u32_e32 v10, vcc, s20, v10
	v_addc_co_u32_e32 v7, vcc, v11, v7, vcc
	v_mul_u32_u24_e32 v14, 6, v4
	v_add_co_u32_e32 v10, vcc, 12, v10
	s_cselect_b64 s[0:1], -1, 0
	v_lshlrev_b32_e32 v4, 3, v4
	v_addc_co_u32_e32 v11, vcc, 0, v7, vcc
	v_lshlrev_b32_e32 v12, 3, v14
	s_mov_b64 s[4:5], 0
	v_mov_b32_e32 v14, s12
	s_movk_i32 s6, 0x60
	s_movk_i32 s8, 0x90
	;; [unrolled: 1-line block ×6, first 2 shown]
.LBB174_5:                              ; =>This Inner Loop Header: Depth=1
	v_add_co_u32_e32 v13, vcc, v6, v4
	v_addc_co_u32_e32 v15, vcc, 0, v5, vcc
	v_add_co_u32_e32 v18, vcc, v6, v12
	v_addc_co_u32_e32 v19, vcc, 0, v5, vcc
	;; [unrolled: 2-line block ×10, first 2 shown]
	v_cndmask_b32_e64 v16, v13, v18, s[0:1]
	v_add_co_u32_e32 v18, vcc, 40, v18
	v_cndmask_b32_e64 v17, v15, v19, s[0:1]
	v_addc_co_u32_e32 v19, vcc, 0, v19, vcc
	global_load_dword v7, v[2:3], off
	v_add_co_u32_e32 v13, vcc, s12, v13
	v_addc_co_u32_e32 v15, vcc, 0, v15, vcc
	v_cndmask_b32_e64 v29, v23, v21, s[0:1]
	v_cndmask_b32_e64 v28, v22, v20, s[0:1]
	global_load_dwordx2 v[16:17], v[16:17], off
	v_cndmask_b32_e64 v31, v27, v25, s[0:1]
	v_cndmask_b32_e64 v30, v26, v24, s[0:1]
	;; [unrolled: 1-line block ×8, first 2 shown]
	global_load_dwordx2 v[18:19], v[28:29], off
	global_load_dwordx2 v[20:21], v[30:31], off
	;; [unrolled: 1-line block ×5, first 2 shown]
	v_add_co_u32_e32 v0, vcc, 32, v0
	v_addc_co_u32_e32 v1, vcc, 0, v1, vcc
	v_add_co_u32_e32 v2, vcc, s13, v2
	v_addc_co_u32_e32 v3, vcc, 0, v3, vcc
	v_add_co_u32_e32 v6, vcc, s14, v6
	v_cmp_le_i64_e64 s[2:3], s[10:11], v[0:1]
	v_addc_co_u32_e32 v5, vcc, 0, v5, vcc
	s_or_b64 s[4:5], s[2:3], s[4:5]
	s_waitcnt vmcnt(6)
	v_subrev_u32_e32 v7, s7, v7
	v_mad_u64_u32 v[28:29], s[2:3], v7, 6, v[14:15]
	v_add_u32_e32 v30, 2, v28
	v_add_u32_e32 v29, 1, v28
	;; [unrolled: 1-line block ×5, first 2 shown]
	s_waitcnt vmcnt(4)
	global_store_dwordx4 v[8:9], v[16:19], off offset:-24
	global_store_dwordx3 v[10:11], v[28:30], off offset:-12
	s_waitcnt vmcnt(4)
	global_store_dwordx4 v[8:9], v[20:23], off offset:-8
	global_store_dwordx3 v[10:11], v[32:34], off
	s_waitcnt vmcnt(4)
	global_store_dwordx4 v[8:9], v[24:27], off offset:8
	v_add_co_u32_e32 v8, vcc, 0x600, v8
	v_addc_co_u32_e32 v9, vcc, 0, v9, vcc
	v_add_co_u32_e32 v10, vcc, 0x300, v10
	v_addc_co_u32_e32 v11, vcc, 0, v11, vcc
	s_andn2_b64 exec, exec, s[4:5]
	s_cbranch_execnz .LBB174_5
.LBB174_6:
	s_endpgm
	.section	.rodata,"a",@progbits
	.p2align	6, 0x0
	.amdhsa_kernel _ZN9rocsparseL32bsr2csr_block_per_row_2_7_kernelILj256ELj6E21rocsparse_complex_numIfEliEEv20rocsparse_direction_T3_S4_21rocsparse_index_base_PKT1_PKT2_PKS4_S4_S5_PS6_PS9_PS4_
		.amdhsa_group_segment_fixed_size 0
		.amdhsa_private_segment_fixed_size 0
		.amdhsa_kernarg_size 72
		.amdhsa_user_sgpr_count 6
		.amdhsa_user_sgpr_private_segment_buffer 1
		.amdhsa_user_sgpr_dispatch_ptr 0
		.amdhsa_user_sgpr_queue_ptr 0
		.amdhsa_user_sgpr_kernarg_segment_ptr 1
		.amdhsa_user_sgpr_dispatch_id 0
		.amdhsa_user_sgpr_flat_scratch_init 0
		.amdhsa_user_sgpr_kernarg_preload_length 0
		.amdhsa_user_sgpr_kernarg_preload_offset 0
		.amdhsa_user_sgpr_private_segment_size 0
		.amdhsa_uses_dynamic_stack 0
		.amdhsa_system_sgpr_private_segment_wavefront_offset 0
		.amdhsa_system_sgpr_workgroup_id_x 1
		.amdhsa_system_sgpr_workgroup_id_y 0
		.amdhsa_system_sgpr_workgroup_id_z 0
		.amdhsa_system_sgpr_workgroup_info 0
		.amdhsa_system_vgpr_workitem_id 0
		.amdhsa_next_free_vgpr 40
		.amdhsa_next_free_sgpr 22
		.amdhsa_accum_offset 40
		.amdhsa_reserve_vcc 1
		.amdhsa_reserve_flat_scratch 0
		.amdhsa_float_round_mode_32 0
		.amdhsa_float_round_mode_16_64 0
		.amdhsa_float_denorm_mode_32 3
		.amdhsa_float_denorm_mode_16_64 3
		.amdhsa_dx10_clamp 1
		.amdhsa_ieee_mode 1
		.amdhsa_fp16_overflow 0
		.amdhsa_tg_split 0
		.amdhsa_exception_fp_ieee_invalid_op 0
		.amdhsa_exception_fp_denorm_src 0
		.amdhsa_exception_fp_ieee_div_zero 0
		.amdhsa_exception_fp_ieee_overflow 0
		.amdhsa_exception_fp_ieee_underflow 0
		.amdhsa_exception_fp_ieee_inexact 0
		.amdhsa_exception_int_div_zero 0
	.end_amdhsa_kernel
	.section	.text._ZN9rocsparseL32bsr2csr_block_per_row_2_7_kernelILj256ELj6E21rocsparse_complex_numIfEliEEv20rocsparse_direction_T3_S4_21rocsparse_index_base_PKT1_PKT2_PKS4_S4_S5_PS6_PS9_PS4_,"axG",@progbits,_ZN9rocsparseL32bsr2csr_block_per_row_2_7_kernelILj256ELj6E21rocsparse_complex_numIfEliEEv20rocsparse_direction_T3_S4_21rocsparse_index_base_PKT1_PKT2_PKS4_S4_S5_PS6_PS9_PS4_,comdat
.Lfunc_end174:
	.size	_ZN9rocsparseL32bsr2csr_block_per_row_2_7_kernelILj256ELj6E21rocsparse_complex_numIfEliEEv20rocsparse_direction_T3_S4_21rocsparse_index_base_PKT1_PKT2_PKS4_S4_S5_PS6_PS9_PS4_, .Lfunc_end174-_ZN9rocsparseL32bsr2csr_block_per_row_2_7_kernelILj256ELj6E21rocsparse_complex_numIfEliEEv20rocsparse_direction_T3_S4_21rocsparse_index_base_PKT1_PKT2_PKS4_S4_S5_PS6_PS9_PS4_
                                        ; -- End function
	.section	.AMDGPU.csdata,"",@progbits
; Kernel info:
; codeLenInByte = 968
; NumSgprs: 26
; NumVgprs: 40
; NumAgprs: 0
; TotalNumVgprs: 40
; ScratchSize: 0
; MemoryBound: 0
; FloatMode: 240
; IeeeMode: 1
; LDSByteSize: 0 bytes/workgroup (compile time only)
; SGPRBlocks: 3
; VGPRBlocks: 4
; NumSGPRsForWavesPerEU: 26
; NumVGPRsForWavesPerEU: 40
; AccumOffset: 40
; Occupancy: 8
; WaveLimiterHint : 0
; COMPUTE_PGM_RSRC2:SCRATCH_EN: 0
; COMPUTE_PGM_RSRC2:USER_SGPR: 6
; COMPUTE_PGM_RSRC2:TRAP_HANDLER: 0
; COMPUTE_PGM_RSRC2:TGID_X_EN: 1
; COMPUTE_PGM_RSRC2:TGID_Y_EN: 0
; COMPUTE_PGM_RSRC2:TGID_Z_EN: 0
; COMPUTE_PGM_RSRC2:TIDIG_COMP_CNT: 0
; COMPUTE_PGM_RSRC3_GFX90A:ACCUM_OFFSET: 9
; COMPUTE_PGM_RSRC3_GFX90A:TG_SPLIT: 0
	.section	.text._ZN9rocsparseL32bsr2csr_block_per_row_2_7_kernelILj256ELj7E21rocsparse_complex_numIfEliEEv20rocsparse_direction_T3_S4_21rocsparse_index_base_PKT1_PKT2_PKS4_S4_S5_PS6_PS9_PS4_,"axG",@progbits,_ZN9rocsparseL32bsr2csr_block_per_row_2_7_kernelILj256ELj7E21rocsparse_complex_numIfEliEEv20rocsparse_direction_T3_S4_21rocsparse_index_base_PKT1_PKT2_PKS4_S4_S5_PS6_PS9_PS4_,comdat
	.globl	_ZN9rocsparseL32bsr2csr_block_per_row_2_7_kernelILj256ELj7E21rocsparse_complex_numIfEliEEv20rocsparse_direction_T3_S4_21rocsparse_index_base_PKT1_PKT2_PKS4_S4_S5_PS6_PS9_PS4_ ; -- Begin function _ZN9rocsparseL32bsr2csr_block_per_row_2_7_kernelILj256ELj7E21rocsparse_complex_numIfEliEEv20rocsparse_direction_T3_S4_21rocsparse_index_base_PKT1_PKT2_PKS4_S4_S5_PS6_PS9_PS4_
	.p2align	8
	.type	_ZN9rocsparseL32bsr2csr_block_per_row_2_7_kernelILj256ELj7E21rocsparse_complex_numIfEliEEv20rocsparse_direction_T3_S4_21rocsparse_index_base_PKT1_PKT2_PKS4_S4_S5_PS6_PS9_PS4_,@function
_ZN9rocsparseL32bsr2csr_block_per_row_2_7_kernelILj256ELj7E21rocsparse_complex_numIfEliEEv20rocsparse_direction_T3_S4_21rocsparse_index_base_PKT1_PKT2_PKS4_S4_S5_PS6_PS9_PS4_: ; @_ZN9rocsparseL32bsr2csr_block_per_row_2_7_kernelILj256ELj7E21rocsparse_complex_numIfEliEEv20rocsparse_direction_T3_S4_21rocsparse_index_base_PKT1_PKT2_PKS4_S4_S5_PS6_PS9_PS4_
; %bb.0:
	s_load_dwordx2 s[2:3], s[4:5], 0x18
	s_load_dword s12, s[4:5], 0x2c
	s_load_dwordx2 s[0:1], s[4:5], 0x38
	s_ashr_i32 s7, s6, 31
	s_lshl_b64 s[8:9], s[6:7], 3
	s_waitcnt lgkmcnt(0)
	s_add_u32 s2, s2, s8
	v_or_b32_e32 v1, s6, v0
	s_addc_u32 s3, s3, s9
	v_cmp_eq_u32_e32 vcc, 0, v1
	s_and_saveexec_b64 s[8:9], vcc
	s_cbranch_execz .LBB175_2
; %bb.1:
	v_mov_b32_e32 v2, s12
	v_mov_b32_e32 v3, 0
	global_store_dwordx2 v3, v[2:3], s[0:1]
.LBB175_2:
	s_or_b64 exec, exec, s[8:9]
	v_and_b32_e32 v4, 7, v0
	v_cmp_ne_u32_e32 vcc, 7, v4
	s_and_saveexec_b64 s[8:9], vcc
	s_cbranch_execz .LBB175_6
; %bb.3:
	s_load_dwordx4 s[8:11], s[2:3], 0x0
	s_load_dword s7, s[4:5], 0xc
	s_mul_i32 s6, s6, 7
	v_lshrrev_b32_e32 v8, 3, v0
	v_mov_b32_e32 v1, 0
	v_add3_u32 v0, v4, s6, 1
	s_waitcnt lgkmcnt(0)
	s_sub_u32 s3, s8, s7
	s_subb_u32 s13, s9, 0
	s_mul_hi_u32 s2, s3, 49
	s_sub_u32 s10, s10, s7
	s_mul_i32 s14, s13, 49
	s_subb_u32 s11, s11, 0
	s_add_i32 s15, s2, s14
	s_sub_u32 s2, s10, s3
	s_subb_u32 s16, s11, s13
	s_mul_i32 s16, s16, 7
	s_mul_hi_u32 s17, s2, 7
	s_add_i32 s17, s17, s16
	s_mul_i32 s2, s2, 7
	s_add_u32 s16, s2, s12
	s_mul_i32 s14, s3, 49
	v_mul_lo_u32 v2, s17, v4
	s_addc_u32 s17, s17, 0
	s_add_u32 s14, s16, s14
	s_addc_u32 s15, s17, s15
	v_pk_mov_b32 v[6:7], s[14:15], s[14:15] op_sel:[0,1]
	v_lshlrev_b64 v[0:1], 3, v[0:1]
	v_mad_u64_u32 v[6:7], s[14:15], s2, v4, v[6:7]
	v_mov_b32_e32 v3, s1
	v_add_co_u32_e32 v0, vcc, s0, v0
	v_add_u32_e32 v7, v2, v7
	v_addc_co_u32_e32 v1, vcc, v3, v1, vcc
	global_store_dwordx2 v[0:1], v[6:7], off
	v_mov_b32_e32 v1, s13
	v_add_co_u32_e32 v0, vcc, s3, v8
	v_addc_co_u32_e32 v1, vcc, 0, v1, vcc
	v_cmp_gt_i64_e32 vcc, s[10:11], v[0:1]
	s_and_b64 exec, exec, vcc
	s_cbranch_execz .LBB175_6
; %bb.4:
	s_load_dwordx2 s[14:15], s[4:5], 0x20
	s_load_dwordx2 s[16:17], s[4:5], 0x30
	;; [unrolled: 1-line block ×3, first 2 shown]
	s_load_dword s3, s[4:5], 0x0
	s_load_dwordx2 s[20:21], s[4:5], 0x40
	s_movk_i32 s4, 0x188
	v_mad_u64_u32 v[10:11], s[0:1], s2, v4, 0
	s_waitcnt lgkmcnt(0)
	v_pk_mov_b32 v[6:7], s[18:19], s[18:19] op_sel:[0,1]
	s_cmp_eq_u32 s3, 0
	v_mad_u64_u32 v[6:7], s[2:3], v0, s4, v[6:7]
	v_add_u32_e32 v11, v11, v2
	v_lshlrev_b64 v[2:3], 2, v[0:1]
	v_mov_b32_e32 v12, v7
	v_mov_b32_e32 v5, s15
	v_add_co_u32_e32 v2, vcc, s14, v2
	v_mad_u64_u32 v[12:13], s[2:3], v1, s4, v[12:13]
	v_mad_u64_u32 v[10:11], s[2:3], s8, 49, v[10:11]
	v_addc_co_u32_e32 v3, vcc, v5, v3, vcc
	v_mov_b32_e32 v5, v12
	v_mov_b32_e32 v12, v11
	v_mad_u64_u32 v[12:13], s[2:3], s9, 49, v[12:13]
	v_mov_b32_e32 v11, v12
	v_mad_u64_u32 v[8:9], s[2:3], v8, 7, v[10:11]
	s_mul_hi_u32 s2, s7, 49
	s_mul_i32 s3, s7, 49
	v_mov_b32_e32 v7, s2
	v_subrev_co_u32_e32 v10, vcc, s3, v8
	v_subb_co_u32_e32 v11, vcc, v9, v7, vcc
	v_lshlrev_b64 v[8:9], 3, v[10:11]
	v_mov_b32_e32 v7, s17
	v_add_co_u32_e32 v8, vcc, s16, v8
	v_addc_co_u32_e32 v7, vcc, v9, v7, vcc
	v_add_co_u32_e32 v8, vcc, 24, v8
	v_addc_co_u32_e32 v9, vcc, 0, v7, vcc
	v_lshlrev_b64 v[10:11], 2, v[10:11]
	v_mov_b32_e32 v7, s21
	v_add_co_u32_e32 v10, vcc, s20, v10
	v_addc_co_u32_e32 v7, vcc, v11, v7, vcc
	v_mul_u32_u24_e32 v14, 7, v4
	v_add_co_u32_e32 v10, vcc, 20, v10
	s_cselect_b64 s[0:1], -1, 0
	v_lshlrev_b32_e32 v4, 3, v4
	v_addc_co_u32_e32 v11, vcc, 0, v7, vcc
	v_lshlrev_b32_e32 v12, 3, v14
	s_mov_b64 s[4:5], 0
	v_mov_b32_e32 v14, s12
	s_movk_i32 s6, 0x70
	s_movk_i32 s8, 0xa8
	;; [unrolled: 1-line block ×7, first 2 shown]
.LBB175_5:                              ; =>This Inner Loop Header: Depth=1
	v_add_co_u32_e32 v13, vcc, v6, v4
	v_addc_co_u32_e32 v15, vcc, 0, v5, vcc
	v_add_co_u32_e32 v18, vcc, v6, v12
	v_addc_co_u32_e32 v19, vcc, 0, v5, vcc
	;; [unrolled: 2-line block ×12, first 2 shown]
	v_cndmask_b32_e64 v16, v13, v18, s[0:1]
	v_add_co_u32_e32 v18, vcc, 48, v18
	v_cndmask_b32_e64 v17, v15, v19, s[0:1]
	v_addc_co_u32_e32 v19, vcc, 0, v19, vcc
	global_load_dword v7, v[2:3], off
	v_add_co_u32_e32 v13, vcc, s13, v13
	v_addc_co_u32_e32 v15, vcc, 0, v15, vcc
	v_cndmask_b32_e64 v29, v23, v21, s[0:1]
	v_cndmask_b32_e64 v28, v22, v20, s[0:1]
	global_load_dwordx2 v[16:17], v[16:17], off
	v_cndmask_b32_e64 v31, v27, v25, s[0:1]
	v_cndmask_b32_e64 v30, v26, v24, s[0:1]
	;; [unrolled: 1-line block ×10, first 2 shown]
	global_load_dwordx2 v[18:19], v[28:29], off
	global_load_dwordx2 v[20:21], v[30:31], off
	;; [unrolled: 1-line block ×6, first 2 shown]
	v_add_co_u32_e32 v0, vcc, 32, v0
	v_addc_co_u32_e32 v1, vcc, 0, v1, vcc
	v_add_co_u32_e32 v2, vcc, s14, v2
	v_addc_co_u32_e32 v3, vcc, 0, v3, vcc
	v_add_co_u32_e32 v6, vcc, s15, v6
	v_cmp_le_i64_e64 s[2:3], s[10:11], v[0:1]
	v_addc_co_u32_e32 v5, vcc, 0, v5, vcc
	s_or_b64 s[4:5], s[2:3], s[4:5]
	s_waitcnt vmcnt(7)
	v_subrev_u32_e32 v7, s7, v7
	v_mad_u64_u32 v[32:33], s[2:3], v7, 7, v[14:15]
	v_add_u32_e32 v34, 2, v32
	v_add_u32_e32 v33, 1, v32
	v_add_u32_e32 v29, 4, v32
	v_add_u32_e32 v28, 3, v32
	v_add_u32_e32 v31, 6, v32
	v_add_u32_e32 v30, 5, v32
	s_waitcnt vmcnt(5)
	global_store_dwordx4 v[8:9], v[16:19], off offset:-24
	global_store_dwordx3 v[10:11], v[32:34], off offset:-20
	s_waitcnt vmcnt(5)
	global_store_dwordx4 v[8:9], v[20:23], off offset:-8
	s_waitcnt vmcnt(4)
	global_store_dwordx4 v[8:9], v[24:27], off offset:8
	global_store_dwordx4 v[10:11], v[28:31], off offset:-8
	s_waitcnt vmcnt(5)
	global_store_dwordx2 v[8:9], v[40:41], off offset:24
	v_add_co_u32_e32 v8, vcc, 0x700, v8
	v_addc_co_u32_e32 v9, vcc, 0, v9, vcc
	v_add_co_u32_e32 v10, vcc, 0x380, v10
	v_addc_co_u32_e32 v11, vcc, 0, v11, vcc
	s_andn2_b64 exec, exec, s[4:5]
	s_cbranch_execnz .LBB175_5
.LBB175_6:
	s_endpgm
	.section	.rodata,"a",@progbits
	.p2align	6, 0x0
	.amdhsa_kernel _ZN9rocsparseL32bsr2csr_block_per_row_2_7_kernelILj256ELj7E21rocsparse_complex_numIfEliEEv20rocsparse_direction_T3_S4_21rocsparse_index_base_PKT1_PKT2_PKS4_S4_S5_PS6_PS9_PS4_
		.amdhsa_group_segment_fixed_size 0
		.amdhsa_private_segment_fixed_size 0
		.amdhsa_kernarg_size 72
		.amdhsa_user_sgpr_count 6
		.amdhsa_user_sgpr_private_segment_buffer 1
		.amdhsa_user_sgpr_dispatch_ptr 0
		.amdhsa_user_sgpr_queue_ptr 0
		.amdhsa_user_sgpr_kernarg_segment_ptr 1
		.amdhsa_user_sgpr_dispatch_id 0
		.amdhsa_user_sgpr_flat_scratch_init 0
		.amdhsa_user_sgpr_kernarg_preload_length 0
		.amdhsa_user_sgpr_kernarg_preload_offset 0
		.amdhsa_user_sgpr_private_segment_size 0
		.amdhsa_uses_dynamic_stack 0
		.amdhsa_system_sgpr_private_segment_wavefront_offset 0
		.amdhsa_system_sgpr_workgroup_id_x 1
		.amdhsa_system_sgpr_workgroup_id_y 0
		.amdhsa_system_sgpr_workgroup_id_z 0
		.amdhsa_system_sgpr_workgroup_info 0
		.amdhsa_system_vgpr_workitem_id 0
		.amdhsa_next_free_vgpr 44
		.amdhsa_next_free_sgpr 22
		.amdhsa_accum_offset 44
		.amdhsa_reserve_vcc 1
		.amdhsa_reserve_flat_scratch 0
		.amdhsa_float_round_mode_32 0
		.amdhsa_float_round_mode_16_64 0
		.amdhsa_float_denorm_mode_32 3
		.amdhsa_float_denorm_mode_16_64 3
		.amdhsa_dx10_clamp 1
		.amdhsa_ieee_mode 1
		.amdhsa_fp16_overflow 0
		.amdhsa_tg_split 0
		.amdhsa_exception_fp_ieee_invalid_op 0
		.amdhsa_exception_fp_denorm_src 0
		.amdhsa_exception_fp_ieee_div_zero 0
		.amdhsa_exception_fp_ieee_overflow 0
		.amdhsa_exception_fp_ieee_underflow 0
		.amdhsa_exception_fp_ieee_inexact 0
		.amdhsa_exception_int_div_zero 0
	.end_amdhsa_kernel
	.section	.text._ZN9rocsparseL32bsr2csr_block_per_row_2_7_kernelILj256ELj7E21rocsparse_complex_numIfEliEEv20rocsparse_direction_T3_S4_21rocsparse_index_base_PKT1_PKT2_PKS4_S4_S5_PS6_PS9_PS4_,"axG",@progbits,_ZN9rocsparseL32bsr2csr_block_per_row_2_7_kernelILj256ELj7E21rocsparse_complex_numIfEliEEv20rocsparse_direction_T3_S4_21rocsparse_index_base_PKT1_PKT2_PKS4_S4_S5_PS6_PS9_PS4_,comdat
.Lfunc_end175:
	.size	_ZN9rocsparseL32bsr2csr_block_per_row_2_7_kernelILj256ELj7E21rocsparse_complex_numIfEliEEv20rocsparse_direction_T3_S4_21rocsparse_index_base_PKT1_PKT2_PKS4_S4_S5_PS6_PS9_PS4_, .Lfunc_end175-_ZN9rocsparseL32bsr2csr_block_per_row_2_7_kernelILj256ELj7E21rocsparse_complex_numIfEliEEv20rocsparse_direction_T3_S4_21rocsparse_index_base_PKT1_PKT2_PKS4_S4_S5_PS6_PS9_PS4_
                                        ; -- End function
	.section	.AMDGPU.csdata,"",@progbits
; Kernel info:
; codeLenInByte = 1028
; NumSgprs: 26
; NumVgprs: 44
; NumAgprs: 0
; TotalNumVgprs: 44
; ScratchSize: 0
; MemoryBound: 0
; FloatMode: 240
; IeeeMode: 1
; LDSByteSize: 0 bytes/workgroup (compile time only)
; SGPRBlocks: 3
; VGPRBlocks: 5
; NumSGPRsForWavesPerEU: 26
; NumVGPRsForWavesPerEU: 44
; AccumOffset: 44
; Occupancy: 8
; WaveLimiterHint : 0
; COMPUTE_PGM_RSRC2:SCRATCH_EN: 0
; COMPUTE_PGM_RSRC2:USER_SGPR: 6
; COMPUTE_PGM_RSRC2:TRAP_HANDLER: 0
; COMPUTE_PGM_RSRC2:TGID_X_EN: 1
; COMPUTE_PGM_RSRC2:TGID_Y_EN: 0
; COMPUTE_PGM_RSRC2:TGID_Z_EN: 0
; COMPUTE_PGM_RSRC2:TIDIG_COMP_CNT: 0
; COMPUTE_PGM_RSRC3_GFX90A:ACCUM_OFFSET: 10
; COMPUTE_PGM_RSRC3_GFX90A:TG_SPLIT: 0
	.section	.text._ZN9rocsparseL33bsr2csr_block_per_row_8_32_kernelILj1024ELj8E21rocsparse_complex_numIfEliEEv20rocsparse_direction_T3_S4_21rocsparse_index_base_PKT1_PKT2_PKS4_S4_S5_PS6_PS9_PS4_,"axG",@progbits,_ZN9rocsparseL33bsr2csr_block_per_row_8_32_kernelILj1024ELj8E21rocsparse_complex_numIfEliEEv20rocsparse_direction_T3_S4_21rocsparse_index_base_PKT1_PKT2_PKS4_S4_S5_PS6_PS9_PS4_,comdat
	.globl	_ZN9rocsparseL33bsr2csr_block_per_row_8_32_kernelILj1024ELj8E21rocsparse_complex_numIfEliEEv20rocsparse_direction_T3_S4_21rocsparse_index_base_PKT1_PKT2_PKS4_S4_S5_PS6_PS9_PS4_ ; -- Begin function _ZN9rocsparseL33bsr2csr_block_per_row_8_32_kernelILj1024ELj8E21rocsparse_complex_numIfEliEEv20rocsparse_direction_T3_S4_21rocsparse_index_base_PKT1_PKT2_PKS4_S4_S5_PS6_PS9_PS4_
	.p2align	8
	.type	_ZN9rocsparseL33bsr2csr_block_per_row_8_32_kernelILj1024ELj8E21rocsparse_complex_numIfEliEEv20rocsparse_direction_T3_S4_21rocsparse_index_base_PKT1_PKT2_PKS4_S4_S5_PS6_PS9_PS4_,@function
_ZN9rocsparseL33bsr2csr_block_per_row_8_32_kernelILj1024ELj8E21rocsparse_complex_numIfEliEEv20rocsparse_direction_T3_S4_21rocsparse_index_base_PKT1_PKT2_PKS4_S4_S5_PS6_PS9_PS4_: ; @_ZN9rocsparseL33bsr2csr_block_per_row_8_32_kernelILj1024ELj8E21rocsparse_complex_numIfEliEEv20rocsparse_direction_T3_S4_21rocsparse_index_base_PKT1_PKT2_PKS4_S4_S5_PS6_PS9_PS4_
; %bb.0:
	s_load_dwordx2 s[2:3], s[4:5], 0x18
	s_load_dwordx2 s[0:1], s[4:5], 0x28
	;; [unrolled: 1-line block ×3, first 2 shown]
	s_ashr_i32 s7, s6, 31
	s_lshl_b64 s[8:9], s[6:7], 3
	s_waitcnt lgkmcnt(0)
	s_add_u32 s2, s2, s8
	v_or_b32_e32 v1, s6, v0
	s_addc_u32 s3, s3, s9
	v_cmp_eq_u32_e32 vcc, 0, v1
	s_and_saveexec_b64 s[8:9], vcc
	s_cbranch_execz .LBB176_2
; %bb.1:
	v_mov_b32_e32 v2, s1
	v_mov_b32_e32 v3, 0
	global_store_dwordx2 v3, v[2:3], s[12:13]
.LBB176_2:
	s_or_b64 exec, exec, s[8:9]
	v_and_b32_e32 v3, 7, v0
	v_bfe_u32 v8, v0, 3, 3
	v_max_i32_e32 v1, v8, v3
	v_cmp_gt_i32_e32 vcc, s0, v1
	s_and_saveexec_b64 s[8:9], vcc
	s_cbranch_execz .LBB176_6
; %bb.3:
	s_load_dwordx4 s[16:19], s[2:3], 0x0
	s_load_dword s14, s[4:5], 0xc
	s_mul_i32 s8, s0, s0
	v_lshrrev_b32_e32 v4, 6, v0
	s_mul_i32 s6, s6, s0
	s_mov_b32 s9, 0
	s_waitcnt lgkmcnt(0)
	s_sub_u32 s20, s16, s14
	s_subb_u32 s21, s17, 0
	s_sub_u32 s2, s18, s14
	s_mul_i32 s7, s21, s8
	s_mul_hi_u32 s10, s20, s8
	s_subb_u32 s3, s19, 0
	s_add_i32 s11, s10, s7
	s_sub_u32 s15, s2, s20
	s_subb_u32 s7, s3, s21
	s_mul_i32 s16, s7, s0
	s_mul_hi_u32 s17, s15, s0
	s_add_i32 s18, s17, s16
	s_mul_i32 s19, s15, s0
	s_add_u32 s16, s19, s1
	s_mul_i32 s10, s20, s8
	s_addc_u32 s17, s18, 0
	s_add_u32 s16, s16, s10
	s_addc_u32 s17, s17, s11
	v_pk_mov_b32 v[0:1], s[16:17], s[16:17] op_sel:[0,1]
	v_mad_u64_u32 v[0:1], s[16:17], s19, v8, v[0:1]
	v_mov_b32_e32 v2, v1
	v_mad_u64_u32 v[6:7], s[16:17], s18, v8, v[2:3]
	v_mov_b32_e32 v1, v6
	v_add_u32_e32 v6, s6, v8
	v_ashrrev_i32_e32 v7, 31, v6
	v_lshlrev_b64 v[6:7], 3, v[6:7]
	v_mov_b32_e32 v2, s13
	v_add_co_u32_e32 v6, vcc, s12, v6
	v_addc_co_u32_e32 v7, vcc, v2, v7, vcc
	global_store_dwordx2 v[6:7], v[0:1], off offset:8
	v_mov_b32_e32 v1, s21
	v_add_co_u32_e32 v0, vcc, s20, v4
	v_addc_co_u32_e32 v1, vcc, 0, v1, vcc
	v_mov_b32_e32 v5, 0
	v_cmp_gt_i64_e32 vcc, s[2:3], v[0:1]
	s_and_b64 exec, exec, vcc
	s_cbranch_execz .LBB176_6
; %bb.4:
	s_load_dwordx2 s[12:13], s[4:5], 0x20
	s_load_dwordx2 s[16:17], s[4:5], 0x30
	;; [unrolled: 1-line block ×3, first 2 shown]
	s_load_dword s6, s[4:5], 0x0
	s_load_dwordx2 s[20:21], s[4:5], 0x40
	v_mul_lo_u32 v6, v3, s0
	v_mov_b32_e32 v7, v5
	v_lshlrev_b64 v[6:7], 3, v[6:7]
	s_waitcnt lgkmcnt(0)
	v_mov_b32_e32 v9, s19
	v_add_co_u32_e32 v6, vcc, s18, v6
	v_addc_co_u32_e32 v7, vcc, v9, v7, vcc
	v_lshlrev_b32_e32 v10, 3, v8
	v_add_co_u32_e32 v10, vcc, v6, v10
	v_addc_co_u32_e32 v11, vcc, 0, v7, vcc
	v_mul_lo_u32 v6, v8, s0
	v_mov_b32_e32 v7, v5
	v_lshlrev_b64 v[6:7], 3, v[6:7]
	v_add_co_u32_e32 v6, vcc, s18, v6
	v_addc_co_u32_e32 v7, vcc, v9, v7, vcc
	v_lshlrev_b32_e32 v9, 3, v3
	v_add_co_u32_e32 v6, vcc, v6, v9
	s_cmp_eq_u32 s6, 0
	v_addc_co_u32_e32 v7, vcc, 0, v7, vcc
	s_cselect_b64 vcc, -1, 0
	v_cndmask_b32_e32 v9, v11, v7, vcc
	v_cndmask_b32_e32 v12, v10, v6, vcc
	v_mad_u64_u32 v[6:7], s[4:5], v0, s8, 0
	v_mov_b32_e32 v10, v7
	v_mad_u64_u32 v[10:11], s[4:5], v1, s8, v[10:11]
	v_mov_b32_e32 v7, v10
	s_mov_b32 s23, s9
	v_lshlrev_b64 v[6:7], 3, v[6:7]
	s_lshl_b64 s[4:5], s[8:9], 7
	v_mad_u64_u32 v[4:5], s[8:9], s15, v8, v[4:5]
	v_add_co_u32_e32 v6, vcc, v12, v6
	v_mov_b32_e32 v10, v5
	s_mov_b32 s22, s0
	v_addc_co_u32_e32 v7, vcc, v9, v7, vcc
	v_mad_u64_u32 v[8:9], s[6:7], s7, v8, v[10:11]
	v_pk_mov_b32 v[10:11], s[10:11], s[10:11] op_sel:[0,1]
	v_mad_u64_u32 v[4:5], s[6:7], v4, s22, v[10:11]
	v_mov_b32_e32 v10, v5
	v_mad_u64_u32 v[8:9], s[6:7], v8, s22, v[10:11]
	v_mov_b32_e32 v5, v8
	v_add_co_u32_e32 v8, vcc, v4, v3
	v_addc_co_u32_e32 v9, vcc, 0, v5, vcc
	v_lshlrev_b64 v[4:5], 3, v[8:9]
	v_add_u32_e32 v2, s1, v3
	v_mov_b32_e32 v3, s17
	v_add_co_u32_e32 v4, vcc, s16, v4
	v_addc_co_u32_e32 v5, vcc, v3, v5, vcc
	v_lshlrev_b64 v[8:9], 2, v[8:9]
	v_mov_b32_e32 v3, s21
	v_add_co_u32_e32 v8, vcc, s20, v8
	v_addc_co_u32_e32 v9, vcc, v3, v9, vcc
	v_lshlrev_b64 v[10:11], 2, v[0:1]
	v_mov_b32_e32 v3, s13
	v_add_co_u32_e32 v10, vcc, s12, v10
	s_lshl_b64 s[6:7], s[22:23], 7
	s_lshl_b64 s[8:9], s[22:23], 6
	v_addc_co_u32_e32 v11, vcc, v3, v11, vcc
	s_mov_b64 s[10:11], 0
.LBB176_5:                              ; =>This Inner Loop Header: Depth=1
	global_load_dword v3, v[10:11], off
	global_load_dwordx2 v[12:13], v[6:7], off
	v_add_co_u32_e32 v0, vcc, 16, v0
	v_addc_co_u32_e32 v1, vcc, 0, v1, vcc
	v_add_co_u32_e32 v10, vcc, 64, v10
	v_addc_co_u32_e32 v11, vcc, 0, v11, vcc
	v_mov_b32_e32 v14, s5
	v_add_co_u32_e32 v6, vcc, s4, v6
	v_addc_co_u32_e32 v7, vcc, v7, v14, vcc
	v_cmp_le_i64_e32 vcc, s[2:3], v[0:1]
	v_mov_b32_e32 v15, s7
	s_or_b64 s[10:11], vcc, s[10:11]
	v_mov_b32_e32 v16, s9
	s_waitcnt vmcnt(1)
	v_subrev_u32_e32 v3, s14, v3
	s_waitcnt vmcnt(0)
	global_store_dwordx2 v[4:5], v[12:13], off
	v_add_co_u32_e32 v4, vcc, s6, v4
	v_addc_co_u32_e32 v5, vcc, v5, v15, vcc
	v_mad_u64_u32 v[12:13], s[12:13], v3, s0, v[2:3]
	global_store_dword v[8:9], v12, off
	v_add_co_u32_e32 v8, vcc, s8, v8
	v_addc_co_u32_e32 v9, vcc, v9, v16, vcc
	s_andn2_b64 exec, exec, s[10:11]
	s_cbranch_execnz .LBB176_5
.LBB176_6:
	s_endpgm
	.section	.rodata,"a",@progbits
	.p2align	6, 0x0
	.amdhsa_kernel _ZN9rocsparseL33bsr2csr_block_per_row_8_32_kernelILj1024ELj8E21rocsparse_complex_numIfEliEEv20rocsparse_direction_T3_S4_21rocsparse_index_base_PKT1_PKT2_PKS4_S4_S5_PS6_PS9_PS4_
		.amdhsa_group_segment_fixed_size 0
		.amdhsa_private_segment_fixed_size 0
		.amdhsa_kernarg_size 72
		.amdhsa_user_sgpr_count 6
		.amdhsa_user_sgpr_private_segment_buffer 1
		.amdhsa_user_sgpr_dispatch_ptr 0
		.amdhsa_user_sgpr_queue_ptr 0
		.amdhsa_user_sgpr_kernarg_segment_ptr 1
		.amdhsa_user_sgpr_dispatch_id 0
		.amdhsa_user_sgpr_flat_scratch_init 0
		.amdhsa_user_sgpr_kernarg_preload_length 0
		.amdhsa_user_sgpr_kernarg_preload_offset 0
		.amdhsa_user_sgpr_private_segment_size 0
		.amdhsa_uses_dynamic_stack 0
		.amdhsa_system_sgpr_private_segment_wavefront_offset 0
		.amdhsa_system_sgpr_workgroup_id_x 1
		.amdhsa_system_sgpr_workgroup_id_y 0
		.amdhsa_system_sgpr_workgroup_id_z 0
		.amdhsa_system_sgpr_workgroup_info 0
		.amdhsa_system_vgpr_workitem_id 0
		.amdhsa_next_free_vgpr 17
		.amdhsa_next_free_sgpr 24
		.amdhsa_accum_offset 20
		.amdhsa_reserve_vcc 1
		.amdhsa_reserve_flat_scratch 0
		.amdhsa_float_round_mode_32 0
		.amdhsa_float_round_mode_16_64 0
		.amdhsa_float_denorm_mode_32 3
		.amdhsa_float_denorm_mode_16_64 3
		.amdhsa_dx10_clamp 1
		.amdhsa_ieee_mode 1
		.amdhsa_fp16_overflow 0
		.amdhsa_tg_split 0
		.amdhsa_exception_fp_ieee_invalid_op 0
		.amdhsa_exception_fp_denorm_src 0
		.amdhsa_exception_fp_ieee_div_zero 0
		.amdhsa_exception_fp_ieee_overflow 0
		.amdhsa_exception_fp_ieee_underflow 0
		.amdhsa_exception_fp_ieee_inexact 0
		.amdhsa_exception_int_div_zero 0
	.end_amdhsa_kernel
	.section	.text._ZN9rocsparseL33bsr2csr_block_per_row_8_32_kernelILj1024ELj8E21rocsparse_complex_numIfEliEEv20rocsparse_direction_T3_S4_21rocsparse_index_base_PKT1_PKT2_PKS4_S4_S5_PS6_PS9_PS4_,"axG",@progbits,_ZN9rocsparseL33bsr2csr_block_per_row_8_32_kernelILj1024ELj8E21rocsparse_complex_numIfEliEEv20rocsparse_direction_T3_S4_21rocsparse_index_base_PKT1_PKT2_PKS4_S4_S5_PS6_PS9_PS4_,comdat
.Lfunc_end176:
	.size	_ZN9rocsparseL33bsr2csr_block_per_row_8_32_kernelILj1024ELj8E21rocsparse_complex_numIfEliEEv20rocsparse_direction_T3_S4_21rocsparse_index_base_PKT1_PKT2_PKS4_S4_S5_PS6_PS9_PS4_, .Lfunc_end176-_ZN9rocsparseL33bsr2csr_block_per_row_8_32_kernelILj1024ELj8E21rocsparse_complex_numIfEliEEv20rocsparse_direction_T3_S4_21rocsparse_index_base_PKT1_PKT2_PKS4_S4_S5_PS6_PS9_PS4_
                                        ; -- End function
	.section	.AMDGPU.csdata,"",@progbits
; Kernel info:
; codeLenInByte = 768
; NumSgprs: 28
; NumVgprs: 17
; NumAgprs: 0
; TotalNumVgprs: 17
; ScratchSize: 0
; MemoryBound: 0
; FloatMode: 240
; IeeeMode: 1
; LDSByteSize: 0 bytes/workgroup (compile time only)
; SGPRBlocks: 3
; VGPRBlocks: 2
; NumSGPRsForWavesPerEU: 28
; NumVGPRsForWavesPerEU: 17
; AccumOffset: 20
; Occupancy: 8
; WaveLimiterHint : 0
; COMPUTE_PGM_RSRC2:SCRATCH_EN: 0
; COMPUTE_PGM_RSRC2:USER_SGPR: 6
; COMPUTE_PGM_RSRC2:TRAP_HANDLER: 0
; COMPUTE_PGM_RSRC2:TGID_X_EN: 1
; COMPUTE_PGM_RSRC2:TGID_Y_EN: 0
; COMPUTE_PGM_RSRC2:TGID_Z_EN: 0
; COMPUTE_PGM_RSRC2:TIDIG_COMP_CNT: 0
; COMPUTE_PGM_RSRC3_GFX90A:ACCUM_OFFSET: 4
; COMPUTE_PGM_RSRC3_GFX90A:TG_SPLIT: 0
	.section	.text._ZN9rocsparseL33bsr2csr_block_per_row_8_32_kernelILj1024ELj16E21rocsparse_complex_numIfEliEEv20rocsparse_direction_T3_S4_21rocsparse_index_base_PKT1_PKT2_PKS4_S4_S5_PS6_PS9_PS4_,"axG",@progbits,_ZN9rocsparseL33bsr2csr_block_per_row_8_32_kernelILj1024ELj16E21rocsparse_complex_numIfEliEEv20rocsparse_direction_T3_S4_21rocsparse_index_base_PKT1_PKT2_PKS4_S4_S5_PS6_PS9_PS4_,comdat
	.globl	_ZN9rocsparseL33bsr2csr_block_per_row_8_32_kernelILj1024ELj16E21rocsparse_complex_numIfEliEEv20rocsparse_direction_T3_S4_21rocsparse_index_base_PKT1_PKT2_PKS4_S4_S5_PS6_PS9_PS4_ ; -- Begin function _ZN9rocsparseL33bsr2csr_block_per_row_8_32_kernelILj1024ELj16E21rocsparse_complex_numIfEliEEv20rocsparse_direction_T3_S4_21rocsparse_index_base_PKT1_PKT2_PKS4_S4_S5_PS6_PS9_PS4_
	.p2align	8
	.type	_ZN9rocsparseL33bsr2csr_block_per_row_8_32_kernelILj1024ELj16E21rocsparse_complex_numIfEliEEv20rocsparse_direction_T3_S4_21rocsparse_index_base_PKT1_PKT2_PKS4_S4_S5_PS6_PS9_PS4_,@function
_ZN9rocsparseL33bsr2csr_block_per_row_8_32_kernelILj1024ELj16E21rocsparse_complex_numIfEliEEv20rocsparse_direction_T3_S4_21rocsparse_index_base_PKT1_PKT2_PKS4_S4_S5_PS6_PS9_PS4_: ; @_ZN9rocsparseL33bsr2csr_block_per_row_8_32_kernelILj1024ELj16E21rocsparse_complex_numIfEliEEv20rocsparse_direction_T3_S4_21rocsparse_index_base_PKT1_PKT2_PKS4_S4_S5_PS6_PS9_PS4_
; %bb.0:
	s_load_dwordx2 s[2:3], s[4:5], 0x18
	s_load_dwordx2 s[0:1], s[4:5], 0x28
	;; [unrolled: 1-line block ×3, first 2 shown]
	s_ashr_i32 s7, s6, 31
	s_lshl_b64 s[8:9], s[6:7], 3
	s_waitcnt lgkmcnt(0)
	s_add_u32 s2, s2, s8
	v_or_b32_e32 v1, s6, v0
	s_addc_u32 s3, s3, s9
	v_cmp_eq_u32_e32 vcc, 0, v1
	s_and_saveexec_b64 s[8:9], vcc
	s_cbranch_execz .LBB177_2
; %bb.1:
	v_mov_b32_e32 v2, s1
	v_mov_b32_e32 v3, 0
	global_store_dwordx2 v3, v[2:3], s[12:13]
.LBB177_2:
	s_or_b64 exec, exec, s[8:9]
	v_and_b32_e32 v3, 15, v0
	v_bfe_u32 v8, v0, 4, 4
	v_max_i32_e32 v1, v8, v3
	v_cmp_gt_i32_e32 vcc, s0, v1
	s_and_saveexec_b64 s[8:9], vcc
	s_cbranch_execz .LBB177_6
; %bb.3:
	s_load_dwordx4 s[16:19], s[2:3], 0x0
	s_load_dword s14, s[4:5], 0xc
	s_mul_i32 s8, s0, s0
	v_lshrrev_b32_e32 v4, 8, v0
	s_mul_i32 s6, s6, s0
	s_mov_b32 s9, 0
	s_waitcnt lgkmcnt(0)
	s_sub_u32 s20, s16, s14
	s_subb_u32 s21, s17, 0
	s_sub_u32 s2, s18, s14
	s_mul_i32 s7, s21, s8
	s_mul_hi_u32 s10, s20, s8
	s_subb_u32 s3, s19, 0
	s_add_i32 s11, s10, s7
	s_sub_u32 s15, s2, s20
	s_subb_u32 s7, s3, s21
	s_mul_i32 s16, s7, s0
	s_mul_hi_u32 s17, s15, s0
	s_add_i32 s18, s17, s16
	s_mul_i32 s19, s15, s0
	s_add_u32 s16, s19, s1
	s_mul_i32 s10, s20, s8
	s_addc_u32 s17, s18, 0
	s_add_u32 s16, s16, s10
	s_addc_u32 s17, s17, s11
	v_pk_mov_b32 v[0:1], s[16:17], s[16:17] op_sel:[0,1]
	v_mad_u64_u32 v[0:1], s[16:17], s19, v8, v[0:1]
	v_mov_b32_e32 v2, v1
	v_mad_u64_u32 v[6:7], s[16:17], s18, v8, v[2:3]
	v_mov_b32_e32 v1, v6
	v_add_u32_e32 v6, s6, v8
	v_ashrrev_i32_e32 v7, 31, v6
	v_lshlrev_b64 v[6:7], 3, v[6:7]
	v_mov_b32_e32 v2, s13
	v_add_co_u32_e32 v6, vcc, s12, v6
	v_addc_co_u32_e32 v7, vcc, v2, v7, vcc
	global_store_dwordx2 v[6:7], v[0:1], off offset:8
	v_mov_b32_e32 v1, s21
	v_add_co_u32_e32 v0, vcc, s20, v4
	v_addc_co_u32_e32 v1, vcc, 0, v1, vcc
	v_mov_b32_e32 v5, 0
	v_cmp_gt_i64_e32 vcc, s[2:3], v[0:1]
	s_and_b64 exec, exec, vcc
	s_cbranch_execz .LBB177_6
; %bb.4:
	s_load_dwordx2 s[12:13], s[4:5], 0x20
	s_load_dwordx2 s[16:17], s[4:5], 0x30
	;; [unrolled: 1-line block ×3, first 2 shown]
	s_load_dword s6, s[4:5], 0x0
	s_load_dwordx2 s[20:21], s[4:5], 0x40
	v_mul_lo_u32 v6, v3, s0
	v_mov_b32_e32 v7, v5
	v_lshlrev_b64 v[6:7], 3, v[6:7]
	s_waitcnt lgkmcnt(0)
	v_mov_b32_e32 v9, s19
	v_add_co_u32_e32 v6, vcc, s18, v6
	v_addc_co_u32_e32 v7, vcc, v9, v7, vcc
	v_lshlrev_b32_e32 v10, 3, v8
	v_add_co_u32_e32 v10, vcc, v6, v10
	v_addc_co_u32_e32 v11, vcc, 0, v7, vcc
	v_mul_lo_u32 v6, v8, s0
	v_mov_b32_e32 v7, v5
	v_lshlrev_b64 v[6:7], 3, v[6:7]
	v_add_co_u32_e32 v6, vcc, s18, v6
	v_addc_co_u32_e32 v7, vcc, v9, v7, vcc
	v_lshlrev_b32_e32 v9, 3, v3
	v_add_co_u32_e32 v6, vcc, v6, v9
	s_cmp_eq_u32 s6, 0
	v_addc_co_u32_e32 v7, vcc, 0, v7, vcc
	s_cselect_b64 vcc, -1, 0
	v_cndmask_b32_e32 v9, v11, v7, vcc
	v_cndmask_b32_e32 v12, v10, v6, vcc
	v_mad_u64_u32 v[6:7], s[4:5], v0, s8, 0
	v_mov_b32_e32 v10, v7
	v_mad_u64_u32 v[10:11], s[4:5], v1, s8, v[10:11]
	v_mov_b32_e32 v7, v10
	s_mov_b32 s23, s9
	v_lshlrev_b64 v[6:7], 3, v[6:7]
	s_lshl_b64 s[4:5], s[8:9], 5
	v_mad_u64_u32 v[4:5], s[8:9], s15, v8, v[4:5]
	v_add_co_u32_e32 v6, vcc, v12, v6
	v_mov_b32_e32 v10, v5
	s_mov_b32 s22, s0
	v_addc_co_u32_e32 v7, vcc, v9, v7, vcc
	v_mad_u64_u32 v[8:9], s[6:7], s7, v8, v[10:11]
	v_pk_mov_b32 v[10:11], s[10:11], s[10:11] op_sel:[0,1]
	v_mad_u64_u32 v[4:5], s[6:7], v4, s22, v[10:11]
	v_mov_b32_e32 v10, v5
	v_mad_u64_u32 v[8:9], s[6:7], v8, s22, v[10:11]
	v_mov_b32_e32 v5, v8
	v_add_co_u32_e32 v8, vcc, v4, v3
	v_addc_co_u32_e32 v9, vcc, 0, v5, vcc
	v_lshlrev_b64 v[4:5], 3, v[8:9]
	v_add_u32_e32 v2, s1, v3
	v_mov_b32_e32 v3, s17
	v_add_co_u32_e32 v4, vcc, s16, v4
	v_addc_co_u32_e32 v5, vcc, v3, v5, vcc
	v_lshlrev_b64 v[8:9], 2, v[8:9]
	v_mov_b32_e32 v3, s21
	v_add_co_u32_e32 v8, vcc, s20, v8
	v_addc_co_u32_e32 v9, vcc, v3, v9, vcc
	v_lshlrev_b64 v[10:11], 2, v[0:1]
	v_mov_b32_e32 v3, s13
	v_add_co_u32_e32 v10, vcc, s12, v10
	s_lshl_b64 s[6:7], s[22:23], 5
	s_lshl_b64 s[8:9], s[22:23], 4
	v_addc_co_u32_e32 v11, vcc, v3, v11, vcc
	s_mov_b64 s[10:11], 0
.LBB177_5:                              ; =>This Inner Loop Header: Depth=1
	global_load_dword v3, v[10:11], off
	global_load_dwordx2 v[12:13], v[6:7], off
	v_add_co_u32_e32 v0, vcc, 4, v0
	v_addc_co_u32_e32 v1, vcc, 0, v1, vcc
	v_add_co_u32_e32 v10, vcc, 16, v10
	v_addc_co_u32_e32 v11, vcc, 0, v11, vcc
	v_mov_b32_e32 v14, s5
	v_add_co_u32_e32 v6, vcc, s4, v6
	v_addc_co_u32_e32 v7, vcc, v7, v14, vcc
	v_cmp_le_i64_e32 vcc, s[2:3], v[0:1]
	v_mov_b32_e32 v15, s7
	s_or_b64 s[10:11], vcc, s[10:11]
	v_mov_b32_e32 v16, s9
	s_waitcnt vmcnt(1)
	v_subrev_u32_e32 v3, s14, v3
	s_waitcnt vmcnt(0)
	global_store_dwordx2 v[4:5], v[12:13], off
	v_add_co_u32_e32 v4, vcc, s6, v4
	v_addc_co_u32_e32 v5, vcc, v5, v15, vcc
	v_mad_u64_u32 v[12:13], s[12:13], v3, s0, v[2:3]
	global_store_dword v[8:9], v12, off
	v_add_co_u32_e32 v8, vcc, s8, v8
	v_addc_co_u32_e32 v9, vcc, v9, v16, vcc
	s_andn2_b64 exec, exec, s[10:11]
	s_cbranch_execnz .LBB177_5
.LBB177_6:
	s_endpgm
	.section	.rodata,"a",@progbits
	.p2align	6, 0x0
	.amdhsa_kernel _ZN9rocsparseL33bsr2csr_block_per_row_8_32_kernelILj1024ELj16E21rocsparse_complex_numIfEliEEv20rocsparse_direction_T3_S4_21rocsparse_index_base_PKT1_PKT2_PKS4_S4_S5_PS6_PS9_PS4_
		.amdhsa_group_segment_fixed_size 0
		.amdhsa_private_segment_fixed_size 0
		.amdhsa_kernarg_size 72
		.amdhsa_user_sgpr_count 6
		.amdhsa_user_sgpr_private_segment_buffer 1
		.amdhsa_user_sgpr_dispatch_ptr 0
		.amdhsa_user_sgpr_queue_ptr 0
		.amdhsa_user_sgpr_kernarg_segment_ptr 1
		.amdhsa_user_sgpr_dispatch_id 0
		.amdhsa_user_sgpr_flat_scratch_init 0
		.amdhsa_user_sgpr_kernarg_preload_length 0
		.amdhsa_user_sgpr_kernarg_preload_offset 0
		.amdhsa_user_sgpr_private_segment_size 0
		.amdhsa_uses_dynamic_stack 0
		.amdhsa_system_sgpr_private_segment_wavefront_offset 0
		.amdhsa_system_sgpr_workgroup_id_x 1
		.amdhsa_system_sgpr_workgroup_id_y 0
		.amdhsa_system_sgpr_workgroup_id_z 0
		.amdhsa_system_sgpr_workgroup_info 0
		.amdhsa_system_vgpr_workitem_id 0
		.amdhsa_next_free_vgpr 17
		.amdhsa_next_free_sgpr 24
		.amdhsa_accum_offset 20
		.amdhsa_reserve_vcc 1
		.amdhsa_reserve_flat_scratch 0
		.amdhsa_float_round_mode_32 0
		.amdhsa_float_round_mode_16_64 0
		.amdhsa_float_denorm_mode_32 3
		.amdhsa_float_denorm_mode_16_64 3
		.amdhsa_dx10_clamp 1
		.amdhsa_ieee_mode 1
		.amdhsa_fp16_overflow 0
		.amdhsa_tg_split 0
		.amdhsa_exception_fp_ieee_invalid_op 0
		.amdhsa_exception_fp_denorm_src 0
		.amdhsa_exception_fp_ieee_div_zero 0
		.amdhsa_exception_fp_ieee_overflow 0
		.amdhsa_exception_fp_ieee_underflow 0
		.amdhsa_exception_fp_ieee_inexact 0
		.amdhsa_exception_int_div_zero 0
	.end_amdhsa_kernel
	.section	.text._ZN9rocsparseL33bsr2csr_block_per_row_8_32_kernelILj1024ELj16E21rocsparse_complex_numIfEliEEv20rocsparse_direction_T3_S4_21rocsparse_index_base_PKT1_PKT2_PKS4_S4_S5_PS6_PS9_PS4_,"axG",@progbits,_ZN9rocsparseL33bsr2csr_block_per_row_8_32_kernelILj1024ELj16E21rocsparse_complex_numIfEliEEv20rocsparse_direction_T3_S4_21rocsparse_index_base_PKT1_PKT2_PKS4_S4_S5_PS6_PS9_PS4_,comdat
.Lfunc_end177:
	.size	_ZN9rocsparseL33bsr2csr_block_per_row_8_32_kernelILj1024ELj16E21rocsparse_complex_numIfEliEEv20rocsparse_direction_T3_S4_21rocsparse_index_base_PKT1_PKT2_PKS4_S4_S5_PS6_PS9_PS4_, .Lfunc_end177-_ZN9rocsparseL33bsr2csr_block_per_row_8_32_kernelILj1024ELj16E21rocsparse_complex_numIfEliEEv20rocsparse_direction_T3_S4_21rocsparse_index_base_PKT1_PKT2_PKS4_S4_S5_PS6_PS9_PS4_
                                        ; -- End function
	.section	.AMDGPU.csdata,"",@progbits
; Kernel info:
; codeLenInByte = 768
; NumSgprs: 28
; NumVgprs: 17
; NumAgprs: 0
; TotalNumVgprs: 17
; ScratchSize: 0
; MemoryBound: 0
; FloatMode: 240
; IeeeMode: 1
; LDSByteSize: 0 bytes/workgroup (compile time only)
; SGPRBlocks: 3
; VGPRBlocks: 2
; NumSGPRsForWavesPerEU: 28
; NumVGPRsForWavesPerEU: 17
; AccumOffset: 20
; Occupancy: 8
; WaveLimiterHint : 0
; COMPUTE_PGM_RSRC2:SCRATCH_EN: 0
; COMPUTE_PGM_RSRC2:USER_SGPR: 6
; COMPUTE_PGM_RSRC2:TRAP_HANDLER: 0
; COMPUTE_PGM_RSRC2:TGID_X_EN: 1
; COMPUTE_PGM_RSRC2:TGID_Y_EN: 0
; COMPUTE_PGM_RSRC2:TGID_Z_EN: 0
; COMPUTE_PGM_RSRC2:TIDIG_COMP_CNT: 0
; COMPUTE_PGM_RSRC3_GFX90A:ACCUM_OFFSET: 4
; COMPUTE_PGM_RSRC3_GFX90A:TG_SPLIT: 0
	.section	.text._ZN9rocsparseL33bsr2csr_block_per_row_8_32_kernelILj1024ELj32E21rocsparse_complex_numIfEliEEv20rocsparse_direction_T3_S4_21rocsparse_index_base_PKT1_PKT2_PKS4_S4_S5_PS6_PS9_PS4_,"axG",@progbits,_ZN9rocsparseL33bsr2csr_block_per_row_8_32_kernelILj1024ELj32E21rocsparse_complex_numIfEliEEv20rocsparse_direction_T3_S4_21rocsparse_index_base_PKT1_PKT2_PKS4_S4_S5_PS6_PS9_PS4_,comdat
	.globl	_ZN9rocsparseL33bsr2csr_block_per_row_8_32_kernelILj1024ELj32E21rocsparse_complex_numIfEliEEv20rocsparse_direction_T3_S4_21rocsparse_index_base_PKT1_PKT2_PKS4_S4_S5_PS6_PS9_PS4_ ; -- Begin function _ZN9rocsparseL33bsr2csr_block_per_row_8_32_kernelILj1024ELj32E21rocsparse_complex_numIfEliEEv20rocsparse_direction_T3_S4_21rocsparse_index_base_PKT1_PKT2_PKS4_S4_S5_PS6_PS9_PS4_
	.p2align	8
	.type	_ZN9rocsparseL33bsr2csr_block_per_row_8_32_kernelILj1024ELj32E21rocsparse_complex_numIfEliEEv20rocsparse_direction_T3_S4_21rocsparse_index_base_PKT1_PKT2_PKS4_S4_S5_PS6_PS9_PS4_,@function
_ZN9rocsparseL33bsr2csr_block_per_row_8_32_kernelILj1024ELj32E21rocsparse_complex_numIfEliEEv20rocsparse_direction_T3_S4_21rocsparse_index_base_PKT1_PKT2_PKS4_S4_S5_PS6_PS9_PS4_: ; @_ZN9rocsparseL33bsr2csr_block_per_row_8_32_kernelILj1024ELj32E21rocsparse_complex_numIfEliEEv20rocsparse_direction_T3_S4_21rocsparse_index_base_PKT1_PKT2_PKS4_S4_S5_PS6_PS9_PS4_
; %bb.0:
	s_load_dwordx2 s[0:1], s[4:5], 0x18
	s_load_dwordx2 s[8:9], s[4:5], 0x28
	;; [unrolled: 1-line block ×3, first 2 shown]
	s_ashr_i32 s7, s6, 31
	s_lshl_b64 s[2:3], s[6:7], 3
	s_waitcnt lgkmcnt(0)
	s_add_u32 s12, s0, s2
	v_or_b32_e32 v1, s6, v0
	s_addc_u32 s13, s1, s3
	v_cmp_eq_u32_e32 vcc, 0, v1
	s_and_saveexec_b64 s[0:1], vcc
	s_cbranch_execz .LBB178_2
; %bb.1:
	v_mov_b32_e32 v2, s9
	v_mov_b32_e32 v3, 0
	global_store_dwordx2 v3, v[2:3], s[18:19]
.LBB178_2:
	s_or_b64 exec, exec, s[0:1]
	v_and_b32_e32 v4, 31, v0
	v_lshrrev_b32_e32 v0, 5, v0
	v_max_i32_e32 v1, v0, v4
	v_cmp_gt_i32_e32 vcc, s8, v1
	s_and_saveexec_b64 s[0:1], vcc
	s_cbranch_execz .LBB178_6
; %bb.3:
	s_load_dwordx4 s[0:3], s[12:13], 0x0
	s_load_dword s10, s[4:5], 0xc
	s_mul_i32 s16, s8, s8
	s_mul_i32 s6, s6, s8
	v_add_u32_e32 v8, s6, v0
	v_ashrrev_i32_e32 v9, 31, v8
	s_waitcnt lgkmcnt(0)
	s_sub_u32 s12, s0, s10
	s_subb_u32 s13, s1, 0
	s_sub_u32 s14, s2, s10
	s_mul_i32 s7, s13, s16
	s_mul_hi_u32 s17, s12, s16
	s_subb_u32 s15, s3, 0
	s_add_i32 s21, s17, s7
	s_sub_u32 s7, s14, s12
	s_mul_i32 s20, s12, s16
	s_subb_u32 s17, s15, s13
	s_mul_i32 s17, s17, s8
	s_mul_hi_u32 s22, s7, s8
	s_mul_i32 s7, s7, s8
	v_pk_mov_b32 v[2:3], s[20:21], s[20:21] op_sel:[0,1]
	s_add_i32 s17, s22, s17
	v_mad_u64_u32 v[2:3], s[22:23], s7, v0, v[2:3]
	v_mov_b32_e32 v6, v3
	s_add_u32 s7, s7, s9
	v_mad_u64_u32 v[6:7], s[22:23], s17, v0, v[6:7]
	s_addc_u32 s17, s17, 0
	v_mov_b32_e32 v3, v6
	v_mov_b32_e32 v1, s17
	v_add_co_u32_e32 v6, vcc, s7, v2
	v_addc_co_u32_e32 v7, vcc, v1, v3, vcc
	v_lshlrev_b64 v[8:9], 3, v[8:9]
	v_mov_b32_e32 v1, s19
	v_add_co_u32_e32 v8, vcc, s18, v8
	v_addc_co_u32_e32 v9, vcc, v1, v9, vcc
	global_store_dwordx2 v[8:9], v[6:7], off offset:8
	v_pk_mov_b32 v[6:7], s[2:3], s[2:3] op_sel:[0,1]
	v_cmp_ge_i64_e32 vcc, s[0:1], v[6:7]
	s_mov_b32 s11, 0
	s_cbranch_vccnz .LBB178_6
; %bb.4:
	s_load_dwordx2 s[18:19], s[4:5], 0x20
	s_load_dwordx2 s[6:7], s[4:5], 0x30
	;; [unrolled: 1-line block ×4, first 2 shown]
	s_load_dword s26, s[4:5], 0x0
	v_mov_b32_e32 v7, 0
	v_mul_lo_u32 v6, v4, s8
	v_lshlrev_b64 v[10:11], 3, v[6:7]
	s_waitcnt lgkmcnt(0)
	v_mov_b32_e32 v5, s3
	v_add_co_u32_e32 v1, vcc, s2, v10
	v_addc_co_u32_e32 v6, vcc, v5, v11, vcc
	v_lshlrev_b32_e32 v9, 3, v0
	v_add_co_u32_e32 v9, vcc, v1, v9
	v_addc_co_u32_e32 v10, vcc, 0, v6, vcc
	v_mul_lo_u32 v6, v0, s8
	v_lshlrev_b64 v[0:1], 3, v[6:7]
	v_add_co_u32_e32 v0, vcc, s2, v0
	v_addc_co_u32_e32 v1, vcc, v5, v1, vcc
	v_lshlrev_b32_e32 v5, 3, v4
	v_add_co_u32_e32 v0, vcc, v0, v5
	s_cmp_eq_u32 s26, 0
	v_addc_co_u32_e32 v1, vcc, 0, v1, vcc
	s_cselect_b64 vcc, -1, 0
	v_cndmask_b32_e32 v0, v9, v0, vcc
	s_lshl_b64 s[2:3], s[20:21], 3
	v_cndmask_b32_e32 v1, v10, v1, vcc
	v_mov_b32_e32 v5, s3
	v_add_co_u32_e32 v0, vcc, s2, v0
	v_addc_co_u32_e32 v1, vcc, v1, v5, vcc
	v_add_u32_e32 v8, s9, v4
	v_add_co_u32_e32 v4, vcc, v2, v4
	v_addc_co_u32_e32 v5, vcc, 0, v3, vcc
	s_mov_b32 s17, s11
	s_mov_b32 s24, s8
	;; [unrolled: 1-line block ×3, first 2 shown]
	v_lshlrev_b64 v[2:3], 3, v[4:5]
	s_lshl_b64 s[2:3], s[16:17], 3
	v_mov_b32_e32 v6, s7
	v_add_co_u32_e32 v2, vcc, s6, v2
	s_lshl_b64 s[4:5], s[24:25], 3
	s_lshl_b64 s[6:7], s[24:25], 2
	;; [unrolled: 1-line block ×4, first 2 shown]
	s_sub_u32 s0, s0, s16
	v_addc_co_u32_e32 v3, vcc, v6, v3, vcc
	v_lshlrev_b64 v[4:5], 2, v[4:5]
	s_subb_u32 s1, s1, s17
	v_mov_b32_e32 v6, s23
	v_add_co_u32_e32 v4, vcc, s22, v4
	s_add_u32 s16, s18, s0
	v_addc_co_u32_e32 v5, vcc, v6, v5, vcc
	s_addc_u32 s17, s19, s1
	v_mov_b32_e32 v9, s3
	v_mov_b32_e32 v10, s5
	;; [unrolled: 1-line block ×3, first 2 shown]
	v_pk_mov_b32 v[6:7], s[14:15], s[14:15] op_sel:[0,1]
.LBB178_5:                              ; =>This Inner Loop Header: Depth=1
	global_load_dwordx2 v[12:13], v[0:1], off
	s_load_dword s0, s[16:17], 0x0
	v_add_co_u32_e32 v0, vcc, s2, v0
	v_addc_co_u32_e32 v1, vcc, v1, v9, vcc
	s_waitcnt lgkmcnt(0)
	s_sub_i32 s0, s0, s10
	s_mul_i32 s0, s0, s8
	v_add_u32_e32 v14, s0, v8
	s_add_u32 s12, s12, 1
	global_store_dword v[4:5], v14, off
	v_add_co_u32_e32 v4, vcc, s6, v4
	s_addc_u32 s13, s13, 0
	v_addc_co_u32_e32 v5, vcc, v5, v11, vcc
	s_add_u32 s16, s16, 4
	v_cmp_lt_i64_e32 vcc, s[12:13], v[6:7]
	s_addc_u32 s17, s17, 0
	s_and_b64 vcc, exec, vcc
	s_waitcnt vmcnt(1)
	global_store_dwordx2 v[2:3], v[12:13], off
	v_add_co_u32_e64 v2, s[0:1], s4, v2
	v_addc_co_u32_e64 v3, s[0:1], v3, v10, s[0:1]
	s_cbranch_vccnz .LBB178_5
.LBB178_6:
	s_endpgm
	.section	.rodata,"a",@progbits
	.p2align	6, 0x0
	.amdhsa_kernel _ZN9rocsparseL33bsr2csr_block_per_row_8_32_kernelILj1024ELj32E21rocsparse_complex_numIfEliEEv20rocsparse_direction_T3_S4_21rocsparse_index_base_PKT1_PKT2_PKS4_S4_S5_PS6_PS9_PS4_
		.amdhsa_group_segment_fixed_size 0
		.amdhsa_private_segment_fixed_size 0
		.amdhsa_kernarg_size 72
		.amdhsa_user_sgpr_count 6
		.amdhsa_user_sgpr_private_segment_buffer 1
		.amdhsa_user_sgpr_dispatch_ptr 0
		.amdhsa_user_sgpr_queue_ptr 0
		.amdhsa_user_sgpr_kernarg_segment_ptr 1
		.amdhsa_user_sgpr_dispatch_id 0
		.amdhsa_user_sgpr_flat_scratch_init 0
		.amdhsa_user_sgpr_kernarg_preload_length 0
		.amdhsa_user_sgpr_kernarg_preload_offset 0
		.amdhsa_user_sgpr_private_segment_size 0
		.amdhsa_uses_dynamic_stack 0
		.amdhsa_system_sgpr_private_segment_wavefront_offset 0
		.amdhsa_system_sgpr_workgroup_id_x 1
		.amdhsa_system_sgpr_workgroup_id_y 0
		.amdhsa_system_sgpr_workgroup_id_z 0
		.amdhsa_system_sgpr_workgroup_info 0
		.amdhsa_system_vgpr_workitem_id 0
		.amdhsa_next_free_vgpr 15
		.amdhsa_next_free_sgpr 27
		.amdhsa_accum_offset 16
		.amdhsa_reserve_vcc 1
		.amdhsa_reserve_flat_scratch 0
		.amdhsa_float_round_mode_32 0
		.amdhsa_float_round_mode_16_64 0
		.amdhsa_float_denorm_mode_32 3
		.amdhsa_float_denorm_mode_16_64 3
		.amdhsa_dx10_clamp 1
		.amdhsa_ieee_mode 1
		.amdhsa_fp16_overflow 0
		.amdhsa_tg_split 0
		.amdhsa_exception_fp_ieee_invalid_op 0
		.amdhsa_exception_fp_denorm_src 0
		.amdhsa_exception_fp_ieee_div_zero 0
		.amdhsa_exception_fp_ieee_overflow 0
		.amdhsa_exception_fp_ieee_underflow 0
		.amdhsa_exception_fp_ieee_inexact 0
		.amdhsa_exception_int_div_zero 0
	.end_amdhsa_kernel
	.section	.text._ZN9rocsparseL33bsr2csr_block_per_row_8_32_kernelILj1024ELj32E21rocsparse_complex_numIfEliEEv20rocsparse_direction_T3_S4_21rocsparse_index_base_PKT1_PKT2_PKS4_S4_S5_PS6_PS9_PS4_,"axG",@progbits,_ZN9rocsparseL33bsr2csr_block_per_row_8_32_kernelILj1024ELj32E21rocsparse_complex_numIfEliEEv20rocsparse_direction_T3_S4_21rocsparse_index_base_PKT1_PKT2_PKS4_S4_S5_PS6_PS9_PS4_,comdat
.Lfunc_end178:
	.size	_ZN9rocsparseL33bsr2csr_block_per_row_8_32_kernelILj1024ELj32E21rocsparse_complex_numIfEliEEv20rocsparse_direction_T3_S4_21rocsparse_index_base_PKT1_PKT2_PKS4_S4_S5_PS6_PS9_PS4_, .Lfunc_end178-_ZN9rocsparseL33bsr2csr_block_per_row_8_32_kernelILj1024ELj32E21rocsparse_complex_numIfEliEEv20rocsparse_direction_T3_S4_21rocsparse_index_base_PKT1_PKT2_PKS4_S4_S5_PS6_PS9_PS4_
                                        ; -- End function
	.section	.AMDGPU.csdata,"",@progbits
; Kernel info:
; codeLenInByte = 688
; NumSgprs: 31
; NumVgprs: 15
; NumAgprs: 0
; TotalNumVgprs: 15
; ScratchSize: 0
; MemoryBound: 0
; FloatMode: 240
; IeeeMode: 1
; LDSByteSize: 0 bytes/workgroup (compile time only)
; SGPRBlocks: 3
; VGPRBlocks: 1
; NumSGPRsForWavesPerEU: 31
; NumVGPRsForWavesPerEU: 15
; AccumOffset: 16
; Occupancy: 8
; WaveLimiterHint : 0
; COMPUTE_PGM_RSRC2:SCRATCH_EN: 0
; COMPUTE_PGM_RSRC2:USER_SGPR: 6
; COMPUTE_PGM_RSRC2:TRAP_HANDLER: 0
; COMPUTE_PGM_RSRC2:TGID_X_EN: 1
; COMPUTE_PGM_RSRC2:TGID_Y_EN: 0
; COMPUTE_PGM_RSRC2:TGID_Z_EN: 0
; COMPUTE_PGM_RSRC2:TIDIG_COMP_CNT: 0
; COMPUTE_PGM_RSRC3_GFX90A:ACCUM_OFFSET: 3
; COMPUTE_PGM_RSRC3_GFX90A:TG_SPLIT: 0
	.section	.text._ZN9rocsparseL35bsr2csr_block_per_row_33_256_kernelILj1024ELj64ELj32E21rocsparse_complex_numIfEliEEv20rocsparse_direction_T4_S4_21rocsparse_index_base_PKT2_PKT3_PKS4_S4_S5_PS6_PS9_PS4_,"axG",@progbits,_ZN9rocsparseL35bsr2csr_block_per_row_33_256_kernelILj1024ELj64ELj32E21rocsparse_complex_numIfEliEEv20rocsparse_direction_T4_S4_21rocsparse_index_base_PKT2_PKT3_PKS4_S4_S5_PS6_PS9_PS4_,comdat
	.globl	_ZN9rocsparseL35bsr2csr_block_per_row_33_256_kernelILj1024ELj64ELj32E21rocsparse_complex_numIfEliEEv20rocsparse_direction_T4_S4_21rocsparse_index_base_PKT2_PKT3_PKS4_S4_S5_PS6_PS9_PS4_ ; -- Begin function _ZN9rocsparseL35bsr2csr_block_per_row_33_256_kernelILj1024ELj64ELj32E21rocsparse_complex_numIfEliEEv20rocsparse_direction_T4_S4_21rocsparse_index_base_PKT2_PKT3_PKS4_S4_S5_PS6_PS9_PS4_
	.p2align	8
	.type	_ZN9rocsparseL35bsr2csr_block_per_row_33_256_kernelILj1024ELj64ELj32E21rocsparse_complex_numIfEliEEv20rocsparse_direction_T4_S4_21rocsparse_index_base_PKT2_PKT3_PKS4_S4_S5_PS6_PS9_PS4_,@function
_ZN9rocsparseL35bsr2csr_block_per_row_33_256_kernelILj1024ELj64ELj32E21rocsparse_complex_numIfEliEEv20rocsparse_direction_T4_S4_21rocsparse_index_base_PKT2_PKT3_PKS4_S4_S5_PS6_PS9_PS4_: ; @_ZN9rocsparseL35bsr2csr_block_per_row_33_256_kernelILj1024ELj64ELj32E21rocsparse_complex_numIfEliEEv20rocsparse_direction_T4_S4_21rocsparse_index_base_PKT2_PKT3_PKS4_S4_S5_PS6_PS9_PS4_
; %bb.0:
	s_load_dwordx2 s[2:3], s[4:5], 0x18
	s_load_dwordx2 s[12:13], s[4:5], 0x28
	;; [unrolled: 1-line block ×3, first 2 shown]
	s_ashr_i32 s7, s6, 31
	s_lshl_b64 s[8:9], s[6:7], 3
	s_waitcnt lgkmcnt(0)
	s_add_u32 s2, s2, s8
	s_addc_u32 s3, s3, s9
	s_load_dwordx4 s[8:11], s[2:3], 0x0
	v_or_b32_e32 v1, s6, v0
	s_mov_b32 s15, 0
	v_cmp_eq_u32_e32 vcc, 0, v1
	s_mov_b32 s16, s13
	s_and_saveexec_b64 s[2:3], vcc
	s_cbranch_execz .LBB179_2
; %bb.1:
	s_mov_b32 s17, s15
	v_mov_b32_e32 v1, 0
	v_pk_mov_b32 v[2:3], s[16:17], s[16:17] op_sel:[0,1]
	global_store_dwordx2 v1, v[2:3], s[0:1]
.LBB179_2:
	s_or_b64 exec, exec, s[2:3]
	s_load_dword s14, s[4:5], 0xc
	s_mul_i32 s24, s12, s12
	v_lshrrev_b32_e32 v8, 5, v0
	s_mul_i32 s25, s6, s12
	s_waitcnt lgkmcnt(0)
	s_sub_u32 s18, s8, s14
	s_subb_u32 s19, s9, 0
	s_mul_hi_u32 s2, s18, s24
	s_sub_u32 s20, s10, s14
	s_mul_i32 s3, s19, s24
	s_subb_u32 s21, s11, 0
	s_add_i32 s29, s2, s3
	s_sub_u32 s35, s20, s18
	s_subb_u32 s34, s21, s19
	s_mul_i32 s2, s34, s12
	s_mul_hi_u32 s3, s35, s12
	s_mul_i32 s28, s18, s24
	s_add_i32 s13, s3, s2
	s_add_u32 s2, s28, s16
	s_mul_i32 s17, s35, s12
	s_addc_u32 s3, s29, 0
	s_add_u32 s22, s2, s17
	s_addc_u32 s23, s3, s13
	v_cmp_gt_i32_e64 s[2:3], s12, v8
	s_and_saveexec_b64 s[6:7], s[2:3]
	s_cbranch_execz .LBB179_4
; %bb.3:
	v_pk_mov_b32 v[2:3], s[22:23], s[22:23] op_sel:[0,1]
	v_mad_u64_u32 v[2:3], s[26:27], s17, v8, v[2:3]
	v_mov_b32_e32 v4, v3
	v_mad_u64_u32 v[4:5], s[26:27], s13, v8, v[4:5]
	v_mov_b32_e32 v3, v4
	v_add_u32_e32 v4, s25, v8
	v_ashrrev_i32_e32 v5, 31, v4
	v_lshlrev_b64 v[4:5], 3, v[4:5]
	v_mov_b32_e32 v1, s1
	v_add_co_u32_e32 v4, vcc, s0, v4
	v_addc_co_u32_e32 v5, vcc, v1, v5, vcc
	global_store_dwordx2 v[4:5], v[2:3], off offset:8
.LBB179_4:
	s_or_b64 exec, exec, s[6:7]
	v_or_b32_e32 v10, 32, v8
	v_cmp_gt_i32_e64 s[6:7], s12, v10
	s_and_saveexec_b64 s[26:27], s[6:7]
	s_cbranch_execz .LBB179_6
; %bb.5:
	s_add_u32 s30, s0, 8
	v_pk_mov_b32 v[2:3], s[22:23], s[22:23] op_sel:[0,1]
	s_addc_u32 s31, s1, 0
	v_mad_u64_u32 v[2:3], s[0:1], s17, v10, v[2:3]
	v_mov_b32_e32 v4, v3
	v_mad_u64_u32 v[4:5], s[0:1], s13, v10, v[4:5]
	s_ashr_i32 s0, s25, 31
	v_mov_b32_e32 v3, v4
	v_mov_b32_e32 v1, s0
	v_add_co_u32_e32 v4, vcc, s25, v8
	v_addc_co_u32_e32 v5, vcc, 0, v1, vcc
	v_lshlrev_b64 v[4:5], 3, v[4:5]
	v_mov_b32_e32 v1, s31
	v_add_co_u32_e32 v4, vcc, s30, v4
	v_addc_co_u32_e32 v5, vcc, v1, v5, vcc
	global_store_dwordx2 v[4:5], v[2:3], off offset:256
.LBB179_6:
	s_or_b64 exec, exec, s[26:27]
	v_pk_mov_b32 v[2:3], s[10:11], s[10:11] op_sel:[0,1]
	v_cmp_lt_i64_e32 vcc, s[8:9], v[2:3]
	s_cbranch_vccz .LBB179_17
; %bb.7:
	s_load_dwordx2 s[26:27], s[4:5], 0x20
	s_load_dwordx2 s[36:37], s[4:5], 0x30
	;; [unrolled: 1-line block ×3, first 2 shown]
	s_load_dword s0, s[4:5], 0x0
	s_load_dwordx2 s[30:31], s[4:5], 0x40
	v_and_b32_e32 v12, 31, v0
	v_mul_lo_u32 v0, v8, s12
	v_mov_b32_e32 v1, 0
	s_waitcnt lgkmcnt(0)
	s_cmp_eq_u32 s0, 0
	s_cselect_b64 s[0:1], -1, 0
	s_lshl_b32 s17, s12, 5
	v_cmp_gt_i32_e32 vcc, s12, v12
	v_mov_b32_e32 v5, v1
	v_mov_b32_e32 v7, v1
	v_add_u32_e32 v2, s17, v0
	v_mov_b32_e32 v3, v1
	v_lshlrev_b64 v[0:1], 3, v[0:1]
	v_lshlrev_b32_e32 v22, 3, v12
	s_and_b64 s[10:11], s[2:3], vcc
	s_and_b64 s[22:23], s[6:7], vcc
	v_add_co_u32_e32 v0, vcc, v0, v22
	v_addc_co_u32_e32 v1, vcc, 0, v1, vcc
	v_mov_b32_e32 v9, s39
	v_add_co_u32_e32 v0, vcc, s38, v0
	v_addc_co_u32_e32 v1, vcc, v9, v1, vcc
	v_lshlrev_b64 v[2:3], 3, v[2:3]
	v_add_co_u32_e32 v2, vcc, v2, v22
	v_or_b32_e32 v13, 32, v12
	v_addc_co_u32_e32 v3, vcc, 0, v3, vcc
	v_mul_lo_u32 v4, v12, s12
	v_cmp_gt_i32_e64 s[4:5], s12, v13
	v_add_co_u32_e32 v2, vcc, s38, v2
	s_and_b64 s[2:3], s[2:3], s[4:5]
	v_add_u32_e32 v6, s17, v4
	s_and_b64 s[4:5], s[6:7], s[4:5]
	v_addc_co_u32_e32 v3, vcc, v9, v3, vcc
	v_lshlrev_b32_e32 v11, 3, v8
	v_lshlrev_b64 v[4:5], 3, v[4:5]
	s_mov_b32 s25, s15
	s_add_u32 s17, s36, 0x100
	v_add_co_u32_e32 v4, vcc, v11, v4
	s_addc_u32 s33, s37, 0
	s_lshl_b64 s[6:7], s[28:29], 3
	s_lshl_b64 s[24:25], s[24:25], 3
	v_addc_co_u32_e32 v5, vcc, 0, v5, vcc
	s_lshl_b64 s[8:9], s[8:9], 2
	s_lshl_b64 s[36:37], s[14:15], 2
	v_add_co_u32_e32 v4, vcc, s38, v4
	s_sub_u32 s8, s8, s36
	v_addc_co_u32_e32 v5, vcc, v9, v5, vcc
	v_lshlrev_b64 v[6:7], 3, v[6:7]
	s_subb_u32 s9, s9, s37
	v_add_co_u32_e32 v6, vcc, v11, v6
	s_add_u32 s8, s26, s8
	v_addc_co_u32_e32 v7, vcc, 0, v7, vcc
	s_addc_u32 s9, s27, s9
	v_mad_u64_u32 v[14:15], s[26:27], v8, s35, 0
	v_add_co_u32_e32 v6, vcc, s38, v6
	v_mov_b32_e32 v16, v15
	v_mad_u64_u32 v[18:19], s[26:27], v14, s12, 0
	v_addc_co_u32_e32 v7, vcc, v9, v7, vcc
	v_mad_u64_u32 v[8:9], s[26:27], v8, s34, v[16:17]
	v_mov_b32_e32 v14, v19
	v_mad_u64_u32 v[8:9], s[26:27], v8, s12, v[14:15]
	v_mov_b32_e32 v19, v8
	v_lshlrev_b64 v[8:9], 2, v[18:19]
	v_mov_b32_e32 v11, s31
	v_add_co_u32_e32 v8, vcc, s30, v8
	s_mov_b32 s13, s15
	v_addc_co_u32_e32 v9, vcc, v9, v11, vcc
	s_movk_i32 s15, 0x80
	v_mad_u64_u32 v[16:17], s[36:37], s35, v10, 0
	v_add_co_u32_e32 v14, vcc, s15, v8
	v_mov_b32_e32 v20, v17
	v_addc_co_u32_e32 v15, vcc, 0, v9, vcc
	s_lshl_b64 s[26:27], s[28:29], 2
	v_lshlrev_b32_e32 v8, 2, v12
	v_mad_u64_u32 v[10:11], s[34:35], s34, v10, v[20:21]
	v_mov_b32_e32 v9, s27
	v_add_co_u32_e32 v8, vcc, s26, v8
	v_mul_lo_u32 v17, v10, s12
	v_pk_mov_b32 v[10:11], s[28:29], s[28:29] op_sel:[0,1]
	v_addc_co_u32_e32 v9, vcc, 0, v9, vcc
	v_mad_u64_u32 v[10:11], s[28:29], v16, s12, v[10:11]
	v_add_u32_e32 v11, v17, v11
	v_add_co_u32_e32 v10, vcc, v10, v12
	v_addc_co_u32_e32 v11, vcc, 0, v11, vcc
	v_mad_u64_u32 v[20:21], s[34:35], v16, s12, 0
	v_lshlrev_b64 v[10:11], 3, v[10:11]
	v_add_u32_e32 v21, v21, v17
	v_mov_b32_e32 v16, s33
	v_add_co_u32_e32 v10, vcc, s17, v10
	v_addc_co_u32_e32 v11, vcc, v16, v11, vcc
	v_lshlrev_b64 v[16:17], 2, v[20:21]
	v_mov_b32_e32 v20, s31
	v_add_co_u32_e32 v16, vcc, s30, v16
	v_addc_co_u32_e32 v17, vcc, v20, v17, vcc
	v_lshlrev_b64 v[18:19], 3, v[18:19]
	v_add_co_u32_e32 v18, vcc, v18, v22
	v_addc_co_u32_e32 v19, vcc, 0, v19, vcc
	v_mov_b32_e32 v20, s7
	v_add_co_u32_e32 v18, vcc, s6, v18
	s_lshl_b64 s[26:27], s[12:13], 2
	s_lshl_b64 s[28:29], s[12:13], 3
	v_addc_co_u32_e32 v19, vcc, v20, v19, vcc
	s_branch .LBB179_9
.LBB179_8:                              ;   in Loop: Header=BB179_9 Depth=1
	s_or_b64 exec, exec, s[30:31]
	v_mov_b32_e32 v20, s25
	v_add_co_u32_e32 v0, vcc, s24, v0
	v_addc_co_u32_e32 v1, vcc, v1, v20, vcc
	v_add_co_u32_e32 v2, vcc, s24, v2
	v_addc_co_u32_e32 v3, vcc, v3, v20, vcc
	;; [unrolled: 2-line block ×4, first 2 shown]
	s_add_u32 s18, s18, 1
	v_mov_b32_e32 v20, s27
	v_add_co_u32_e32 v8, vcc, s26, v8
	s_addc_u32 s19, s19, 0
	v_addc_co_u32_e32 v9, vcc, v9, v20, vcc
	s_add_u32 s8, s8, 4
	v_mov_b32_e32 v20, s29
	v_add_co_u32_e32 v10, vcc, s28, v10
	s_addc_u32 s9, s9, 0
	v_addc_co_u32_e32 v11, vcc, v11, v20, vcc
	v_pk_mov_b32 v[20:21], s[20:21], s[20:21] op_sel:[0,1]
	s_add_u32 s17, s17, s28
	v_cmp_ge_i64_e32 vcc, s[18:19], v[20:21]
	s_addc_u32 s33, s33, s29
	s_cbranch_vccnz .LBB179_17
.LBB179_9:                              ; =>This Inner Loop Header: Depth=1
	s_load_dword s13, s[8:9], 0x0
	s_waitcnt lgkmcnt(0)
	s_sub_i32 s13, s13, s14
	s_mul_i32 s13, s13, s12
	s_add_i32 s13, s13, s16
	v_add_u32_e32 v20, s13, v12
	s_and_saveexec_b64 s[30:31], s[10:11]
	s_cbranch_execnz .LBB179_13
; %bb.10:                               ;   in Loop: Header=BB179_9 Depth=1
	s_or_b64 exec, exec, s[30:31]
	v_add_u32_e32 v21, s13, v13
	s_and_saveexec_b64 s[30:31], s[2:3]
	s_cbranch_execnz .LBB179_14
.LBB179_11:                             ;   in Loop: Header=BB179_9 Depth=1
	s_or_b64 exec, exec, s[30:31]
	s_and_saveexec_b64 s[30:31], s[22:23]
	s_cbranch_execnz .LBB179_15
.LBB179_12:                             ;   in Loop: Header=BB179_9 Depth=1
	s_or_b64 exec, exec, s[30:31]
	s_and_saveexec_b64 s[30:31], s[4:5]
	s_cbranch_execz .LBB179_8
	s_branch .LBB179_16
.LBB179_13:                             ;   in Loop: Header=BB179_9 Depth=1
	v_cndmask_b32_e64 v22, v4, v0, s[0:1]
	v_cndmask_b32_e64 v21, v5, v1, s[0:1]
	v_mov_b32_e32 v23, s7
	v_add_co_u32_e32 v22, vcc, s6, v22
	v_addc_co_u32_e32 v23, vcc, v21, v23, vcc
	global_load_dwordx2 v[22:23], v[22:23], off
	v_add_co_u32_e32 v24, vcc, v14, v8
	v_addc_co_u32_e32 v25, vcc, v15, v9, vcc
	global_store_dword v[24:25], v20, off offset:-128
	v_mov_b32_e32 v21, s33
	v_add_co_u32_e32 v24, vcc, s17, v18
	v_addc_co_u32_e32 v25, vcc, v21, v19, vcc
	s_waitcnt vmcnt(1)
	global_store_dwordx2 v[24:25], v[22:23], off offset:-256
	s_or_b64 exec, exec, s[30:31]
	v_add_u32_e32 v21, s13, v13
	s_and_saveexec_b64 s[30:31], s[2:3]
	s_cbranch_execz .LBB179_11
.LBB179_14:                             ;   in Loop: Header=BB179_9 Depth=1
	v_mov_b32_e32 v22, s7
	v_add_co_u32_e32 v23, vcc, s6, v0
	v_addc_co_u32_e32 v24, vcc, v1, v22, vcc
	v_add_co_u32_e32 v25, vcc, 0x100, v23
	v_addc_co_u32_e32 v23, vcc, 0, v24, vcc
	;; [unrolled: 2-line block ×3, first 2 shown]
	v_cndmask_b32_e64 v23, v22, v23, s[0:1]
	v_cndmask_b32_e64 v22, v24, v25, s[0:1]
	global_load_dwordx2 v[22:23], v[22:23], off
	v_add_co_u32_e32 v24, vcc, v14, v8
	v_addc_co_u32_e32 v25, vcc, v15, v9, vcc
	global_store_dword v[24:25], v21, off
	v_mov_b32_e32 v25, s33
	v_add_co_u32_e32 v24, vcc, s17, v18
	v_addc_co_u32_e32 v25, vcc, v25, v19, vcc
	s_waitcnt vmcnt(1)
	global_store_dwordx2 v[24:25], v[22:23], off
	s_or_b64 exec, exec, s[30:31]
	s_and_saveexec_b64 s[30:31], s[22:23]
	s_cbranch_execz .LBB179_12
.LBB179_15:                             ;   in Loop: Header=BB179_9 Depth=1
	v_mov_b32_e32 v22, s7
	v_add_co_u32_e32 v24, vcc, s6, v2
	v_addc_co_u32_e32 v23, vcc, v3, v22, vcc
	v_add_co_u32_e32 v25, vcc, s6, v4
	v_addc_co_u32_e32 v22, vcc, v5, v22, vcc
	;; [unrolled: 2-line block ×3, first 2 shown]
	v_cndmask_b32_e64 v23, v22, v23, s[0:1]
	v_cndmask_b32_e64 v22, v25, v24, s[0:1]
	global_load_dwordx2 v[22:23], v[22:23], off
	v_add_co_u32_e32 v24, vcc, v16, v8
	v_addc_co_u32_e32 v25, vcc, v17, v9, vcc
	global_store_dword v[24:25], v20, off
	s_waitcnt vmcnt(1)
	global_store_dwordx2 v[10:11], v[22:23], off offset:-256
	s_or_b64 exec, exec, s[30:31]
	s_and_saveexec_b64 s[30:31], s[4:5]
	s_cbranch_execz .LBB179_8
.LBB179_16:                             ;   in Loop: Header=BB179_9 Depth=1
	v_cndmask_b32_e64 v22, v6, v2, s[0:1]
	v_cndmask_b32_e64 v20, v7, v3, s[0:1]
	v_mov_b32_e32 v23, s7
	v_add_co_u32_e32 v22, vcc, s6, v22
	v_addc_co_u32_e32 v23, vcc, v20, v23, vcc
	global_load_dwordx2 v[22:23], v[22:23], off offset:256
	v_add_co_u32_e32 v24, vcc, v16, v8
	v_addc_co_u32_e32 v25, vcc, v17, v9, vcc
	global_store_dword v[24:25], v21, off offset:128
	s_waitcnt vmcnt(1)
	global_store_dwordx2 v[10:11], v[22:23], off
	s_branch .LBB179_8
.LBB179_17:
	s_endpgm
	.section	.rodata,"a",@progbits
	.p2align	6, 0x0
	.amdhsa_kernel _ZN9rocsparseL35bsr2csr_block_per_row_33_256_kernelILj1024ELj64ELj32E21rocsparse_complex_numIfEliEEv20rocsparse_direction_T4_S4_21rocsparse_index_base_PKT2_PKT3_PKS4_S4_S5_PS6_PS9_PS4_
		.amdhsa_group_segment_fixed_size 0
		.amdhsa_private_segment_fixed_size 0
		.amdhsa_kernarg_size 72
		.amdhsa_user_sgpr_count 6
		.amdhsa_user_sgpr_private_segment_buffer 1
		.amdhsa_user_sgpr_dispatch_ptr 0
		.amdhsa_user_sgpr_queue_ptr 0
		.amdhsa_user_sgpr_kernarg_segment_ptr 1
		.amdhsa_user_sgpr_dispatch_id 0
		.amdhsa_user_sgpr_flat_scratch_init 0
		.amdhsa_user_sgpr_kernarg_preload_length 0
		.amdhsa_user_sgpr_kernarg_preload_offset 0
		.amdhsa_user_sgpr_private_segment_size 0
		.amdhsa_uses_dynamic_stack 0
		.amdhsa_system_sgpr_private_segment_wavefront_offset 0
		.amdhsa_system_sgpr_workgroup_id_x 1
		.amdhsa_system_sgpr_workgroup_id_y 0
		.amdhsa_system_sgpr_workgroup_id_z 0
		.amdhsa_system_sgpr_workgroup_info 0
		.amdhsa_system_vgpr_workitem_id 0
		.amdhsa_next_free_vgpr 26
		.amdhsa_next_free_sgpr 40
		.amdhsa_accum_offset 28
		.amdhsa_reserve_vcc 1
		.amdhsa_reserve_flat_scratch 0
		.amdhsa_float_round_mode_32 0
		.amdhsa_float_round_mode_16_64 0
		.amdhsa_float_denorm_mode_32 3
		.amdhsa_float_denorm_mode_16_64 3
		.amdhsa_dx10_clamp 1
		.amdhsa_ieee_mode 1
		.amdhsa_fp16_overflow 0
		.amdhsa_tg_split 0
		.amdhsa_exception_fp_ieee_invalid_op 0
		.amdhsa_exception_fp_denorm_src 0
		.amdhsa_exception_fp_ieee_div_zero 0
		.amdhsa_exception_fp_ieee_overflow 0
		.amdhsa_exception_fp_ieee_underflow 0
		.amdhsa_exception_fp_ieee_inexact 0
		.amdhsa_exception_int_div_zero 0
	.end_amdhsa_kernel
	.section	.text._ZN9rocsparseL35bsr2csr_block_per_row_33_256_kernelILj1024ELj64ELj32E21rocsparse_complex_numIfEliEEv20rocsparse_direction_T4_S4_21rocsparse_index_base_PKT2_PKT3_PKS4_S4_S5_PS6_PS9_PS4_,"axG",@progbits,_ZN9rocsparseL35bsr2csr_block_per_row_33_256_kernelILj1024ELj64ELj32E21rocsparse_complex_numIfEliEEv20rocsparse_direction_T4_S4_21rocsparse_index_base_PKT2_PKT3_PKS4_S4_S5_PS6_PS9_PS4_,comdat
.Lfunc_end179:
	.size	_ZN9rocsparseL35bsr2csr_block_per_row_33_256_kernelILj1024ELj64ELj32E21rocsparse_complex_numIfEliEEv20rocsparse_direction_T4_S4_21rocsparse_index_base_PKT2_PKT3_PKS4_S4_S5_PS6_PS9_PS4_, .Lfunc_end179-_ZN9rocsparseL35bsr2csr_block_per_row_33_256_kernelILj1024ELj64ELj32E21rocsparse_complex_numIfEliEEv20rocsparse_direction_T4_S4_21rocsparse_index_base_PKT2_PKT3_PKS4_S4_S5_PS6_PS9_PS4_
                                        ; -- End function
	.section	.AMDGPU.csdata,"",@progbits
; Kernel info:
; codeLenInByte = 1500
; NumSgprs: 44
; NumVgprs: 26
; NumAgprs: 0
; TotalNumVgprs: 26
; ScratchSize: 0
; MemoryBound: 0
; FloatMode: 240
; IeeeMode: 1
; LDSByteSize: 0 bytes/workgroup (compile time only)
; SGPRBlocks: 5
; VGPRBlocks: 3
; NumSGPRsForWavesPerEU: 44
; NumVGPRsForWavesPerEU: 26
; AccumOffset: 28
; Occupancy: 8
; WaveLimiterHint : 1
; COMPUTE_PGM_RSRC2:SCRATCH_EN: 0
; COMPUTE_PGM_RSRC2:USER_SGPR: 6
; COMPUTE_PGM_RSRC2:TRAP_HANDLER: 0
; COMPUTE_PGM_RSRC2:TGID_X_EN: 1
; COMPUTE_PGM_RSRC2:TGID_Y_EN: 0
; COMPUTE_PGM_RSRC2:TGID_Z_EN: 0
; COMPUTE_PGM_RSRC2:TIDIG_COMP_CNT: 0
; COMPUTE_PGM_RSRC3_GFX90A:ACCUM_OFFSET: 6
; COMPUTE_PGM_RSRC3_GFX90A:TG_SPLIT: 0
	.section	.text._ZN9rocsparseL35bsr2csr_block_per_row_33_256_kernelILj1024ELj128ELj32E21rocsparse_complex_numIfEliEEv20rocsparse_direction_T4_S4_21rocsparse_index_base_PKT2_PKT3_PKS4_S4_S5_PS6_PS9_PS4_,"axG",@progbits,_ZN9rocsparseL35bsr2csr_block_per_row_33_256_kernelILj1024ELj128ELj32E21rocsparse_complex_numIfEliEEv20rocsparse_direction_T4_S4_21rocsparse_index_base_PKT2_PKT3_PKS4_S4_S5_PS6_PS9_PS4_,comdat
	.globl	_ZN9rocsparseL35bsr2csr_block_per_row_33_256_kernelILj1024ELj128ELj32E21rocsparse_complex_numIfEliEEv20rocsparse_direction_T4_S4_21rocsparse_index_base_PKT2_PKT3_PKS4_S4_S5_PS6_PS9_PS4_ ; -- Begin function _ZN9rocsparseL35bsr2csr_block_per_row_33_256_kernelILj1024ELj128ELj32E21rocsparse_complex_numIfEliEEv20rocsparse_direction_T4_S4_21rocsparse_index_base_PKT2_PKT3_PKS4_S4_S5_PS6_PS9_PS4_
	.p2align	8
	.type	_ZN9rocsparseL35bsr2csr_block_per_row_33_256_kernelILj1024ELj128ELj32E21rocsparse_complex_numIfEliEEv20rocsparse_direction_T4_S4_21rocsparse_index_base_PKT2_PKT3_PKS4_S4_S5_PS6_PS9_PS4_,@function
_ZN9rocsparseL35bsr2csr_block_per_row_33_256_kernelILj1024ELj128ELj32E21rocsparse_complex_numIfEliEEv20rocsparse_direction_T4_S4_21rocsparse_index_base_PKT2_PKT3_PKS4_S4_S5_PS6_PS9_PS4_: ; @_ZN9rocsparseL35bsr2csr_block_per_row_33_256_kernelILj1024ELj128ELj32E21rocsparse_complex_numIfEliEEv20rocsparse_direction_T4_S4_21rocsparse_index_base_PKT2_PKT3_PKS4_S4_S5_PS6_PS9_PS4_
; %bb.0:
	s_load_dwordx2 s[0:1], s[4:5], 0x18
	s_load_dwordx2 s[20:21], s[4:5], 0x28
	;; [unrolled: 1-line block ×3, first 2 shown]
	s_ashr_i32 s7, s6, 31
	s_lshl_b64 s[2:3], s[6:7], 3
	s_waitcnt lgkmcnt(0)
	s_add_u32 s0, s0, s2
	s_addc_u32 s1, s1, s3
	s_load_dwordx4 s[16:19], s[0:1], 0x0
	v_or_b32_e32 v1, s6, v0
	s_mov_b32 s23, 0
	v_cmp_eq_u32_e32 vcc, 0, v1
	s_mov_b32 s24, s21
	s_and_saveexec_b64 s[0:1], vcc
	s_cbranch_execz .LBB180_2
; %bb.1:
	s_mov_b32 s25, s23
	v_mov_b32_e32 v1, 0
	v_pk_mov_b32 v[2:3], s[24:25], s[24:25] op_sel:[0,1]
	global_store_dwordx2 v1, v[2:3], s[8:9]
.LBB180_2:
	s_or_b64 exec, exec, s[0:1]
	s_load_dword s22, s[4:5], 0xc
	s_mul_i32 s56, s20, s20
	v_lshrrev_b32_e32 v1, 5, v0
	s_mul_i32 s21, s6, s20
	v_cmp_gt_i32_e64 s[2:3], s20, v1
	s_waitcnt lgkmcnt(0)
	s_sub_u32 s26, s16, s22
	s_subb_u32 s27, s17, 0
	s_mul_hi_u32 s0, s26, s56
	s_sub_u32 s28, s18, s22
	s_mul_i32 s1, s27, s56
	s_subb_u32 s29, s19, 0
	s_add_i32 s55, s0, s1
	s_sub_u32 s61, s28, s26
	s_subb_u32 s60, s29, s27
	s_mul_i32 s0, s60, s20
	s_mul_hi_u32 s1, s61, s20
	s_mul_i32 s54, s26, s56
	s_add_i32 s14, s1, s0
	s_add_u32 s0, s54, s24
	s_mul_i32 s15, s61, s20
	s_addc_u32 s1, s55, 0
	s_add_u32 s0, s0, s15
	s_addc_u32 s1, s1, s14
	s_and_saveexec_b64 s[6:7], s[2:3]
	s_cbranch_execz .LBB180_4
; %bb.3:
	v_pk_mov_b32 v[2:3], s[0:1], s[0:1] op_sel:[0,1]
	v_mad_u64_u32 v[2:3], s[10:11], s15, v1, v[2:3]
	v_mov_b32_e32 v4, v3
	v_mad_u64_u32 v[4:5], s[10:11], s14, v1, v[4:5]
	v_mov_b32_e32 v3, v4
	v_add_u32_e32 v4, s21, v1
	v_ashrrev_i32_e32 v5, 31, v4
	v_lshlrev_b64 v[4:5], 3, v[4:5]
	v_mov_b32_e32 v6, s9
	v_add_co_u32_e32 v4, vcc, s8, v4
	v_addc_co_u32_e32 v5, vcc, v6, v5, vcc
	global_store_dwordx2 v[4:5], v[2:3], off offset:8
.LBB180_4:
	s_or_b64 exec, exec, s[6:7]
	s_add_u32 s25, s8, 8
	v_or_b32_e32 v8, 32, v1
	s_addc_u32 s30, s9, 0
	v_cmp_gt_i32_e64 s[6:7], s20, v8
	s_and_saveexec_b64 s[8:9], s[6:7]
	s_cbranch_execz .LBB180_6
; %bb.5:
	v_pk_mov_b32 v[2:3], s[0:1], s[0:1] op_sel:[0,1]
	v_mad_u64_u32 v[2:3], s[10:11], s15, v8, v[2:3]
	v_mov_b32_e32 v4, v3
	v_mad_u64_u32 v[4:5], s[10:11], s14, v8, v[4:5]
	s_ashr_i32 s10, s21, 31
	v_mov_b32_e32 v3, v4
	v_mov_b32_e32 v5, s10
	v_add_co_u32_e32 v4, vcc, s21, v1
	v_addc_co_u32_e32 v5, vcc, 0, v5, vcc
	v_lshlrev_b64 v[4:5], 3, v[4:5]
	v_mov_b32_e32 v6, s30
	v_add_co_u32_e32 v4, vcc, s25, v4
	v_addc_co_u32_e32 v5, vcc, v6, v5, vcc
	global_store_dwordx2 v[4:5], v[2:3], off offset:256
.LBB180_6:
	s_or_b64 exec, exec, s[8:9]
	v_or_b32_e32 v12, 64, v1
	v_cmp_gt_i32_e64 s[8:9], s20, v12
	s_and_saveexec_b64 s[10:11], s[8:9]
	s_cbranch_execz .LBB180_8
; %bb.7:
	v_pk_mov_b32 v[2:3], s[0:1], s[0:1] op_sel:[0,1]
	v_mad_u64_u32 v[2:3], s[12:13], s15, v12, v[2:3]
	v_mov_b32_e32 v4, v3
	v_mad_u64_u32 v[4:5], s[12:13], s14, v12, v[4:5]
	s_ashr_i32 s12, s21, 31
	v_mov_b32_e32 v3, v4
	v_mov_b32_e32 v5, s12
	v_add_co_u32_e32 v4, vcc, s21, v1
	v_addc_co_u32_e32 v5, vcc, 0, v5, vcc
	v_lshlrev_b64 v[4:5], 3, v[4:5]
	v_mov_b32_e32 v6, s30
	v_add_co_u32_e32 v4, vcc, s25, v4
	v_addc_co_u32_e32 v5, vcc, v6, v5, vcc
	global_store_dwordx2 v[4:5], v[2:3], off offset:512
.LBB180_8:
	s_or_b64 exec, exec, s[10:11]
	v_or_b32_e32 v4, 0x60, v1
	v_cmp_gt_i32_e64 s[10:11], s20, v4
	s_and_saveexec_b64 s[12:13], s[10:11]
	s_cbranch_execz .LBB180_10
; %bb.9:
	v_pk_mov_b32 v[2:3], s[0:1], s[0:1] op_sel:[0,1]
	v_mad_u64_u32 v[2:3], s[0:1], s15, v4, v[2:3]
	v_mov_b32_e32 v6, v3
	v_mad_u64_u32 v[6:7], s[0:1], s14, v4, v[6:7]
	s_ashr_i32 s0, s21, 31
	v_mov_b32_e32 v3, v6
	v_mov_b32_e32 v5, s0
	v_add_co_u32_e32 v6, vcc, s21, v1
	v_addc_co_u32_e32 v7, vcc, 0, v5, vcc
	v_lshlrev_b64 v[6:7], 3, v[6:7]
	v_mov_b32_e32 v5, s30
	v_add_co_u32_e32 v6, vcc, s25, v6
	v_addc_co_u32_e32 v7, vcc, v5, v7, vcc
	global_store_dwordx2 v[6:7], v[2:3], off offset:768
.LBB180_10:
	s_or_b64 exec, exec, s[12:13]
	v_pk_mov_b32 v[2:3], s[18:19], s[18:19] op_sel:[0,1]
	v_cmp_lt_i64_e32 vcc, s[16:17], v[2:3]
	s_cbranch_vccz .LBB180_45
; %bb.11:
	s_load_dwordx2 s[58:59], s[4:5], 0x20
	s_load_dwordx2 s[18:19], s[4:5], 0x30
	s_load_dwordx2 s[62:63], s[4:5], 0x10
	s_load_dword s0, s[4:5], 0x0
	s_load_dwordx2 s[30:31], s[4:5], 0x40
	v_and_b32_e32 v16, 31, v0
	v_mul_lo_u32 v2, v1, s20
	v_mov_b32_e32 v3, 0
	s_waitcnt lgkmcnt(0)
	s_cmp_eq_u32 s0, 0
	s_cselect_b64 s[0:1], -1, 0
	s_lshl_b32 s25, s20, 5
	v_cmp_gt_i32_e32 vcc, s20, v16
	v_mov_b32_e32 v7, v3
	v_mov_b32_e32 v11, v3
	;; [unrolled: 1-line block ×4, first 2 shown]
	v_add_u32_e32 v22, s25, v2
	v_mov_b32_e32 v23, v3
	v_mov_b32_e32 v25, v3
	;; [unrolled: 1-line block ×3, first 2 shown]
	v_lshlrev_b64 v[2:3], 3, v[2:3]
	v_lshlrev_b32_e32 v0, 3, v16
	s_and_b64 s[34:35], s[2:3], vcc
	s_and_b64 s[40:41], s[6:7], vcc
	;; [unrolled: 1-line block ×4, first 2 shown]
	v_add_co_u32_e32 v20, vcc, v2, v0
	v_addc_co_u32_e32 v21, vcc, 0, v3, vcc
	v_lshlrev_b64 v[2:3], 3, v[22:23]
	v_add_u32_e32 v24, s25, v22
	v_add_co_u32_e32 v22, vcc, v2, v0
	v_addc_co_u32_e32 v23, vcc, 0, v3, vcc
	v_lshlrev_b64 v[2:3], 3, v[24:25]
	v_add_u32_e32 v26, s25, v24
	v_add_co_u32_e32 v24, vcc, v2, v0
	v_addc_co_u32_e32 v25, vcc, 0, v3, vcc
	v_lshlrev_b64 v[2:3], 3, v[26:27]
	v_mul_lo_u32 v6, v16, s20
	v_add_co_u32_e32 v26, vcc, v2, v0
	v_addc_co_u32_e32 v27, vcc, 0, v3, vcc
	v_lshlrev_b32_e32 v0, 3, v1
	v_lshlrev_b64 v[2:3], 3, v[6:7]
	v_add_u32_e32 v10, s25, v6
	v_add_co_u32_e32 v28, vcc, v0, v2
	v_or_b32_e32 v17, 32, v16
	v_or_b32_e32 v18, 64, v16
	;; [unrolled: 1-line block ×3, first 2 shown]
	v_addc_co_u32_e32 v29, vcc, 0, v3, vcc
	v_lshlrev_b64 v[2:3], 3, v[10:11]
	v_cmp_gt_i32_e64 s[4:5], s20, v17
	v_cmp_gt_i32_e64 s[12:13], s20, v18
	v_add_u32_e32 v14, s25, v10
	v_cmp_gt_i32_e64 s[14:15], s20, v19
	v_add_co_u32_e32 v30, vcc, v0, v2
	s_and_b64 s[36:37], s[2:3], s[4:5]
	s_and_b64 s[38:39], s[2:3], s[12:13]
	;; [unrolled: 1-line block ×12, first 2 shown]
	s_lshl_b64 s[14:15], s[54:55], 3
	v_addc_co_u32_e32 v31, vcc, 0, v3, vcc
	v_lshlrev_b64 v[2:3], 3, v[14:15]
	s_mov_b32 s57, s23
	v_add_u32_e32 v34, s25, v14
	s_add_u32 s25, s62, s14
	v_add_co_u32_e32 v32, vcc, v0, v2
	s_addc_u32 s33, s63, s15
	s_lshl_b64 s[14:15], s[56:57], 3
	v_addc_co_u32_e32 v33, vcc, 0, v3, vcc
	v_lshlrev_b64 v[2:3], 3, v[34:35]
	s_lshl_b64 s[16:17], s[16:17], 2
	s_lshl_b64 s[56:57], s[22:23], 2
	v_add_co_u32_e32 v34, vcc, v0, v2
	s_sub_u32 s16, s16, s56
	v_addc_co_u32_e32 v35, vcc, 0, v3, vcc
	s_subb_u32 s17, s17, s57
	v_mad_u64_u32 v[2:3], s[56:57], v1, s61, 0
	v_pk_mov_b32 v[14:15], s[54:55], s[54:55] op_sel:[0,1]
	v_mov_b32_e32 v0, v3
	v_mad_u64_u32 v[2:3], s[54:55], v2, s20, v[14:15]
	s_add_u32 s16, s58, s16
	v_mad_u64_u32 v[0:1], s[56:57], v1, s60, v[0:1]
	v_mov_b32_e32 v6, v3
	s_addc_u32 s17, s59, s17
	v_mad_u64_u32 v[0:1], s[54:55], v0, s20, v[6:7]
	v_mad_u64_u32 v[6:7], s[58:59], s61, v4, 0
	v_mov_b32_e32 v10, v7
	v_mad_u64_u32 v[6:7], s[58:59], v6, s20, v[14:15]
	v_mad_u64_u32 v[4:5], s[58:59], s60, v4, v[10:11]
	v_mov_b32_e32 v10, v7
	;; [unrolled: 3-line block ×3, first 2 shown]
	v_add_co_u32_e32 v2, vcc, v2, v16
	v_mov_b32_e32 v36, v11
	v_mad_u64_u32 v[10:11], s[58:59], v10, s20, v[14:15]
	v_addc_co_u32_e32 v3, vcc, 0, v1, vcc
	v_mad_u64_u32 v[8:9], s[58:59], s60, v8, v[36:37]
	v_mov_b32_e32 v36, v11
	v_mov_b32_e32 v5, v4
	v_add_co_u32_e32 v6, vcc, v6, v16
	v_mad_u64_u32 v[8:9], s[58:59], v8, s20, v[36:37]
	v_mad_u64_u32 v[36:37], s[58:59], s61, v12, 0
	v_addc_co_u32_e32 v7, vcc, 0, v5, vcc
	v_mov_b32_e32 v38, v37
	v_mad_u64_u32 v[14:15], s[58:59], v36, s20, v[14:15]
	v_mov_b32_e32 v9, v8
	v_add_co_u32_e32 v10, vcc, v10, v16
	v_mad_u64_u32 v[12:13], s[58:59], s60, v12, v[38:39]
	v_mov_b32_e32 v36, v15
	v_addc_co_u32_e32 v11, vcc, 0, v9, vcc
	v_mad_u64_u32 v[12:13], s[58:59], v12, s20, v[36:37]
	v_mov_b32_e32 v13, v12
	v_add_co_u32_e32 v14, vcc, v14, v16
	s_mov_b32 s21, s23
	v_addc_co_u32_e32 v15, vcc, 0, v13, vcc
	v_lshlrev_b64 v[0:1], 2, v[2:3]
	s_lshl_b64 s[54:55], s[20:21], 2
	v_lshlrev_b64 v[2:3], 3, v[2:3]
	s_lshl_b64 s[56:57], s[20:21], 3
	v_lshlrev_b64 v[4:5], 3, v[6:7]
	v_lshlrev_b64 v[6:7], 2, v[6:7]
	;; [unrolled: 1-line block ×6, first 2 shown]
	s_branch .LBB180_13
.LBB180_12:                             ;   in Loop: Header=BB180_13 Depth=1
	s_or_b64 exec, exec, s[58:59]
	s_add_u32 s26, s26, 1
	s_addc_u32 s27, s27, 0
	s_add_u32 s25, s25, s14
	s_addc_u32 s33, s33, s15
	;; [unrolled: 2-line block ×4, first 2 shown]
	v_pk_mov_b32 v[36:37], s[28:29], s[28:29] op_sel:[0,1]
	s_add_u32 s18, s18, s56
	v_cmp_ge_i64_e32 vcc, s[26:27], v[36:37]
	s_addc_u32 s19, s19, s57
	s_cbranch_vccnz .LBB180_45
.LBB180_13:                             ; =>This Inner Loop Header: Depth=1
	s_load_dword s21, s[16:17], 0x0
	s_waitcnt lgkmcnt(0)
	s_sub_i32 s21, s21, s22
	s_mul_i32 s21, s21, s20
	s_add_i32 s21, s21, s24
	v_add_u32_e32 v39, s21, v16
	s_and_saveexec_b64 s[58:59], s[34:35]
	s_cbranch_execnz .LBB180_29
; %bb.14:                               ;   in Loop: Header=BB180_13 Depth=1
	s_or_b64 exec, exec, s[58:59]
	v_add_u32_e32 v37, s21, v17
	s_and_saveexec_b64 s[58:59], s[36:37]
	s_cbranch_execnz .LBB180_30
.LBB180_15:                             ;   in Loop: Header=BB180_13 Depth=1
	s_or_b64 exec, exec, s[58:59]
	v_add_u32_e32 v36, s21, v18
	s_and_saveexec_b64 s[58:59], s[38:39]
	s_cbranch_execnz .LBB180_31
.LBB180_16:                             ;   in Loop: Header=BB180_13 Depth=1
	s_or_b64 exec, exec, s[58:59]
	v_add_u32_e32 v38, s21, v19
	s_and_saveexec_b64 s[58:59], s[2:3]
	s_cbranch_execnz .LBB180_32
.LBB180_17:                             ;   in Loop: Header=BB180_13 Depth=1
	s_or_b64 exec, exec, s[58:59]
	s_and_saveexec_b64 s[58:59], s[40:41]
	s_cbranch_execnz .LBB180_33
.LBB180_18:                             ;   in Loop: Header=BB180_13 Depth=1
	s_or_b64 exec, exec, s[58:59]
	s_and_saveexec_b64 s[58:59], s[42:43]
	s_cbranch_execnz .LBB180_34
.LBB180_19:                             ;   in Loop: Header=BB180_13 Depth=1
	s_or_b64 exec, exec, s[58:59]
	s_and_saveexec_b64 s[58:59], s[44:45]
	s_cbranch_execnz .LBB180_35
.LBB180_20:                             ;   in Loop: Header=BB180_13 Depth=1
	s_or_b64 exec, exec, s[58:59]
	s_and_saveexec_b64 s[58:59], s[6:7]
	s_cbranch_execnz .LBB180_36
.LBB180_21:                             ;   in Loop: Header=BB180_13 Depth=1
	s_or_b64 exec, exec, s[58:59]
	s_and_saveexec_b64 s[58:59], s[46:47]
	s_cbranch_execnz .LBB180_37
.LBB180_22:                             ;   in Loop: Header=BB180_13 Depth=1
	s_or_b64 exec, exec, s[58:59]
	s_and_saveexec_b64 s[58:59], s[48:49]
	s_cbranch_execnz .LBB180_38
.LBB180_23:                             ;   in Loop: Header=BB180_13 Depth=1
	s_or_b64 exec, exec, s[58:59]
	s_and_saveexec_b64 s[58:59], s[50:51]
	s_cbranch_execnz .LBB180_39
.LBB180_24:                             ;   in Loop: Header=BB180_13 Depth=1
	s_or_b64 exec, exec, s[58:59]
	s_and_saveexec_b64 s[58:59], s[8:9]
	s_cbranch_execnz .LBB180_40
.LBB180_25:                             ;   in Loop: Header=BB180_13 Depth=1
	s_or_b64 exec, exec, s[58:59]
	s_and_saveexec_b64 s[58:59], s[52:53]
	s_cbranch_execnz .LBB180_41
.LBB180_26:                             ;   in Loop: Header=BB180_13 Depth=1
	s_or_b64 exec, exec, s[58:59]
	s_and_saveexec_b64 s[58:59], s[4:5]
	s_cbranch_execnz .LBB180_42
.LBB180_27:                             ;   in Loop: Header=BB180_13 Depth=1
	s_or_b64 exec, exec, s[58:59]
	s_and_saveexec_b64 s[58:59], s[12:13]
	s_cbranch_execnz .LBB180_43
.LBB180_28:                             ;   in Loop: Header=BB180_13 Depth=1
	s_or_b64 exec, exec, s[58:59]
	s_and_saveexec_b64 s[58:59], s[10:11]
	s_cbranch_execz .LBB180_12
	s_branch .LBB180_44
.LBB180_29:                             ;   in Loop: Header=BB180_13 Depth=1
	v_cndmask_b32_e64 v36, v28, v20, s[0:1]
	v_cndmask_b32_e64 v37, v29, v21, s[0:1]
	v_mov_b32_e32 v38, s33
	v_add_co_u32_e32 v36, vcc, s25, v36
	v_addc_co_u32_e32 v37, vcc, v38, v37, vcc
	global_load_dwordx2 v[36:37], v[36:37], off
	v_mov_b32_e32 v38, s31
	v_add_co_u32_e32 v40, vcc, s30, v0
	v_addc_co_u32_e32 v41, vcc, v38, v1, vcc
	global_store_dword v[40:41], v39, off
	v_mov_b32_e32 v38, s19
	v_add_co_u32_e32 v40, vcc, s18, v2
	v_addc_co_u32_e32 v41, vcc, v38, v3, vcc
	s_waitcnt vmcnt(1)
	global_store_dwordx2 v[40:41], v[36:37], off
	s_or_b64 exec, exec, s[58:59]
	v_add_u32_e32 v37, s21, v17
	s_and_saveexec_b64 s[58:59], s[36:37]
	s_cbranch_execz .LBB180_15
.LBB180_30:                             ;   in Loop: Header=BB180_13 Depth=1
	v_mov_b32_e32 v36, s33
	v_add_co_u32_e32 v38, vcc, s25, v20
	v_addc_co_u32_e32 v40, vcc, v36, v21, vcc
	v_add_co_u32_e32 v38, vcc, 0x100, v38
	v_addc_co_u32_e32 v40, vcc, 0, v40, vcc
	;; [unrolled: 2-line block ×3, first 2 shown]
	v_cndmask_b32_e64 v41, v36, v40, s[0:1]
	v_cndmask_b32_e64 v40, v42, v38, s[0:1]
	global_load_dwordx2 v[40:41], v[40:41], off
	v_mov_b32_e32 v36, s31
	v_add_co_u32_e32 v42, vcc, s30, v0
	v_addc_co_u32_e32 v43, vcc, v36, v1, vcc
	global_store_dword v[42:43], v37, off offset:128
	v_mov_b32_e32 v36, s19
	v_add_co_u32_e32 v42, vcc, s18, v2
	v_addc_co_u32_e32 v43, vcc, v36, v3, vcc
	s_waitcnt vmcnt(1)
	global_store_dwordx2 v[42:43], v[40:41], off offset:256
	s_or_b64 exec, exec, s[58:59]
	v_add_u32_e32 v36, s21, v18
	s_and_saveexec_b64 s[58:59], s[38:39]
	s_cbranch_execz .LBB180_16
.LBB180_31:                             ;   in Loop: Header=BB180_13 Depth=1
	v_mov_b32_e32 v38, s33
	v_add_co_u32_e32 v40, vcc, s25, v20
	v_addc_co_u32_e32 v41, vcc, v38, v21, vcc
	v_add_co_u32_e32 v40, vcc, 0x200, v40
	v_addc_co_u32_e32 v41, vcc, 0, v41, vcc
	;; [unrolled: 2-line block ×3, first 2 shown]
	v_cndmask_b32_e64 v41, v38, v41, s[0:1]
	v_cndmask_b32_e64 v40, v42, v40, s[0:1]
	global_load_dwordx2 v[40:41], v[40:41], off
	v_mov_b32_e32 v38, s31
	v_add_co_u32_e32 v42, vcc, s30, v0
	v_addc_co_u32_e32 v43, vcc, v38, v1, vcc
	global_store_dword v[42:43], v36, off offset:256
	v_mov_b32_e32 v38, s19
	v_add_co_u32_e32 v42, vcc, s18, v2
	v_addc_co_u32_e32 v43, vcc, v38, v3, vcc
	s_waitcnt vmcnt(1)
	global_store_dwordx2 v[42:43], v[40:41], off offset:512
	s_or_b64 exec, exec, s[58:59]
	v_add_u32_e32 v38, s21, v19
	s_and_saveexec_b64 s[58:59], s[2:3]
	s_cbranch_execz .LBB180_17
.LBB180_32:                             ;   in Loop: Header=BB180_13 Depth=1
	v_mov_b32_e32 v40, s33
	v_add_co_u32_e32 v41, vcc, s25, v20
	v_addc_co_u32_e32 v42, vcc, v40, v21, vcc
	v_add_co_u32_e32 v43, vcc, 0x300, v41
	v_addc_co_u32_e32 v41, vcc, 0, v42, vcc
	;; [unrolled: 2-line block ×3, first 2 shown]
	v_cndmask_b32_e64 v41, v40, v41, s[0:1]
	v_cndmask_b32_e64 v40, v42, v43, s[0:1]
	global_load_dwordx2 v[40:41], v[40:41], off
	v_mov_b32_e32 v43, s31
	v_add_co_u32_e32 v42, vcc, s30, v0
	v_addc_co_u32_e32 v43, vcc, v43, v1, vcc
	global_store_dword v[42:43], v38, off offset:384
	v_mov_b32_e32 v43, s19
	v_add_co_u32_e32 v42, vcc, s18, v2
	v_addc_co_u32_e32 v43, vcc, v43, v3, vcc
	s_waitcnt vmcnt(1)
	global_store_dwordx2 v[42:43], v[40:41], off offset:768
	s_or_b64 exec, exec, s[58:59]
	s_and_saveexec_b64 s[58:59], s[40:41]
	s_cbranch_execz .LBB180_18
.LBB180_33:                             ;   in Loop: Header=BB180_13 Depth=1
	v_mov_b32_e32 v40, s33
	v_add_co_u32_e32 v42, vcc, s25, v22
	v_addc_co_u32_e32 v41, vcc, v40, v23, vcc
	v_add_co_u32_e32 v43, vcc, s25, v28
	v_addc_co_u32_e32 v40, vcc, v40, v29, vcc
	;; [unrolled: 2-line block ×3, first 2 shown]
	v_cndmask_b32_e64 v41, v40, v41, s[0:1]
	v_cndmask_b32_e64 v40, v43, v42, s[0:1]
	global_load_dwordx2 v[40:41], v[40:41], off
	v_mov_b32_e32 v43, s31
	v_add_co_u32_e32 v42, vcc, s30, v8
	v_addc_co_u32_e32 v43, vcc, v43, v9, vcc
	global_store_dword v[42:43], v39, off
	v_mov_b32_e32 v43, s19
	v_add_co_u32_e32 v42, vcc, s18, v10
	v_addc_co_u32_e32 v43, vcc, v43, v11, vcc
	s_waitcnt vmcnt(1)
	global_store_dwordx2 v[42:43], v[40:41], off
	s_or_b64 exec, exec, s[58:59]
	s_and_saveexec_b64 s[58:59], s[42:43]
	s_cbranch_execz .LBB180_19
.LBB180_34:                             ;   in Loop: Header=BB180_13 Depth=1
	v_cndmask_b32_e64 v40, v30, v22, s[0:1]
	v_cndmask_b32_e64 v41, v31, v23, s[0:1]
	v_mov_b32_e32 v42, s33
	v_add_co_u32_e32 v40, vcc, s25, v40
	v_addc_co_u32_e32 v41, vcc, v42, v41, vcc
	global_load_dwordx2 v[40:41], v[40:41], off offset:256
	v_mov_b32_e32 v43, s31
	v_add_co_u32_e32 v42, vcc, s30, v8
	v_addc_co_u32_e32 v43, vcc, v43, v9, vcc
	global_store_dword v[42:43], v37, off offset:128
	v_mov_b32_e32 v43, s19
	v_add_co_u32_e32 v42, vcc, s18, v10
	v_addc_co_u32_e32 v43, vcc, v43, v11, vcc
	s_waitcnt vmcnt(1)
	global_store_dwordx2 v[42:43], v[40:41], off offset:256
	s_or_b64 exec, exec, s[58:59]
	s_and_saveexec_b64 s[58:59], s[44:45]
	s_cbranch_execz .LBB180_20
.LBB180_35:                             ;   in Loop: Header=BB180_13 Depth=1
	v_mov_b32_e32 v40, s33
	v_add_co_u32_e32 v41, vcc, s25, v22
	v_addc_co_u32_e32 v42, vcc, v40, v23, vcc
	v_add_co_u32_e32 v43, vcc, 0x200, v41
	v_addc_co_u32_e32 v41, vcc, 0, v42, vcc
	;; [unrolled: 2-line block ×4, first 2 shown]
	v_cndmask_b32_e64 v41, v40, v41, s[0:1]
	v_cndmask_b32_e64 v40, v42, v43, s[0:1]
	global_load_dwordx2 v[40:41], v[40:41], off
	v_mov_b32_e32 v43, s31
	v_add_co_u32_e32 v42, vcc, s30, v8
	v_addc_co_u32_e32 v43, vcc, v43, v9, vcc
	global_store_dword v[42:43], v36, off offset:256
	v_mov_b32_e32 v43, s19
	v_add_co_u32_e32 v42, vcc, s18, v10
	v_addc_co_u32_e32 v43, vcc, v43, v11, vcc
	s_waitcnt vmcnt(1)
	global_store_dwordx2 v[42:43], v[40:41], off offset:512
	s_or_b64 exec, exec, s[58:59]
	s_and_saveexec_b64 s[58:59], s[6:7]
	s_cbranch_execz .LBB180_21
.LBB180_36:                             ;   in Loop: Header=BB180_13 Depth=1
	v_mov_b32_e32 v40, s33
	v_add_co_u32_e32 v41, vcc, s25, v22
	v_addc_co_u32_e32 v42, vcc, v40, v23, vcc
	v_add_co_u32_e32 v43, vcc, 0x300, v41
	v_addc_co_u32_e32 v41, vcc, 0, v42, vcc
	;; [unrolled: 2-line block ×4, first 2 shown]
	v_cndmask_b32_e64 v41, v40, v41, s[0:1]
	v_cndmask_b32_e64 v40, v42, v43, s[0:1]
	global_load_dwordx2 v[40:41], v[40:41], off
	v_mov_b32_e32 v43, s31
	v_add_co_u32_e32 v42, vcc, s30, v8
	v_addc_co_u32_e32 v43, vcc, v43, v9, vcc
	global_store_dword v[42:43], v38, off offset:384
	v_mov_b32_e32 v43, s19
	v_add_co_u32_e32 v42, vcc, s18, v10
	v_addc_co_u32_e32 v43, vcc, v43, v11, vcc
	s_waitcnt vmcnt(1)
	global_store_dwordx2 v[42:43], v[40:41], off offset:768
	s_or_b64 exec, exec, s[58:59]
	s_and_saveexec_b64 s[58:59], s[46:47]
	s_cbranch_execz .LBB180_22
.LBB180_37:                             ;   in Loop: Header=BB180_13 Depth=1
	v_mov_b32_e32 v40, s33
	v_add_co_u32_e32 v42, vcc, s25, v24
	v_addc_co_u32_e32 v41, vcc, v40, v25, vcc
	v_add_co_u32_e32 v43, vcc, s25, v28
	v_addc_co_u32_e32 v40, vcc, v40, v29, vcc
	;; [unrolled: 2-line block ×3, first 2 shown]
	v_cndmask_b32_e64 v41, v40, v41, s[0:1]
	v_cndmask_b32_e64 v40, v43, v42, s[0:1]
	global_load_dwordx2 v[40:41], v[40:41], off
	v_mov_b32_e32 v43, s31
	v_add_co_u32_e32 v42, vcc, s30, v14
	v_addc_co_u32_e32 v43, vcc, v43, v15, vcc
	global_store_dword v[42:43], v39, off
	v_mov_b32_e32 v43, s19
	v_add_co_u32_e32 v42, vcc, s18, v12
	v_addc_co_u32_e32 v43, vcc, v43, v13, vcc
	s_waitcnt vmcnt(1)
	global_store_dwordx2 v[42:43], v[40:41], off
	s_or_b64 exec, exec, s[58:59]
	s_and_saveexec_b64 s[58:59], s[48:49]
	s_cbranch_execz .LBB180_23
.LBB180_38:                             ;   in Loop: Header=BB180_13 Depth=1
	v_mov_b32_e32 v40, s33
	v_add_co_u32_e32 v41, vcc, s25, v24
	v_addc_co_u32_e32 v42, vcc, v40, v25, vcc
	v_add_co_u32_e32 v43, vcc, 0x100, v41
	v_addc_co_u32_e32 v41, vcc, 0, v42, vcc
	v_add_co_u32_e32 v42, vcc, s25, v30
	v_addc_co_u32_e32 v40, vcc, v40, v31, vcc
	v_add_co_u32_e32 v42, vcc, 0x200, v42
	v_addc_co_u32_e32 v40, vcc, 0, v40, vcc
	v_cndmask_b32_e64 v41, v40, v41, s[0:1]
	v_cndmask_b32_e64 v40, v42, v43, s[0:1]
	global_load_dwordx2 v[40:41], v[40:41], off
	v_mov_b32_e32 v43, s31
	v_add_co_u32_e32 v42, vcc, s30, v14
	v_addc_co_u32_e32 v43, vcc, v43, v15, vcc
	global_store_dword v[42:43], v37, off offset:128
	v_mov_b32_e32 v43, s19
	v_add_co_u32_e32 v42, vcc, s18, v12
	v_addc_co_u32_e32 v43, vcc, v43, v13, vcc
	s_waitcnt vmcnt(1)
	global_store_dwordx2 v[42:43], v[40:41], off offset:256
	s_or_b64 exec, exec, s[58:59]
	s_and_saveexec_b64 s[58:59], s[50:51]
	s_cbranch_execz .LBB180_24
.LBB180_39:                             ;   in Loop: Header=BB180_13 Depth=1
	v_cndmask_b32_e64 v40, v32, v24, s[0:1]
	v_cndmask_b32_e64 v41, v33, v25, s[0:1]
	v_mov_b32_e32 v42, s33
	v_add_co_u32_e32 v40, vcc, s25, v40
	v_addc_co_u32_e32 v41, vcc, v42, v41, vcc
	global_load_dwordx2 v[40:41], v[40:41], off offset:512
	v_mov_b32_e32 v43, s31
	v_add_co_u32_e32 v42, vcc, s30, v14
	v_addc_co_u32_e32 v43, vcc, v43, v15, vcc
	global_store_dword v[42:43], v36, off offset:256
	v_mov_b32_e32 v43, s19
	v_add_co_u32_e32 v42, vcc, s18, v12
	v_addc_co_u32_e32 v43, vcc, v43, v13, vcc
	s_waitcnt vmcnt(1)
	global_store_dwordx2 v[42:43], v[40:41], off offset:512
	s_or_b64 exec, exec, s[58:59]
	s_and_saveexec_b64 s[58:59], s[8:9]
	s_cbranch_execz .LBB180_25
.LBB180_40:                             ;   in Loop: Header=BB180_13 Depth=1
	v_mov_b32_e32 v40, s33
	v_add_co_u32_e32 v41, vcc, s25, v24
	v_addc_co_u32_e32 v42, vcc, v40, v25, vcc
	v_add_co_u32_e32 v43, vcc, 0x300, v41
	v_addc_co_u32_e32 v41, vcc, 0, v42, vcc
	;; [unrolled: 2-line block ×4, first 2 shown]
	v_cndmask_b32_e64 v41, v40, v41, s[0:1]
	v_cndmask_b32_e64 v40, v42, v43, s[0:1]
	global_load_dwordx2 v[40:41], v[40:41], off
	v_mov_b32_e32 v43, s31
	v_add_co_u32_e32 v42, vcc, s30, v14
	v_addc_co_u32_e32 v43, vcc, v43, v15, vcc
	global_store_dword v[42:43], v38, off offset:384
	v_mov_b32_e32 v43, s19
	v_add_co_u32_e32 v42, vcc, s18, v12
	v_addc_co_u32_e32 v43, vcc, v43, v13, vcc
	s_waitcnt vmcnt(1)
	global_store_dwordx2 v[42:43], v[40:41], off offset:768
	s_or_b64 exec, exec, s[58:59]
	s_and_saveexec_b64 s[58:59], s[52:53]
	s_cbranch_execz .LBB180_26
.LBB180_41:                             ;   in Loop: Header=BB180_13 Depth=1
	v_mov_b32_e32 v40, s33
	v_add_co_u32_e32 v42, vcc, s25, v26
	v_addc_co_u32_e32 v41, vcc, v40, v27, vcc
	v_add_co_u32_e32 v43, vcc, s25, v28
	v_addc_co_u32_e32 v40, vcc, v40, v29, vcc
	;; [unrolled: 2-line block ×3, first 2 shown]
	v_cndmask_b32_e64 v41, v40, v41, s[0:1]
	v_cndmask_b32_e64 v40, v43, v42, s[0:1]
	global_load_dwordx2 v[40:41], v[40:41], off
	v_mov_b32_e32 v43, s31
	v_add_co_u32_e32 v42, vcc, s30, v6
	v_addc_co_u32_e32 v43, vcc, v43, v7, vcc
	global_store_dword v[42:43], v39, off
	v_mov_b32_e32 v39, s19
	v_add_co_u32_e32 v42, vcc, s18, v4
	v_addc_co_u32_e32 v43, vcc, v39, v5, vcc
	s_waitcnt vmcnt(1)
	global_store_dwordx2 v[42:43], v[40:41], off
	s_or_b64 exec, exec, s[58:59]
	s_and_saveexec_b64 s[58:59], s[4:5]
	s_cbranch_execz .LBB180_27
.LBB180_42:                             ;   in Loop: Header=BB180_13 Depth=1
	v_mov_b32_e32 v39, s33
	v_add_co_u32_e32 v40, vcc, s25, v26
	v_addc_co_u32_e32 v41, vcc, v39, v27, vcc
	v_add_co_u32_e32 v40, vcc, 0x100, v40
	v_addc_co_u32_e32 v41, vcc, 0, v41, vcc
	;; [unrolled: 2-line block ×4, first 2 shown]
	v_cndmask_b32_e64 v41, v39, v41, s[0:1]
	v_cndmask_b32_e64 v40, v42, v40, s[0:1]
	global_load_dwordx2 v[40:41], v[40:41], off
	v_mov_b32_e32 v39, s31
	v_add_co_u32_e32 v42, vcc, s30, v6
	v_addc_co_u32_e32 v43, vcc, v39, v7, vcc
	global_store_dword v[42:43], v37, off offset:128
	v_mov_b32_e32 v37, s19
	v_add_co_u32_e32 v42, vcc, s18, v4
	v_addc_co_u32_e32 v43, vcc, v37, v5, vcc
	s_waitcnt vmcnt(1)
	global_store_dwordx2 v[42:43], v[40:41], off offset:256
	s_or_b64 exec, exec, s[58:59]
	s_and_saveexec_b64 s[58:59], s[12:13]
	s_cbranch_execz .LBB180_28
.LBB180_43:                             ;   in Loop: Header=BB180_13 Depth=1
	v_mov_b32_e32 v37, s33
	v_add_co_u32_e32 v39, vcc, s25, v26
	v_addc_co_u32_e32 v40, vcc, v37, v27, vcc
	v_add_co_u32_e32 v39, vcc, 0x200, v39
	v_addc_co_u32_e32 v40, vcc, 0, v40, vcc
	;; [unrolled: 2-line block ×4, first 2 shown]
	v_cndmask_b32_e64 v41, v37, v40, s[0:1]
	v_cndmask_b32_e64 v40, v42, v39, s[0:1]
	global_load_dwordx2 v[40:41], v[40:41], off
	v_mov_b32_e32 v37, s31
	v_add_co_u32_e32 v42, vcc, s30, v6
	v_addc_co_u32_e32 v43, vcc, v37, v7, vcc
	global_store_dword v[42:43], v36, off offset:256
	v_mov_b32_e32 v37, s19
	v_add_co_u32_e32 v36, vcc, s18, v4
	v_addc_co_u32_e32 v37, vcc, v37, v5, vcc
	s_waitcnt vmcnt(1)
	global_store_dwordx2 v[36:37], v[40:41], off offset:512
	s_or_b64 exec, exec, s[58:59]
	s_and_saveexec_b64 s[58:59], s[10:11]
	s_cbranch_execz .LBB180_12
.LBB180_44:                             ;   in Loop: Header=BB180_13 Depth=1
	v_cndmask_b32_e64 v36, v34, v26, s[0:1]
	v_cndmask_b32_e64 v37, v35, v27, s[0:1]
	v_mov_b32_e32 v39, s33
	v_add_co_u32_e32 v36, vcc, s25, v36
	v_addc_co_u32_e32 v37, vcc, v39, v37, vcc
	global_load_dwordx2 v[36:37], v[36:37], off offset:768
	v_mov_b32_e32 v39, s31
	v_add_co_u32_e32 v40, vcc, s30, v6
	v_addc_co_u32_e32 v41, vcc, v39, v7, vcc
	global_store_dword v[40:41], v38, off offset:384
	v_mov_b32_e32 v39, s19
	v_add_co_u32_e32 v38, vcc, s18, v4
	v_addc_co_u32_e32 v39, vcc, v39, v5, vcc
	s_waitcnt vmcnt(1)
	global_store_dwordx2 v[38:39], v[36:37], off offset:768
	s_branch .LBB180_12
.LBB180_45:
	s_endpgm
	.section	.rodata,"a",@progbits
	.p2align	6, 0x0
	.amdhsa_kernel _ZN9rocsparseL35bsr2csr_block_per_row_33_256_kernelILj1024ELj128ELj32E21rocsparse_complex_numIfEliEEv20rocsparse_direction_T4_S4_21rocsparse_index_base_PKT2_PKT3_PKS4_S4_S5_PS6_PS9_PS4_
		.amdhsa_group_segment_fixed_size 0
		.amdhsa_private_segment_fixed_size 0
		.amdhsa_kernarg_size 72
		.amdhsa_user_sgpr_count 6
		.amdhsa_user_sgpr_private_segment_buffer 1
		.amdhsa_user_sgpr_dispatch_ptr 0
		.amdhsa_user_sgpr_queue_ptr 0
		.amdhsa_user_sgpr_kernarg_segment_ptr 1
		.amdhsa_user_sgpr_dispatch_id 0
		.amdhsa_user_sgpr_flat_scratch_init 0
		.amdhsa_user_sgpr_kernarg_preload_length 0
		.amdhsa_user_sgpr_kernarg_preload_offset 0
		.amdhsa_user_sgpr_private_segment_size 0
		.amdhsa_uses_dynamic_stack 0
		.amdhsa_system_sgpr_private_segment_wavefront_offset 0
		.amdhsa_system_sgpr_workgroup_id_x 1
		.amdhsa_system_sgpr_workgroup_id_y 0
		.amdhsa_system_sgpr_workgroup_id_z 0
		.amdhsa_system_sgpr_workgroup_info 0
		.amdhsa_system_vgpr_workitem_id 0
		.amdhsa_next_free_vgpr 44
		.amdhsa_next_free_sgpr 64
		.amdhsa_accum_offset 44
		.amdhsa_reserve_vcc 1
		.amdhsa_reserve_flat_scratch 0
		.amdhsa_float_round_mode_32 0
		.amdhsa_float_round_mode_16_64 0
		.amdhsa_float_denorm_mode_32 3
		.amdhsa_float_denorm_mode_16_64 3
		.amdhsa_dx10_clamp 1
		.amdhsa_ieee_mode 1
		.amdhsa_fp16_overflow 0
		.amdhsa_tg_split 0
		.amdhsa_exception_fp_ieee_invalid_op 0
		.amdhsa_exception_fp_denorm_src 0
		.amdhsa_exception_fp_ieee_div_zero 0
		.amdhsa_exception_fp_ieee_overflow 0
		.amdhsa_exception_fp_ieee_underflow 0
		.amdhsa_exception_fp_ieee_inexact 0
		.amdhsa_exception_int_div_zero 0
	.end_amdhsa_kernel
	.section	.text._ZN9rocsparseL35bsr2csr_block_per_row_33_256_kernelILj1024ELj128ELj32E21rocsparse_complex_numIfEliEEv20rocsparse_direction_T4_S4_21rocsparse_index_base_PKT2_PKT3_PKS4_S4_S5_PS6_PS9_PS4_,"axG",@progbits,_ZN9rocsparseL35bsr2csr_block_per_row_33_256_kernelILj1024ELj128ELj32E21rocsparse_complex_numIfEliEEv20rocsparse_direction_T4_S4_21rocsparse_index_base_PKT2_PKT3_PKS4_S4_S5_PS6_PS9_PS4_,comdat
.Lfunc_end180:
	.size	_ZN9rocsparseL35bsr2csr_block_per_row_33_256_kernelILj1024ELj128ELj32E21rocsparse_complex_numIfEliEEv20rocsparse_direction_T4_S4_21rocsparse_index_base_PKT2_PKT3_PKS4_S4_S5_PS6_PS9_PS4_, .Lfunc_end180-_ZN9rocsparseL35bsr2csr_block_per_row_33_256_kernelILj1024ELj128ELj32E21rocsparse_complex_numIfEliEEv20rocsparse_direction_T4_S4_21rocsparse_index_base_PKT2_PKT3_PKS4_S4_S5_PS6_PS9_PS4_
                                        ; -- End function
	.section	.AMDGPU.csdata,"",@progbits
; Kernel info:
; codeLenInByte = 3416
; NumSgprs: 68
; NumVgprs: 44
; NumAgprs: 0
; TotalNumVgprs: 44
; ScratchSize: 0
; MemoryBound: 0
; FloatMode: 240
; IeeeMode: 1
; LDSByteSize: 0 bytes/workgroup (compile time only)
; SGPRBlocks: 8
; VGPRBlocks: 5
; NumSGPRsForWavesPerEU: 68
; NumVGPRsForWavesPerEU: 44
; AccumOffset: 44
; Occupancy: 8
; WaveLimiterHint : 1
; COMPUTE_PGM_RSRC2:SCRATCH_EN: 0
; COMPUTE_PGM_RSRC2:USER_SGPR: 6
; COMPUTE_PGM_RSRC2:TRAP_HANDLER: 0
; COMPUTE_PGM_RSRC2:TGID_X_EN: 1
; COMPUTE_PGM_RSRC2:TGID_Y_EN: 0
; COMPUTE_PGM_RSRC2:TGID_Z_EN: 0
; COMPUTE_PGM_RSRC2:TIDIG_COMP_CNT: 0
; COMPUTE_PGM_RSRC3_GFX90A:ACCUM_OFFSET: 10
; COMPUTE_PGM_RSRC3_GFX90A:TG_SPLIT: 0
	.section	.text._ZN9rocsparseL35bsr2csr_block_per_row_33_256_kernelILj1024ELj256ELj32E21rocsparse_complex_numIfEliEEv20rocsparse_direction_T4_S4_21rocsparse_index_base_PKT2_PKT3_PKS4_S4_S5_PS6_PS9_PS4_,"axG",@progbits,_ZN9rocsparseL35bsr2csr_block_per_row_33_256_kernelILj1024ELj256ELj32E21rocsparse_complex_numIfEliEEv20rocsparse_direction_T4_S4_21rocsparse_index_base_PKT2_PKT3_PKS4_S4_S5_PS6_PS9_PS4_,comdat
	.globl	_ZN9rocsparseL35bsr2csr_block_per_row_33_256_kernelILj1024ELj256ELj32E21rocsparse_complex_numIfEliEEv20rocsparse_direction_T4_S4_21rocsparse_index_base_PKT2_PKT3_PKS4_S4_S5_PS6_PS9_PS4_ ; -- Begin function _ZN9rocsparseL35bsr2csr_block_per_row_33_256_kernelILj1024ELj256ELj32E21rocsparse_complex_numIfEliEEv20rocsparse_direction_T4_S4_21rocsparse_index_base_PKT2_PKT3_PKS4_S4_S5_PS6_PS9_PS4_
	.p2align	8
	.type	_ZN9rocsparseL35bsr2csr_block_per_row_33_256_kernelILj1024ELj256ELj32E21rocsparse_complex_numIfEliEEv20rocsparse_direction_T4_S4_21rocsparse_index_base_PKT2_PKT3_PKS4_S4_S5_PS6_PS9_PS4_,@function
_ZN9rocsparseL35bsr2csr_block_per_row_33_256_kernelILj1024ELj256ELj32E21rocsparse_complex_numIfEliEEv20rocsparse_direction_T4_S4_21rocsparse_index_base_PKT2_PKT3_PKS4_S4_S5_PS6_PS9_PS4_: ; @_ZN9rocsparseL35bsr2csr_block_per_row_33_256_kernelILj1024ELj256ELj32E21rocsparse_complex_numIfEliEEv20rocsparse_direction_T4_S4_21rocsparse_index_base_PKT2_PKT3_PKS4_S4_S5_PS6_PS9_PS4_
; %bb.0:
	s_load_dwordx2 s[0:1], s[4:5], 0x18
	s_load_dwordx2 s[36:37], s[4:5], 0x28
	;; [unrolled: 1-line block ×3, first 2 shown]
	s_ashr_i32 s7, s6, 31
	s_lshl_b64 s[2:3], s[6:7], 3
	s_waitcnt lgkmcnt(0)
	s_add_u32 s0, s0, s2
	s_addc_u32 s1, s1, s3
	s_load_dwordx4 s[20:23], s[0:1], 0x0
	v_or_b32_e32 v1, s6, v0
	s_mov_b32 s39, 0
	v_cmp_eq_u32_e32 vcc, 0, v1
	s_mov_b32 s38, s37
	s_and_saveexec_b64 s[0:1], vcc
	s_cbranch_execz .LBB181_2
; %bb.1:
	v_mov_b32_e32 v1, 0
	v_pk_mov_b32 v[2:3], s[38:39], s[38:39] op_sel:[0,1]
	global_store_dwordx2 v1, v[2:3], s[8:9]
.LBB181_2:
	s_or_b64 exec, exec, s[0:1]
	s_load_dword s1, s[4:5], 0xc
	s_mul_i32 s37, s36, s36
                                        ; implicit-def: $vgpr80 : SGPR spill to VGPR lane
	v_lshrrev_b32_e32 v18, 5, v0
	s_mul_i32 s28, s6, s36
	v_cmp_gt_i32_e64 s[2:3], s36, v18
	s_waitcnt lgkmcnt(0)
	s_sub_u32 s48, s20, s1
	s_subb_u32 s49, s21, 0
	s_mul_hi_u32 s0, s48, s37
	v_writelane_b32 v80, s1, 0
	s_sub_u32 s42, s22, s1
	s_mul_i32 s1, s49, s37
	s_subb_u32 s43, s23, 0
	s_add_i32 s45, s0, s1
	s_sub_u32 s39, s42, s48
	s_subb_u32 s33, s43, s49
	s_mul_i32 s0, s33, s36
	s_mul_hi_u32 s1, s39, s36
	s_mul_i32 s44, s48, s37
	s_add_i32 s26, s1, s0
	s_add_u32 s0, s44, s38
	s_mul_i32 s27, s39, s36
	s_addc_u32 s1, s45, 0
	s_add_u32 s0, s0, s27
	s_addc_u32 s1, s1, s26
	s_and_saveexec_b64 s[6:7], s[2:3]
	s_cbranch_execz .LBB181_4
; %bb.3:
	v_pk_mov_b32 v[2:3], s[0:1], s[0:1] op_sel:[0,1]
	v_mad_u64_u32 v[2:3], s[10:11], s27, v18, v[2:3]
	v_mov_b32_e32 v4, v3
	v_mad_u64_u32 v[4:5], s[10:11], s26, v18, v[4:5]
	v_mov_b32_e32 v3, v4
	v_add_u32_e32 v4, s28, v18
	v_ashrrev_i32_e32 v5, 31, v4
	v_lshlrev_b64 v[4:5], 3, v[4:5]
	v_mov_b32_e32 v1, s9
	v_add_co_u32_e32 v4, vcc, s8, v4
	v_addc_co_u32_e32 v5, vcc, v1, v5, vcc
	global_store_dwordx2 v[4:5], v[2:3], off offset:8
.LBB181_4:
	s_or_b64 exec, exec, s[6:7]
	s_add_u32 s29, s8, 8
	v_or_b32_e32 v1, 32, v18
	s_addc_u32 s30, s9, 0
	v_cmp_gt_i32_e64 s[6:7], s36, v1
	s_and_saveexec_b64 s[8:9], s[6:7]
	s_cbranch_execz .LBB181_6
; %bb.5:
	v_pk_mov_b32 v[2:3], s[0:1], s[0:1] op_sel:[0,1]
	v_mad_u64_u32 v[2:3], s[10:11], s27, v1, v[2:3]
	v_mov_b32_e32 v4, v3
	v_mad_u64_u32 v[4:5], s[10:11], s26, v1, v[4:5]
	s_ashr_i32 s10, s28, 31
	v_mov_b32_e32 v3, v4
	v_mov_b32_e32 v5, s10
	v_add_co_u32_e32 v4, vcc, s28, v18
	v_addc_co_u32_e32 v5, vcc, 0, v5, vcc
	v_lshlrev_b64 v[4:5], 3, v[4:5]
	v_mov_b32_e32 v6, s30
	v_add_co_u32_e32 v4, vcc, s29, v4
	v_addc_co_u32_e32 v5, vcc, v6, v5, vcc
	global_store_dwordx2 v[4:5], v[2:3], off offset:256
.LBB181_6:
	s_or_b64 exec, exec, s[8:9]
	v_or_b32_e32 v19, 64, v18
	v_cmp_gt_i32_e64 s[8:9], s36, v19
	s_and_saveexec_b64 s[10:11], s[8:9]
	s_cbranch_execz .LBB181_8
; %bb.7:
	v_pk_mov_b32 v[2:3], s[0:1], s[0:1] op_sel:[0,1]
	v_mad_u64_u32 v[2:3], s[12:13], s27, v19, v[2:3]
	v_mov_b32_e32 v4, v3
	v_mad_u64_u32 v[4:5], s[12:13], s26, v19, v[4:5]
	s_ashr_i32 s12, s28, 31
	v_mov_b32_e32 v3, v4
	v_mov_b32_e32 v5, s12
	v_add_co_u32_e32 v4, vcc, s28, v18
	v_addc_co_u32_e32 v5, vcc, 0, v5, vcc
	v_lshlrev_b64 v[4:5], 3, v[4:5]
	v_mov_b32_e32 v6, s30
	v_add_co_u32_e32 v4, vcc, s29, v4
	v_addc_co_u32_e32 v5, vcc, v6, v5, vcc
	global_store_dwordx2 v[4:5], v[2:3], off offset:512
.LBB181_8:
	s_or_b64 exec, exec, s[10:11]
	v_or_b32_e32 v20, 0x60, v18
	;; [unrolled: 21-line block ×6, first 2 shown]
	v_cmp_gt_i32_e64 s[18:19], s36, v24
	s_and_saveexec_b64 s[24:25], s[18:19]
	s_cbranch_execz .LBB181_18
; %bb.17:
	v_pk_mov_b32 v[2:3], s[0:1], s[0:1] op_sel:[0,1]
	v_mad_u64_u32 v[2:3], s[0:1], s27, v24, v[2:3]
	v_mov_b32_e32 v4, v3
	v_mad_u64_u32 v[4:5], s[0:1], s26, v24, v[4:5]
	s_ashr_i32 s0, s28, 31
	v_mov_b32_e32 v3, v4
	v_mov_b32_e32 v5, s0
	v_add_co_u32_e32 v4, vcc, s28, v18
	v_addc_co_u32_e32 v5, vcc, 0, v5, vcc
	v_lshlrev_b64 v[4:5], 3, v[4:5]
	v_mov_b32_e32 v6, s30
	v_add_co_u32_e32 v4, vcc, s29, v4
	v_addc_co_u32_e32 v5, vcc, v6, v5, vcc
	global_store_dwordx2 v[4:5], v[2:3], off offset:1792
.LBB181_18:
	s_or_b64 exec, exec, s[24:25]
	v_pk_mov_b32 v[2:3], s[22:23], s[22:23] op_sel:[0,1]
	v_cmp_lt_i64_e32 vcc, s[20:21], v[2:3]
	s_cbranch_vccz .LBB181_149
; %bb.19:
	s_load_dword s0, s[4:5], 0x0
	s_load_dwordx2 s[46:47], s[4:5], 0x30
	s_load_dwordx2 s[22:23], s[4:5], 0x10
	v_and_b32_e32 v0, 31, v0
	v_cmp_gt_i32_e32 vcc, s36, v0
	v_or_b32_e32 v52, 32, v0
	s_waitcnt lgkmcnt(0)
	s_cmp_eq_u32 s0, 0
	v_writelane_b32 v80, s22, 1
	v_writelane_b32 v80, s23, 2
	s_cselect_b64 s[0:1], -1, 0
	s_and_b64 s[40:41], s[2:3], vcc
	v_cmp_gt_i32_e64 s[20:21], s36, v52
	v_writelane_b32 v80, s40, 3
	v_or_b32_e32 v53, 64, v0
	v_writelane_b32 v80, s41, 4
	s_and_b64 s[40:41], s[2:3], s[20:21]
	v_cmp_gt_i32_e64 s[22:23], s36, v53
	v_writelane_b32 v80, s40, 5
	v_or_b32_e32 v54, 0x60, v0
	v_writelane_b32 v80, s41, 6
	s_and_b64 s[40:41], s[2:3], s[22:23]
	;; [unrolled: 5-line block ×6, first 2 shown]
	v_cmp_gt_i32_e64 s[34:35], s36, v58
	v_writelane_b32 v80, s40, 15
	v_writelane_b32 v80, s41, 16
	s_and_b64 s[2:3], s[2:3], s[34:35]
	v_writelane_b32 v80, s2, 17
	v_writelane_b32 v80, s3, 18
	s_and_b64 s[2:3], s[6:7], vcc
	v_writelane_b32 v80, s2, 19
	v_writelane_b32 v80, s3, 20
	s_and_b64 s[2:3], s[6:7], s[20:21]
	v_writelane_b32 v80, s2, 21
	v_writelane_b32 v80, s3, 22
	s_and_b64 s[2:3], s[6:7], s[22:23]
	v_writelane_b32 v80, s2, 23
	v_writelane_b32 v80, s3, 24
	s_and_b64 s[2:3], s[6:7], s[24:25]
	v_writelane_b32 v80, s2, 25
	v_writelane_b32 v80, s3, 26
	s_and_b64 s[2:3], s[6:7], s[26:27]
	v_writelane_b32 v80, s2, 27
	v_writelane_b32 v80, s3, 28
	s_and_b64 s[2:3], s[6:7], s[28:29]
	v_writelane_b32 v80, s2, 29
	v_writelane_b32 v80, s3, 30
	s_and_b64 s[2:3], s[6:7], s[30:31]
	v_writelane_b32 v80, s2, 31
	v_writelane_b32 v80, s3, 32
	s_and_b64 s[2:3], s[6:7], s[34:35]
	v_writelane_b32 v80, s2, 33
	v_writelane_b32 v80, s3, 34
	s_and_b64 s[2:3], s[8:9], vcc
	v_writelane_b32 v80, s2, 35
	v_writelane_b32 v80, s3, 36
	s_and_b64 s[2:3], s[8:9], s[20:21]
	v_writelane_b32 v80, s2, 37
	v_writelane_b32 v80, s3, 38
	s_and_b64 s[2:3], s[8:9], s[22:23]
	v_writelane_b32 v80, s2, 39
	v_writelane_b32 v80, s3, 40
	s_and_b64 s[2:3], s[8:9], s[24:25]
	v_writelane_b32 v80, s2, 41
	v_writelane_b32 v80, s3, 42
	s_and_b64 s[2:3], s[8:9], s[26:27]
	v_writelane_b32 v80, s2, 43
	v_writelane_b32 v80, s3, 44
	s_and_b64 s[2:3], s[8:9], s[28:29]
	v_writelane_b32 v80, s2, 45
	v_writelane_b32 v80, s3, 46
	s_and_b64 s[2:3], s[8:9], s[30:31]
	;; [unrolled: 24-line block ×3, first 2 shown]
                                        ; implicit-def: $vgpr79 : SGPR spill to VGPR lane
	v_writelane_b32 v80, s2, 63
	v_writelane_b32 v79, s3, 0
	s_and_b64 s[2:3], s[10:11], s[34:35]
	v_writelane_b32 v79, s2, 1
	v_writelane_b32 v79, s3, 2
	s_and_b64 s[2:3], s[12:13], vcc
	v_writelane_b32 v79, s2, 3
	v_writelane_b32 v79, s3, 4
	s_and_b64 s[2:3], s[12:13], s[20:21]
	v_writelane_b32 v79, s2, 5
	v_writelane_b32 v79, s3, 6
	s_and_b64 s[2:3], s[12:13], s[22:23]
	;; [unrolled: 3-line block ×7, first 2 shown]
	v_writelane_b32 v79, s2, 17
	v_writelane_b32 v79, s3, 18
	s_and_b64 s[2:3], s[14:15], vcc
	v_writelane_b32 v79, s2, 19
	v_writelane_b32 v79, s3, 20
	s_and_b64 s[2:3], s[14:15], s[20:21]
	v_writelane_b32 v79, s2, 21
	v_writelane_b32 v79, s3, 22
	s_and_b64 s[2:3], s[14:15], s[22:23]
	;; [unrolled: 3-line block ×7, first 2 shown]
	s_and_b64 s[82:83], s[16:17], vcc
	s_and_b64 s[84:85], s[16:17], s[20:21]
	s_and_b64 s[86:87], s[16:17], s[22:23]
	;; [unrolled: 1-line block ×7, first 2 shown]
	s_and_b64 s[94:95], s[18:19], vcc
	s_and_b64 s[20:21], s[18:19], s[20:21]
	s_and_b64 s[22:23], s[18:19], s[22:23]
	;; [unrolled: 1-line block ×7, first 2 shown]
	v_mad_u64_u32 v[8:9], s[2:3], s39, v20, 0
	v_mad_u64_u32 v[12:13], s[2:3], s39, v22, 0
	s_load_dwordx2 s[34:35], s[4:5], 0x20
	s_nop 0
	s_load_dwordx2 s[4:5], s[4:5], 0x40
	v_mad_u64_u32 v[2:3], s[2:3], s39, v18, 0
	v_mad_u64_u32 v[4:5], s[2:3], s39, v1, 0
	;; [unrolled: 1-line block ×6, first 2 shown]
	v_mov_b32_e32 v32, v9
	v_mov_b32_e32 v34, v13
	;; [unrolled: 1-line block ×5, first 2 shown]
	v_mad_u64_u32 v[32:33], s[2:3], s33, v20, v[32:33]
	v_mov_b32_e32 v20, v11
	v_mad_u64_u32 v[34:35], s[2:3], s33, v22, v[34:35]
	v_mov_b32_e32 v22, v15
	v_mov_b32_e32 v36, v17
	v_mad_u64_u32 v[26:27], s[2:3], s33, v18, v[26:27]
	v_mad_u64_u32 v[28:29], s[2:3], s33, v1, v[28:29]
	;; [unrolled: 1-line block ×6, first 2 shown]
	s_lshl_b32 s2, s36, 5
	s_waitcnt lgkmcnt(0)
	s_add_u32 s39, s4, 0x80
	s_addc_u32 s33, s5, 0
	s_add_u32 s52, s46, 0x100
	s_addc_u32 s53, s47, 0
	;; [unrolled: 2-line block ×4, first 2 shown]
	s_add_u32 s10, s4, 0x180
	v_mul_lo_u32 v36, v0, s36
	v_mul_lo_u32 v60, v18, s36
	s_addc_u32 s11, s5, 0
	v_add_u32_e32 v38, s2, v36
	v_add_u32_e32 v62, s2, v60
	s_add_u32 s58, s46, 0x300
	v_add_u32_e32 v40, s2, v38
	v_add_u32_e32 v64, s2, v62
	s_addc_u32 s59, s47, 0
	v_add_u32_e32 v42, s2, v40
	v_add_u32_e32 v66, s2, v64
	s_add_u32 s60, s4, 0x200
	v_add_u32_e32 v44, s2, v42
	v_add_u32_e32 v68, s2, v66
	;; [unrolled: 6-line block ×3, first 2 shown]
	s_addc_u32 s63, s47, 0
	v_add_u32_e32 v50, s2, v48
	v_add_u32_e32 v74, s2, v72
	s_add_u32 s2, s4, 0x280
	s_addc_u32 s3, s5, 0
	s_add_u32 s64, s46, 0x500
	s_addc_u32 s65, s47, 0
	;; [unrolled: 2-line block ×4, first 2 shown]
	s_add_u32 s12, s4, 0x380
	v_mov_b32_e32 v37, 0
	s_addc_u32 s13, s5, 0
	v_mov_b32_e32 v39, v37
	v_mov_b32_e32 v41, v37
	;; [unrolled: 1-line block ×15, first 2 shown]
	s_add_u32 s70, s46, 0x700
	v_mov_b32_e32 v1, v26
	v_mov_b32_e32 v3, v28
	;; [unrolled: 1-line block ×8, first 2 shown]
	v_lshlrev_b32_e32 v59, 3, v18
	v_lshlrev_b64 v[18:19], 3, v[60:61]
	v_lshlrev_b64 v[20:21], 3, v[62:63]
	;; [unrolled: 1-line block ×16, first 2 shown]
	s_addc_u32 s71, s47, 0
	s_movk_i32 s72, 0x100
	s_movk_i32 s73, 0x200
	;; [unrolled: 1-line block ×7, first 2 shown]
	s_mov_b64 s[40:41], s[48:49]
	s_branch .LBB181_21
.LBB181_20:                             ;   in Loop: Header=BB181_21 Depth=1
	s_or_b64 exec, exec, s[50:51]
	s_add_u32 s40, s40, 1
	s_addc_u32 s41, s41, 0
	v_pk_mov_b32 v[50:51], s[42:43], s[42:43] op_sel:[0,1]
	v_cmp_ge_i64_e32 vcc, s[40:41], v[50:51]
	s_cbranch_vccnz .LBB181_149
.LBB181_21:                             ; =>This Inner Loop Header: Depth=1
	s_lshl_b64 s[50:51], s[40:41], 2
	s_add_u32 s50, s34, s50
	s_addc_u32 s51, s35, s51
	s_load_dword s7, s[50:51], 0x0
	v_readlane_b32 s78, v80, 0
	s_mul_i32 s50, s41, s37
	s_mul_hi_u32 s51, s40, s37
	v_readlane_b32 vcc_lo, v80, 1
	s_waitcnt lgkmcnt(0)
	s_sub_i32 s7, s7, s78
	s_sub_u32 s78, s40, s48
	s_mul_i32 s81, s7, s36
	s_subb_u32 s80, s41, s49
	s_add_i32 s51, s51, s50
	s_mul_i32 s50, s40, s37
	s_add_i32 s81, s81, s38
	s_lshl_b64 s[50:51], s[50:51], 3
	v_readlane_b32 vcc_hi, v80, 2
	s_add_u32 s7, vcc_lo, s50
	s_addc_u32 s79, vcc_hi, s51
	v_add_co_u32_e32 v60, vcc, s78, v2
	v_pk_mov_b32 v[50:51], s[44:45], s[44:45] op_sel:[0,1]
	v_mov_b32_e32 v17, s80
	v_mad_u64_u32 v[50:51], s[50:51], v60, s36, v[50:51]
	v_addc_co_u32_e32 v17, vcc, v1, v17, vcc
	v_mov_b32_e32 v60, v51
	v_mad_u64_u32 v[60:61], s[50:51], v17, s36, v[60:61]
	v_mov_b32_e32 v17, v60
	v_mov_b32_e32 v51, s79
	v_add_co_u32_e32 v60, vcc, s7, v59
	v_addc_co_u32_e32 v61, vcc, 0, v51, vcc
	v_mov_b32_e32 v62, s79
	v_add_co_u32_e32 v51, vcc, s7, v18
	v_add_u32_e32 v63, s81, v0
	v_addc_co_u32_e32 v71, vcc, v62, v19, vcc
	v_lshlrev_b32_e32 v62, 3, v0
	s_mov_b64 s[50:51], exec
	v_readlane_b32 vcc_lo, v80, 3
	v_readlane_b32 vcc_hi, v80, 4
	s_and_b64 vcc, s[50:51], vcc
	s_mov_b64 exec, vcc
	s_cbranch_execz .LBB181_23
; %bb.22:                               ;   in Loop: Header=BB181_21 Depth=1
	v_add_co_u32_e32 v64, vcc, v51, v62
	v_addc_co_u32_e32 v65, vcc, 0, v71, vcc
	v_add_co_u32_e32 v66, vcc, v60, v34
	v_addc_co_u32_e32 v67, vcc, v61, v35, vcc
	v_cndmask_b32_e64 v65, v67, v65, s[0:1]
	v_cndmask_b32_e64 v64, v66, v64, s[0:1]
	global_load_dwordx2 v[64:65], v[64:65], off
	v_add_co_u32_e32 v66, vcc, v50, v0
	v_addc_co_u32_e32 v67, vcc, 0, v17, vcc
	v_lshlrev_b64 v[68:69], 2, v[66:67]
	v_mov_b32_e32 v70, s5
	v_add_co_u32_e32 v68, vcc, s4, v68
	v_addc_co_u32_e32 v69, vcc, v70, v69, vcc
	v_lshlrev_b64 v[66:67], 3, v[66:67]
	global_store_dword v[68:69], v63, off
	v_mov_b32_e32 v68, s47
	v_add_co_u32_e32 v66, vcc, s46, v66
	v_addc_co_u32_e32 v67, vcc, v68, v67, vcc
	s_waitcnt vmcnt(1)
	global_store_dwordx2 v[66:67], v[64:65], off
.LBB181_23:                             ;   in Loop: Header=BB181_21 Depth=1
	s_or_b64 exec, exec, s[50:51]
	v_add_u32_e32 v69, s81, v52
	s_mov_b64 s[50:51], exec
	v_readlane_b32 vcc_lo, v80, 5
	v_readlane_b32 vcc_hi, v80, 6
	s_and_b64 vcc, s[50:51], vcc
	s_mov_b64 exec, vcc
	s_cbranch_execz .LBB181_25
; %bb.24:                               ;   in Loop: Header=BB181_21 Depth=1
	v_add_co_u32_e32 v64, vcc, v51, v62
	v_addc_co_u32_e32 v65, vcc, 0, v71, vcc
	v_add_co_u32_e32 v64, vcc, s72, v64
	v_addc_co_u32_e32 v65, vcc, 0, v65, vcc
	v_add_co_u32_e32 v66, vcc, v60, v36
	v_addc_co_u32_e32 v67, vcc, v61, v37, vcc
	v_cndmask_b32_e64 v65, v67, v65, s[0:1]
	v_cndmask_b32_e64 v64, v66, v64, s[0:1]
	global_load_dwordx2 v[64:65], v[64:65], off
	v_add_co_u32_e32 v66, vcc, v50, v0
	v_addc_co_u32_e32 v67, vcc, 0, v17, vcc
	v_lshlrev_b64 v[72:73], 2, v[66:67]
	v_mov_b32_e32 v68, s33
	v_add_co_u32_e32 v72, vcc, s39, v72
	v_addc_co_u32_e32 v73, vcc, v68, v73, vcc
	v_lshlrev_b64 v[66:67], 3, v[66:67]
	v_mov_b32_e32 v68, s53
	v_add_co_u32_e32 v66, vcc, s52, v66
	v_addc_co_u32_e32 v67, vcc, v68, v67, vcc
	global_store_dword v[72:73], v69, off
	s_waitcnt vmcnt(1)
	global_store_dwordx2 v[66:67], v[64:65], off
.LBB181_25:                             ;   in Loop: Header=BB181_21 Depth=1
	s_or_b64 exec, exec, s[50:51]
	v_add_u32_e32 v68, s81, v53
	s_mov_b64 s[50:51], exec
	v_readlane_b32 vcc_lo, v80, 7
	v_readlane_b32 vcc_hi, v80, 8
	s_and_b64 vcc, s[50:51], vcc
	s_mov_b64 exec, vcc
	s_cbranch_execz .LBB181_27
; %bb.26:                               ;   in Loop: Header=BB181_21 Depth=1
	v_add_co_u32_e32 v64, vcc, v51, v62
	v_addc_co_u32_e32 v65, vcc, 0, v71, vcc
	v_add_co_u32_e32 v64, vcc, s73, v64
	v_addc_co_u32_e32 v65, vcc, 0, v65, vcc
	v_add_co_u32_e32 v66, vcc, v60, v38
	v_addc_co_u32_e32 v67, vcc, v61, v39, vcc
	v_cndmask_b32_e64 v65, v67, v65, s[0:1]
	v_cndmask_b32_e64 v64, v66, v64, s[0:1]
	global_load_dwordx2 v[64:65], v[64:65], off
	v_add_co_u32_e32 v66, vcc, v50, v0
	v_addc_co_u32_e32 v67, vcc, 0, v17, vcc
	v_lshlrev_b64 v[72:73], 2, v[66:67]
	v_mov_b32_e32 v70, s55
	v_add_co_u32_e32 v72, vcc, s54, v72
	v_addc_co_u32_e32 v73, vcc, v70, v73, vcc
	v_lshlrev_b64 v[66:67], 3, v[66:67]
	v_mov_b32_e32 v70, s57
	v_add_co_u32_e32 v66, vcc, s56, v66
	v_addc_co_u32_e32 v67, vcc, v70, v67, vcc
	global_store_dword v[72:73], v68, off
	s_waitcnt vmcnt(1)
	global_store_dwordx2 v[66:67], v[64:65], off
.LBB181_27:                             ;   in Loop: Header=BB181_21 Depth=1
	;; [unrolled: 32-line block ×7, first 2 shown]
	s_or_b64 exec, exec, s[50:51]
	v_add_co_u32_e32 v71, vcc, s78, v4
	v_pk_mov_b32 v[50:51], s[44:45], s[44:45] op_sel:[0,1]
	v_mov_b32_e32 v17, s80
	v_mad_u64_u32 v[50:51], s[50:51], v71, s36, v[50:51]
	v_addc_co_u32_e32 v17, vcc, v3, v17, vcc
	v_mov_b32_e32 v72, v51
	v_mad_u64_u32 v[72:73], s[50:51], v17, s36, v[72:73]
	v_mov_b32_e32 v71, s79
	v_add_co_u32_e32 v51, vcc, s7, v20
	v_mov_b32_e32 v17, v72
	v_addc_co_u32_e32 v71, vcc, v71, v21, vcc
	s_mov_b64 s[50:51], exec
	v_readlane_b32 vcc_lo, v80, 19
	v_readlane_b32 vcc_hi, v80, 20
	s_and_b64 vcc, s[50:51], vcc
	s_mov_b64 exec, vcc
	s_cbranch_execz .LBB181_39
; %bb.38:                               ;   in Loop: Header=BB181_21 Depth=1
	v_add_co_u32_e32 v72, vcc, v51, v62
	v_addc_co_u32_e32 v73, vcc, 0, v71, vcc
	v_add_co_u32_e32 v74, vcc, v60, v34
	v_addc_co_u32_e32 v75, vcc, v61, v35, vcc
	;; [unrolled: 2-line block ×3, first 2 shown]
	v_cndmask_b32_e64 v73, v75, v73, s[0:1]
	v_cndmask_b32_e64 v72, v74, v72, s[0:1]
	global_load_dwordx2 v[72:73], v[72:73], off
	v_add_co_u32_e32 v74, vcc, v50, v0
	v_addc_co_u32_e32 v75, vcc, 0, v17, vcc
	v_lshlrev_b64 v[76:77], 2, v[74:75]
	v_mov_b32_e32 v78, s5
	v_add_co_u32_e32 v76, vcc, s4, v76
	v_addc_co_u32_e32 v77, vcc, v78, v77, vcc
	v_lshlrev_b64 v[74:75], 3, v[74:75]
	global_store_dword v[76:77], v63, off
	v_mov_b32_e32 v76, s47
	v_add_co_u32_e32 v74, vcc, s46, v74
	v_addc_co_u32_e32 v75, vcc, v76, v75, vcc
	s_waitcnt vmcnt(1)
	global_store_dwordx2 v[74:75], v[72:73], off
.LBB181_39:                             ;   in Loop: Header=BB181_21 Depth=1
	s_or_b64 exec, exec, s[50:51]
	s_mov_b64 s[50:51], exec
	v_readlane_b32 vcc_lo, v80, 21
	v_readlane_b32 vcc_hi, v80, 22
	s_and_b64 vcc, s[50:51], vcc
	s_mov_b64 exec, vcc
	s_cbranch_execz .LBB181_41
; %bb.40:                               ;   in Loop: Header=BB181_21 Depth=1
	v_add_co_u32_e32 v72, vcc, v51, v62
	v_addc_co_u32_e32 v73, vcc, 0, v71, vcc
	v_add_co_u32_e32 v74, vcc, v60, v36
	v_addc_co_u32_e32 v75, vcc, v61, v37, vcc
	v_cndmask_b32_e64 v73, v75, v73, s[0:1]
	v_cndmask_b32_e64 v72, v74, v72, s[0:1]
	global_load_dwordx2 v[72:73], v[72:73], off offset:256
	v_add_co_u32_e32 v74, vcc, v50, v0
	v_addc_co_u32_e32 v75, vcc, 0, v17, vcc
	v_lshlrev_b64 v[76:77], 2, v[74:75]
	v_mov_b32_e32 v78, s33
	v_add_co_u32_e32 v76, vcc, s39, v76
	v_addc_co_u32_e32 v77, vcc, v78, v77, vcc
	v_lshlrev_b64 v[74:75], 3, v[74:75]
	global_store_dword v[76:77], v69, off
	v_mov_b32_e32 v76, s53
	v_add_co_u32_e32 v74, vcc, s52, v74
	v_addc_co_u32_e32 v75, vcc, v76, v75, vcc
	s_waitcnt vmcnt(1)
	global_store_dwordx2 v[74:75], v[72:73], off
.LBB181_41:                             ;   in Loop: Header=BB181_21 Depth=1
	s_or_b64 exec, exec, s[50:51]
	s_mov_b64 s[50:51], exec
	v_readlane_b32 vcc_lo, v80, 23
	v_readlane_b32 vcc_hi, v80, 24
	s_and_b64 vcc, s[50:51], vcc
	s_mov_b64 exec, vcc
	s_cbranch_execz .LBB181_43
; %bb.42:                               ;   in Loop: Header=BB181_21 Depth=1
	v_add_co_u32_e32 v72, vcc, v51, v62
	v_addc_co_u32_e32 v73, vcc, 0, v71, vcc
	v_add_co_u32_e32 v72, vcc, s73, v72
	v_addc_co_u32_e32 v73, vcc, 0, v73, vcc
	v_add_co_u32_e32 v74, vcc, v60, v38
	v_addc_co_u32_e32 v75, vcc, v61, v39, vcc
	v_add_co_u32_e32 v74, vcc, 0x100, v74
	v_addc_co_u32_e32 v75, vcc, 0, v75, vcc
	v_cndmask_b32_e64 v73, v75, v73, s[0:1]
	v_cndmask_b32_e64 v72, v74, v72, s[0:1]
	global_load_dwordx2 v[72:73], v[72:73], off
	v_add_co_u32_e32 v74, vcc, v50, v0
	v_addc_co_u32_e32 v75, vcc, 0, v17, vcc
	v_lshlrev_b64 v[76:77], 2, v[74:75]
	v_mov_b32_e32 v78, s55
	v_add_co_u32_e32 v76, vcc, s54, v76
	v_addc_co_u32_e32 v77, vcc, v78, v77, vcc
	v_lshlrev_b64 v[74:75], 3, v[74:75]
	global_store_dword v[76:77], v68, off
	v_mov_b32_e32 v76, s57
	v_add_co_u32_e32 v74, vcc, s56, v74
	v_addc_co_u32_e32 v75, vcc, v76, v75, vcc
	s_waitcnt vmcnt(1)
	global_store_dwordx2 v[74:75], v[72:73], off
.LBB181_43:                             ;   in Loop: Header=BB181_21 Depth=1
	s_or_b64 exec, exec, s[50:51]
	s_mov_b64 s[50:51], exec
	v_readlane_b32 vcc_lo, v80, 25
	v_readlane_b32 vcc_hi, v80, 26
	s_and_b64 vcc, s[50:51], vcc
	s_mov_b64 exec, vcc
	s_cbranch_execz .LBB181_45
; %bb.44:                               ;   in Loop: Header=BB181_21 Depth=1
	v_add_co_u32_e32 v72, vcc, v51, v62
	v_addc_co_u32_e32 v73, vcc, 0, v71, vcc
	v_add_co_u32_e32 v72, vcc, s74, v72
	v_addc_co_u32_e32 v73, vcc, 0, v73, vcc
	v_add_co_u32_e32 v74, vcc, v60, v40
	v_addc_co_u32_e32 v75, vcc, v61, v41, vcc
	v_add_co_u32_e32 v74, vcc, 0x100, v74
	v_addc_co_u32_e32 v75, vcc, 0, v75, vcc
	v_cndmask_b32_e64 v73, v75, v73, s[0:1]
	v_cndmask_b32_e64 v72, v74, v72, s[0:1]
	global_load_dwordx2 v[72:73], v[72:73], off
	v_add_co_u32_e32 v74, vcc, v50, v0
	v_addc_co_u32_e32 v75, vcc, 0, v17, vcc
	v_lshlrev_b64 v[76:77], 2, v[74:75]
	v_mov_b32_e32 v78, s11
	v_add_co_u32_e32 v76, vcc, s10, v76
	v_addc_co_u32_e32 v77, vcc, v78, v77, vcc
	v_lshlrev_b64 v[74:75], 3, v[74:75]
	global_store_dword v[76:77], v67, off
	v_mov_b32_e32 v76, s59
	v_add_co_u32_e32 v74, vcc, s58, v74
	v_addc_co_u32_e32 v75, vcc, v76, v75, vcc
	s_waitcnt vmcnt(1)
	global_store_dwordx2 v[74:75], v[72:73], off
.LBB181_45:                             ;   in Loop: Header=BB181_21 Depth=1
	;; [unrolled: 33-line block ×5, first 2 shown]
	s_or_b64 exec, exec, s[50:51]
	s_mov_b64 s[50:51], exec
	v_readlane_b32 vcc_lo, v80, 33
	v_readlane_b32 vcc_hi, v80, 34
	s_and_b64 vcc, s[50:51], vcc
	s_mov_b64 exec, vcc
	s_cbranch_execz .LBB181_53
; %bb.52:                               ;   in Loop: Header=BB181_21 Depth=1
	v_add_co_u32_e32 v51, vcc, v51, v62
	v_addc_co_u32_e32 v71, vcc, 0, v71, vcc
	v_add_co_u32_e32 v51, vcc, s6, v51
	v_addc_co_u32_e32 v71, vcc, 0, v71, vcc
	v_add_co_u32_e32 v72, vcc, v60, v48
	v_addc_co_u32_e32 v73, vcc, v61, v49, vcc
	v_add_co_u32_e32 v72, vcc, 0x100, v72
	v_addc_co_u32_e32 v73, vcc, 0, v73, vcc
	v_cndmask_b32_e64 v73, v73, v71, s[0:1]
	v_cndmask_b32_e64 v72, v72, v51, s[0:1]
	global_load_dwordx2 v[72:73], v[72:73], off
	v_add_co_u32_e32 v50, vcc, v50, v0
	v_addc_co_u32_e32 v51, vcc, 0, v17, vcc
	v_lshlrev_b64 v[74:75], 2, v[50:51]
	v_mov_b32_e32 v17, s13
	v_add_co_u32_e32 v74, vcc, s12, v74
	v_addc_co_u32_e32 v75, vcc, v17, v75, vcc
	v_lshlrev_b64 v[50:51], 3, v[50:51]
	v_mov_b32_e32 v17, s71
	v_add_co_u32_e32 v50, vcc, s70, v50
	v_addc_co_u32_e32 v51, vcc, v17, v51, vcc
	global_store_dword v[74:75], v70, off
	s_waitcnt vmcnt(1)
	global_store_dwordx2 v[50:51], v[72:73], off
.LBB181_53:                             ;   in Loop: Header=BB181_21 Depth=1
	s_or_b64 exec, exec, s[50:51]
	v_add_co_u32_e32 v71, vcc, s78, v6
	v_pk_mov_b32 v[50:51], s[44:45], s[44:45] op_sel:[0,1]
	v_mov_b32_e32 v17, s80
	v_mad_u64_u32 v[50:51], s[50:51], v71, s36, v[50:51]
	v_addc_co_u32_e32 v17, vcc, v5, v17, vcc
	v_mov_b32_e32 v72, v51
	v_mad_u64_u32 v[72:73], s[50:51], v17, s36, v[72:73]
	v_mov_b32_e32 v71, s79
	v_add_co_u32_e32 v51, vcc, s7, v22
	v_mov_b32_e32 v17, v72
	v_addc_co_u32_e32 v71, vcc, v71, v23, vcc
	s_mov_b64 s[50:51], exec
	v_readlane_b32 vcc_lo, v80, 35
	v_readlane_b32 vcc_hi, v80, 36
	s_and_b64 vcc, s[50:51], vcc
	s_mov_b64 exec, vcc
	s_cbranch_execz .LBB181_55
; %bb.54:                               ;   in Loop: Header=BB181_21 Depth=1
	v_add_co_u32_e32 v72, vcc, v51, v62
	v_addc_co_u32_e32 v73, vcc, 0, v71, vcc
	v_add_co_u32_e32 v74, vcc, v60, v34
	v_addc_co_u32_e32 v75, vcc, v61, v35, vcc
	v_add_co_u32_e32 v74, vcc, 0x200, v74
	v_addc_co_u32_e32 v75, vcc, 0, v75, vcc
	v_cndmask_b32_e64 v73, v75, v73, s[0:1]
	v_cndmask_b32_e64 v72, v74, v72, s[0:1]
	global_load_dwordx2 v[72:73], v[72:73], off
	v_add_co_u32_e32 v74, vcc, v50, v0
	v_addc_co_u32_e32 v75, vcc, 0, v17, vcc
	v_lshlrev_b64 v[76:77], 2, v[74:75]
	v_mov_b32_e32 v78, s5
	v_add_co_u32_e32 v76, vcc, s4, v76
	v_addc_co_u32_e32 v77, vcc, v78, v77, vcc
	v_lshlrev_b64 v[74:75], 3, v[74:75]
	global_store_dword v[76:77], v63, off
	v_mov_b32_e32 v76, s47
	v_add_co_u32_e32 v74, vcc, s46, v74
	v_addc_co_u32_e32 v75, vcc, v76, v75, vcc
	s_waitcnt vmcnt(1)
	global_store_dwordx2 v[74:75], v[72:73], off
.LBB181_55:                             ;   in Loop: Header=BB181_21 Depth=1
	s_or_b64 exec, exec, s[50:51]
	s_mov_b64 s[50:51], exec
	v_readlane_b32 vcc_lo, v80, 37
	v_readlane_b32 vcc_hi, v80, 38
	s_and_b64 vcc, s[50:51], vcc
	s_mov_b64 exec, vcc
	s_cbranch_execz .LBB181_57
; %bb.56:                               ;   in Loop: Header=BB181_21 Depth=1
	v_add_co_u32_e32 v72, vcc, v51, v62
	v_addc_co_u32_e32 v73, vcc, 0, v71, vcc
	v_add_co_u32_e32 v72, vcc, s72, v72
	v_addc_co_u32_e32 v73, vcc, 0, v73, vcc
	;; [unrolled: 2-line block ×4, first 2 shown]
	v_cndmask_b32_e64 v73, v75, v73, s[0:1]
	v_cndmask_b32_e64 v72, v74, v72, s[0:1]
	global_load_dwordx2 v[72:73], v[72:73], off
	v_add_co_u32_e32 v74, vcc, v50, v0
	v_addc_co_u32_e32 v75, vcc, 0, v17, vcc
	v_lshlrev_b64 v[76:77], 2, v[74:75]
	v_mov_b32_e32 v78, s33
	v_add_co_u32_e32 v76, vcc, s39, v76
	v_addc_co_u32_e32 v77, vcc, v78, v77, vcc
	v_lshlrev_b64 v[74:75], 3, v[74:75]
	global_store_dword v[76:77], v69, off
	v_mov_b32_e32 v76, s53
	v_add_co_u32_e32 v74, vcc, s52, v74
	v_addc_co_u32_e32 v75, vcc, v76, v75, vcc
	s_waitcnt vmcnt(1)
	global_store_dwordx2 v[74:75], v[72:73], off
.LBB181_57:                             ;   in Loop: Header=BB181_21 Depth=1
	s_or_b64 exec, exec, s[50:51]
	s_mov_b64 s[50:51], exec
	v_readlane_b32 vcc_lo, v80, 39
	v_readlane_b32 vcc_hi, v80, 40
	s_and_b64 vcc, s[50:51], vcc
	s_mov_b64 exec, vcc
	s_cbranch_execz .LBB181_59
; %bb.58:                               ;   in Loop: Header=BB181_21 Depth=1
	v_add_co_u32_e32 v72, vcc, v51, v62
	v_addc_co_u32_e32 v73, vcc, 0, v71, vcc
	v_add_co_u32_e32 v74, vcc, v60, v38
	v_addc_co_u32_e32 v75, vcc, v61, v39, vcc
	v_cndmask_b32_e64 v73, v75, v73, s[0:1]
	v_cndmask_b32_e64 v72, v74, v72, s[0:1]
	global_load_dwordx2 v[72:73], v[72:73], off offset:512
	v_add_co_u32_e32 v74, vcc, v50, v0
	v_addc_co_u32_e32 v75, vcc, 0, v17, vcc
	v_lshlrev_b64 v[76:77], 2, v[74:75]
	v_mov_b32_e32 v78, s55
	v_add_co_u32_e32 v76, vcc, s54, v76
	v_addc_co_u32_e32 v77, vcc, v78, v77, vcc
	v_lshlrev_b64 v[74:75], 3, v[74:75]
	global_store_dword v[76:77], v68, off
	v_mov_b32_e32 v76, s57
	v_add_co_u32_e32 v74, vcc, s56, v74
	v_addc_co_u32_e32 v75, vcc, v76, v75, vcc
	s_waitcnt vmcnt(1)
	global_store_dwordx2 v[74:75], v[72:73], off
.LBB181_59:                             ;   in Loop: Header=BB181_21 Depth=1
	s_or_b64 exec, exec, s[50:51]
	s_mov_b64 s[50:51], exec
	v_readlane_b32 vcc_lo, v80, 41
	v_readlane_b32 vcc_hi, v80, 42
	s_and_b64 vcc, s[50:51], vcc
	s_mov_b64 exec, vcc
	s_cbranch_execz .LBB181_61
; %bb.60:                               ;   in Loop: Header=BB181_21 Depth=1
	v_add_co_u32_e32 v72, vcc, v51, v62
	v_addc_co_u32_e32 v73, vcc, 0, v71, vcc
	v_add_co_u32_e32 v72, vcc, s74, v72
	v_addc_co_u32_e32 v73, vcc, 0, v73, vcc
	v_add_co_u32_e32 v74, vcc, v60, v40
	v_addc_co_u32_e32 v75, vcc, v61, v41, vcc
	v_add_co_u32_e32 v74, vcc, 0x200, v74
	v_addc_co_u32_e32 v75, vcc, 0, v75, vcc
	v_cndmask_b32_e64 v73, v75, v73, s[0:1]
	v_cndmask_b32_e64 v72, v74, v72, s[0:1]
	global_load_dwordx2 v[72:73], v[72:73], off
	v_add_co_u32_e32 v74, vcc, v50, v0
	v_addc_co_u32_e32 v75, vcc, 0, v17, vcc
	v_lshlrev_b64 v[76:77], 2, v[74:75]
	v_mov_b32_e32 v78, s11
	v_add_co_u32_e32 v76, vcc, s10, v76
	v_addc_co_u32_e32 v77, vcc, v78, v77, vcc
	v_lshlrev_b64 v[74:75], 3, v[74:75]
	global_store_dword v[76:77], v67, off
	v_mov_b32_e32 v76, s59
	v_add_co_u32_e32 v74, vcc, s58, v74
	v_addc_co_u32_e32 v75, vcc, v76, v75, vcc
	s_waitcnt vmcnt(1)
	global_store_dwordx2 v[74:75], v[72:73], off
.LBB181_61:                             ;   in Loop: Header=BB181_21 Depth=1
	s_or_b64 exec, exec, s[50:51]
	s_mov_b64 s[50:51], exec
	v_readlane_b32 vcc_lo, v80, 43
	v_readlane_b32 vcc_hi, v80, 44
	s_and_b64 vcc, s[50:51], vcc
	s_mov_b64 exec, vcc
	s_cbranch_execz .LBB181_63
; %bb.62:                               ;   in Loop: Header=BB181_21 Depth=1
	v_add_co_u32_e32 v72, vcc, v51, v62
	v_addc_co_u32_e32 v73, vcc, 0, v71, vcc
	v_add_co_u32_e32 v72, vcc, s75, v72
	v_addc_co_u32_e32 v73, vcc, 0, v73, vcc
	v_add_co_u32_e32 v74, vcc, v60, v42
	v_addc_co_u32_e32 v75, vcc, v61, v43, vcc
	v_add_co_u32_e32 v74, vcc, 0x200, v74
	v_addc_co_u32_e32 v75, vcc, 0, v75, vcc
	v_cndmask_b32_e64 v73, v75, v73, s[0:1]
	v_cndmask_b32_e64 v72, v74, v72, s[0:1]
	global_load_dwordx2 v[72:73], v[72:73], off
	v_add_co_u32_e32 v74, vcc, v50, v0
	v_addc_co_u32_e32 v75, vcc, 0, v17, vcc
	v_lshlrev_b64 v[76:77], 2, v[74:75]
	v_mov_b32_e32 v78, s61
	v_add_co_u32_e32 v76, vcc, s60, v76
	v_addc_co_u32_e32 v77, vcc, v78, v77, vcc
	v_lshlrev_b64 v[74:75], 3, v[74:75]
	global_store_dword v[76:77], v66, off
	v_mov_b32_e32 v76, s63
	v_add_co_u32_e32 v74, vcc, s62, v74
	v_addc_co_u32_e32 v75, vcc, v76, v75, vcc
	s_waitcnt vmcnt(1)
	global_store_dwordx2 v[74:75], v[72:73], off
.LBB181_63:                             ;   in Loop: Header=BB181_21 Depth=1
	;; [unrolled: 33-line block ×4, first 2 shown]
	s_or_b64 exec, exec, s[50:51]
	s_mov_b64 s[50:51], exec
	v_readlane_b32 vcc_lo, v80, 49
	v_readlane_b32 vcc_hi, v80, 50
	s_and_b64 vcc, s[50:51], vcc
	s_mov_b64 exec, vcc
	s_cbranch_execz .LBB181_69
; %bb.68:                               ;   in Loop: Header=BB181_21 Depth=1
	v_add_co_u32_e32 v51, vcc, v51, v62
	v_addc_co_u32_e32 v71, vcc, 0, v71, vcc
	v_add_co_u32_e32 v51, vcc, s6, v51
	v_addc_co_u32_e32 v71, vcc, 0, v71, vcc
	;; [unrolled: 2-line block ×4, first 2 shown]
	v_cndmask_b32_e64 v73, v73, v71, s[0:1]
	v_cndmask_b32_e64 v72, v72, v51, s[0:1]
	global_load_dwordx2 v[72:73], v[72:73], off
	v_add_co_u32_e32 v50, vcc, v50, v0
	v_addc_co_u32_e32 v51, vcc, 0, v17, vcc
	v_lshlrev_b64 v[74:75], 2, v[50:51]
	v_mov_b32_e32 v17, s13
	v_add_co_u32_e32 v74, vcc, s12, v74
	v_addc_co_u32_e32 v75, vcc, v17, v75, vcc
	v_lshlrev_b64 v[50:51], 3, v[50:51]
	v_mov_b32_e32 v17, s71
	v_add_co_u32_e32 v50, vcc, s70, v50
	v_addc_co_u32_e32 v51, vcc, v17, v51, vcc
	global_store_dword v[74:75], v70, off
	s_waitcnt vmcnt(1)
	global_store_dwordx2 v[50:51], v[72:73], off
.LBB181_69:                             ;   in Loop: Header=BB181_21 Depth=1
	s_or_b64 exec, exec, s[50:51]
	v_add_co_u32_e32 v71, vcc, s78, v8
	v_pk_mov_b32 v[50:51], s[44:45], s[44:45] op_sel:[0,1]
	v_mov_b32_e32 v17, s80
	v_mad_u64_u32 v[50:51], s[50:51], v71, s36, v[50:51]
	v_addc_co_u32_e32 v17, vcc, v7, v17, vcc
	v_mov_b32_e32 v72, v51
	v_mad_u64_u32 v[72:73], s[50:51], v17, s36, v[72:73]
	v_mov_b32_e32 v71, s79
	v_add_co_u32_e32 v51, vcc, s7, v24
	v_mov_b32_e32 v17, v72
	v_addc_co_u32_e32 v71, vcc, v71, v25, vcc
	s_mov_b64 s[50:51], exec
	v_readlane_b32 vcc_lo, v80, 51
	v_readlane_b32 vcc_hi, v80, 52
	s_and_b64 vcc, s[50:51], vcc
	s_mov_b64 exec, vcc
	s_cbranch_execz .LBB181_71
; %bb.70:                               ;   in Loop: Header=BB181_21 Depth=1
	v_add_co_u32_e32 v72, vcc, v51, v62
	v_addc_co_u32_e32 v73, vcc, 0, v71, vcc
	v_add_co_u32_e32 v74, vcc, v60, v34
	v_addc_co_u32_e32 v75, vcc, v61, v35, vcc
	;; [unrolled: 2-line block ×3, first 2 shown]
	v_cndmask_b32_e64 v73, v75, v73, s[0:1]
	v_cndmask_b32_e64 v72, v74, v72, s[0:1]
	global_load_dwordx2 v[72:73], v[72:73], off
	v_add_co_u32_e32 v74, vcc, v50, v0
	v_addc_co_u32_e32 v75, vcc, 0, v17, vcc
	v_lshlrev_b64 v[76:77], 2, v[74:75]
	v_mov_b32_e32 v78, s5
	v_add_co_u32_e32 v76, vcc, s4, v76
	v_addc_co_u32_e32 v77, vcc, v78, v77, vcc
	v_lshlrev_b64 v[74:75], 3, v[74:75]
	global_store_dword v[76:77], v63, off
	v_mov_b32_e32 v76, s47
	v_add_co_u32_e32 v74, vcc, s46, v74
	v_addc_co_u32_e32 v75, vcc, v76, v75, vcc
	s_waitcnt vmcnt(1)
	global_store_dwordx2 v[74:75], v[72:73], off
.LBB181_71:                             ;   in Loop: Header=BB181_21 Depth=1
	s_or_b64 exec, exec, s[50:51]
	s_mov_b64 s[50:51], exec
	v_readlane_b32 vcc_lo, v80, 53
	v_readlane_b32 vcc_hi, v80, 54
	s_and_b64 vcc, s[50:51], vcc
	s_mov_b64 exec, vcc
	s_cbranch_execz .LBB181_73
; %bb.72:                               ;   in Loop: Header=BB181_21 Depth=1
	v_add_co_u32_e32 v72, vcc, v51, v62
	v_addc_co_u32_e32 v73, vcc, 0, v71, vcc
	v_add_co_u32_e32 v72, vcc, s72, v72
	v_addc_co_u32_e32 v73, vcc, 0, v73, vcc
	;; [unrolled: 2-line block ×4, first 2 shown]
	v_cndmask_b32_e64 v73, v75, v73, s[0:1]
	v_cndmask_b32_e64 v72, v74, v72, s[0:1]
	global_load_dwordx2 v[72:73], v[72:73], off
	v_add_co_u32_e32 v74, vcc, v50, v0
	v_addc_co_u32_e32 v75, vcc, 0, v17, vcc
	v_lshlrev_b64 v[76:77], 2, v[74:75]
	v_mov_b32_e32 v78, s33
	v_add_co_u32_e32 v76, vcc, s39, v76
	v_addc_co_u32_e32 v77, vcc, v78, v77, vcc
	v_lshlrev_b64 v[74:75], 3, v[74:75]
	global_store_dword v[76:77], v69, off
	v_mov_b32_e32 v76, s53
	v_add_co_u32_e32 v74, vcc, s52, v74
	v_addc_co_u32_e32 v75, vcc, v76, v75, vcc
	s_waitcnt vmcnt(1)
	global_store_dwordx2 v[74:75], v[72:73], off
.LBB181_73:                             ;   in Loop: Header=BB181_21 Depth=1
	s_or_b64 exec, exec, s[50:51]
	s_mov_b64 s[50:51], exec
	v_readlane_b32 vcc_lo, v80, 55
	v_readlane_b32 vcc_hi, v80, 56
	s_and_b64 vcc, s[50:51], vcc
	s_mov_b64 exec, vcc
	s_cbranch_execz .LBB181_75
; %bb.74:                               ;   in Loop: Header=BB181_21 Depth=1
	v_add_co_u32_e32 v72, vcc, v51, v62
	v_addc_co_u32_e32 v73, vcc, 0, v71, vcc
	v_add_co_u32_e32 v72, vcc, s73, v72
	v_addc_co_u32_e32 v73, vcc, 0, v73, vcc
	;; [unrolled: 2-line block ×4, first 2 shown]
	v_cndmask_b32_e64 v73, v75, v73, s[0:1]
	v_cndmask_b32_e64 v72, v74, v72, s[0:1]
	global_load_dwordx2 v[72:73], v[72:73], off
	v_add_co_u32_e32 v74, vcc, v50, v0
	v_addc_co_u32_e32 v75, vcc, 0, v17, vcc
	v_lshlrev_b64 v[76:77], 2, v[74:75]
	v_mov_b32_e32 v78, s55
	v_add_co_u32_e32 v76, vcc, s54, v76
	v_addc_co_u32_e32 v77, vcc, v78, v77, vcc
	v_lshlrev_b64 v[74:75], 3, v[74:75]
	global_store_dword v[76:77], v68, off
	v_mov_b32_e32 v76, s57
	v_add_co_u32_e32 v74, vcc, s56, v74
	v_addc_co_u32_e32 v75, vcc, v76, v75, vcc
	s_waitcnt vmcnt(1)
	global_store_dwordx2 v[74:75], v[72:73], off
.LBB181_75:                             ;   in Loop: Header=BB181_21 Depth=1
	s_or_b64 exec, exec, s[50:51]
	s_mov_b64 s[50:51], exec
	v_readlane_b32 vcc_lo, v80, 57
	v_readlane_b32 vcc_hi, v80, 58
	s_and_b64 vcc, s[50:51], vcc
	s_mov_b64 exec, vcc
	s_cbranch_execz .LBB181_77
; %bb.76:                               ;   in Loop: Header=BB181_21 Depth=1
	v_add_co_u32_e32 v72, vcc, v51, v62
	v_addc_co_u32_e32 v73, vcc, 0, v71, vcc
	v_add_co_u32_e32 v74, vcc, v60, v40
	v_addc_co_u32_e32 v75, vcc, v61, v41, vcc
	v_cndmask_b32_e64 v73, v75, v73, s[0:1]
	v_cndmask_b32_e64 v72, v74, v72, s[0:1]
	global_load_dwordx2 v[72:73], v[72:73], off offset:768
	v_add_co_u32_e32 v74, vcc, v50, v0
	v_addc_co_u32_e32 v75, vcc, 0, v17, vcc
	v_lshlrev_b64 v[76:77], 2, v[74:75]
	v_mov_b32_e32 v78, s11
	v_add_co_u32_e32 v76, vcc, s10, v76
	v_addc_co_u32_e32 v77, vcc, v78, v77, vcc
	v_lshlrev_b64 v[74:75], 3, v[74:75]
	global_store_dword v[76:77], v67, off
	v_mov_b32_e32 v76, s59
	v_add_co_u32_e32 v74, vcc, s58, v74
	v_addc_co_u32_e32 v75, vcc, v76, v75, vcc
	s_waitcnt vmcnt(1)
	global_store_dwordx2 v[74:75], v[72:73], off
.LBB181_77:                             ;   in Loop: Header=BB181_21 Depth=1
	s_or_b64 exec, exec, s[50:51]
	s_mov_b64 s[50:51], exec
	v_readlane_b32 vcc_lo, v80, 59
	v_readlane_b32 vcc_hi, v80, 60
	s_and_b64 vcc, s[50:51], vcc
	s_mov_b64 exec, vcc
	s_cbranch_execz .LBB181_79
; %bb.78:                               ;   in Loop: Header=BB181_21 Depth=1
	v_add_co_u32_e32 v72, vcc, v51, v62
	v_addc_co_u32_e32 v73, vcc, 0, v71, vcc
	v_add_co_u32_e32 v72, vcc, s75, v72
	v_addc_co_u32_e32 v73, vcc, 0, v73, vcc
	v_add_co_u32_e32 v74, vcc, v60, v42
	v_addc_co_u32_e32 v75, vcc, v61, v43, vcc
	v_add_co_u32_e32 v74, vcc, 0x300, v74
	v_addc_co_u32_e32 v75, vcc, 0, v75, vcc
	v_cndmask_b32_e64 v73, v75, v73, s[0:1]
	v_cndmask_b32_e64 v72, v74, v72, s[0:1]
	global_load_dwordx2 v[72:73], v[72:73], off
	v_add_co_u32_e32 v74, vcc, v50, v0
	v_addc_co_u32_e32 v75, vcc, 0, v17, vcc
	v_lshlrev_b64 v[76:77], 2, v[74:75]
	v_mov_b32_e32 v78, s61
	v_add_co_u32_e32 v76, vcc, s60, v76
	v_addc_co_u32_e32 v77, vcc, v78, v77, vcc
	v_lshlrev_b64 v[74:75], 3, v[74:75]
	global_store_dword v[76:77], v66, off
	v_mov_b32_e32 v76, s63
	v_add_co_u32_e32 v74, vcc, s62, v74
	v_addc_co_u32_e32 v75, vcc, v76, v75, vcc
	s_waitcnt vmcnt(1)
	global_store_dwordx2 v[74:75], v[72:73], off
.LBB181_79:                             ;   in Loop: Header=BB181_21 Depth=1
	s_or_b64 exec, exec, s[50:51]
	s_mov_b64 s[50:51], exec
	v_readlane_b32 vcc_lo, v80, 61
	v_readlane_b32 vcc_hi, v80, 62
	s_and_b64 vcc, s[50:51], vcc
	s_mov_b64 exec, vcc
	s_cbranch_execz .LBB181_81
; %bb.80:                               ;   in Loop: Header=BB181_21 Depth=1
	v_add_co_u32_e32 v72, vcc, v51, v62
	v_addc_co_u32_e32 v73, vcc, 0, v71, vcc
	v_add_co_u32_e32 v72, vcc, s76, v72
	v_addc_co_u32_e32 v73, vcc, 0, v73, vcc
	v_add_co_u32_e32 v74, vcc, v60, v44
	v_addc_co_u32_e32 v75, vcc, v61, v45, vcc
	v_add_co_u32_e32 v74, vcc, 0x300, v74
	v_addc_co_u32_e32 v75, vcc, 0, v75, vcc
	v_cndmask_b32_e64 v73, v75, v73, s[0:1]
	v_cndmask_b32_e64 v72, v74, v72, s[0:1]
	global_load_dwordx2 v[72:73], v[72:73], off
	v_add_co_u32_e32 v74, vcc, v50, v0
	v_addc_co_u32_e32 v75, vcc, 0, v17, vcc
	v_lshlrev_b64 v[76:77], 2, v[74:75]
	v_mov_b32_e32 v78, s3
	v_add_co_u32_e32 v76, vcc, s2, v76
	v_addc_co_u32_e32 v77, vcc, v78, v77, vcc
	v_lshlrev_b64 v[74:75], 3, v[74:75]
	global_store_dword v[76:77], v65, off
	v_mov_b32_e32 v76, s65
	v_add_co_u32_e32 v74, vcc, s64, v74
	v_addc_co_u32_e32 v75, vcc, v76, v75, vcc
	s_waitcnt vmcnt(1)
	global_store_dwordx2 v[74:75], v[72:73], off
.LBB181_81:                             ;   in Loop: Header=BB181_21 Depth=1
	;; [unrolled: 33-line block ×3, first 2 shown]
	s_or_b64 exec, exec, s[50:51]
	s_mov_b64 s[50:51], exec
	v_readlane_b32 vcc_lo, v79, 1
	v_readlane_b32 vcc_hi, v79, 2
	s_and_b64 vcc, s[50:51], vcc
	s_mov_b64 exec, vcc
	s_cbranch_execz .LBB181_85
; %bb.84:                               ;   in Loop: Header=BB181_21 Depth=1
	v_add_co_u32_e32 v51, vcc, v51, v62
	v_addc_co_u32_e32 v71, vcc, 0, v71, vcc
	v_add_co_u32_e32 v51, vcc, s6, v51
	v_addc_co_u32_e32 v71, vcc, 0, v71, vcc
	;; [unrolled: 2-line block ×4, first 2 shown]
	v_cndmask_b32_e64 v73, v73, v71, s[0:1]
	v_cndmask_b32_e64 v72, v72, v51, s[0:1]
	global_load_dwordx2 v[72:73], v[72:73], off
	v_add_co_u32_e32 v50, vcc, v50, v0
	v_addc_co_u32_e32 v51, vcc, 0, v17, vcc
	v_lshlrev_b64 v[74:75], 2, v[50:51]
	v_mov_b32_e32 v17, s13
	v_add_co_u32_e32 v74, vcc, s12, v74
	v_addc_co_u32_e32 v75, vcc, v17, v75, vcc
	v_lshlrev_b64 v[50:51], 3, v[50:51]
	v_mov_b32_e32 v17, s71
	v_add_co_u32_e32 v50, vcc, s70, v50
	v_addc_co_u32_e32 v51, vcc, v17, v51, vcc
	global_store_dword v[74:75], v70, off
	s_waitcnt vmcnt(1)
	global_store_dwordx2 v[50:51], v[72:73], off
.LBB181_85:                             ;   in Loop: Header=BB181_21 Depth=1
	s_or_b64 exec, exec, s[50:51]
	v_add_co_u32_e32 v71, vcc, s78, v10
	v_pk_mov_b32 v[50:51], s[44:45], s[44:45] op_sel:[0,1]
	v_mov_b32_e32 v17, s80
	v_mad_u64_u32 v[50:51], s[50:51], v71, s36, v[50:51]
	v_addc_co_u32_e32 v17, vcc, v9, v17, vcc
	v_mov_b32_e32 v72, v51
	v_mad_u64_u32 v[72:73], s[50:51], v17, s36, v[72:73]
	v_mov_b32_e32 v71, s79
	v_add_co_u32_e32 v51, vcc, s7, v26
	v_mov_b32_e32 v17, v72
	v_addc_co_u32_e32 v71, vcc, v71, v27, vcc
	s_mov_b64 s[50:51], exec
	v_readlane_b32 vcc_lo, v79, 3
	v_readlane_b32 vcc_hi, v79, 4
	s_and_b64 vcc, s[50:51], vcc
	s_mov_b64 exec, vcc
	s_cbranch_execz .LBB181_87
; %bb.86:                               ;   in Loop: Header=BB181_21 Depth=1
	v_add_co_u32_e32 v72, vcc, v51, v62
	v_addc_co_u32_e32 v73, vcc, 0, v71, vcc
	v_add_co_u32_e32 v74, vcc, v60, v34
	v_addc_co_u32_e32 v75, vcc, v61, v35, vcc
	;; [unrolled: 2-line block ×3, first 2 shown]
	v_cndmask_b32_e64 v73, v75, v73, s[0:1]
	v_cndmask_b32_e64 v72, v74, v72, s[0:1]
	global_load_dwordx2 v[72:73], v[72:73], off
	v_add_co_u32_e32 v74, vcc, v50, v0
	v_addc_co_u32_e32 v75, vcc, 0, v17, vcc
	v_lshlrev_b64 v[76:77], 2, v[74:75]
	v_mov_b32_e32 v78, s5
	v_add_co_u32_e32 v76, vcc, s4, v76
	v_addc_co_u32_e32 v77, vcc, v78, v77, vcc
	v_lshlrev_b64 v[74:75], 3, v[74:75]
	global_store_dword v[76:77], v63, off
	v_mov_b32_e32 v76, s47
	v_add_co_u32_e32 v74, vcc, s46, v74
	v_addc_co_u32_e32 v75, vcc, v76, v75, vcc
	s_waitcnt vmcnt(1)
	global_store_dwordx2 v[74:75], v[72:73], off
.LBB181_87:                             ;   in Loop: Header=BB181_21 Depth=1
	s_or_b64 exec, exec, s[50:51]
	s_mov_b64 s[50:51], exec
	v_readlane_b32 vcc_lo, v79, 5
	v_readlane_b32 vcc_hi, v79, 6
	s_and_b64 vcc, s[50:51], vcc
	s_mov_b64 exec, vcc
	s_cbranch_execz .LBB181_89
; %bb.88:                               ;   in Loop: Header=BB181_21 Depth=1
	v_add_co_u32_e32 v72, vcc, v51, v62
	v_addc_co_u32_e32 v73, vcc, 0, v71, vcc
	v_add_co_u32_e32 v72, vcc, s72, v72
	v_addc_co_u32_e32 v73, vcc, 0, v73, vcc
	v_add_co_u32_e32 v74, vcc, v60, v36
	v_addc_co_u32_e32 v75, vcc, v61, v37, vcc
	v_add_co_u32_e32 v74, vcc, 0x400, v74
	v_addc_co_u32_e32 v75, vcc, 0, v75, vcc
	v_cndmask_b32_e64 v73, v75, v73, s[0:1]
	v_cndmask_b32_e64 v72, v74, v72, s[0:1]
	global_load_dwordx2 v[72:73], v[72:73], off
	v_add_co_u32_e32 v74, vcc, v50, v0
	v_addc_co_u32_e32 v75, vcc, 0, v17, vcc
	v_lshlrev_b64 v[76:77], 2, v[74:75]
	v_mov_b32_e32 v78, s33
	v_add_co_u32_e32 v76, vcc, s39, v76
	v_addc_co_u32_e32 v77, vcc, v78, v77, vcc
	v_lshlrev_b64 v[74:75], 3, v[74:75]
	global_store_dword v[76:77], v69, off
	v_mov_b32_e32 v76, s53
	v_add_co_u32_e32 v74, vcc, s52, v74
	v_addc_co_u32_e32 v75, vcc, v76, v75, vcc
	s_waitcnt vmcnt(1)
	global_store_dwordx2 v[74:75], v[72:73], off
.LBB181_89:                             ;   in Loop: Header=BB181_21 Depth=1
	s_or_b64 exec, exec, s[50:51]
	s_mov_b64 s[50:51], exec
	v_readlane_b32 vcc_lo, v79, 7
	v_readlane_b32 vcc_hi, v79, 8
	s_and_b64 vcc, s[50:51], vcc
	s_mov_b64 exec, vcc
	s_cbranch_execz .LBB181_91
; %bb.90:                               ;   in Loop: Header=BB181_21 Depth=1
	v_add_co_u32_e32 v72, vcc, v51, v62
	v_addc_co_u32_e32 v73, vcc, 0, v71, vcc
	v_add_co_u32_e32 v72, vcc, s73, v72
	v_addc_co_u32_e32 v73, vcc, 0, v73, vcc
	v_add_co_u32_e32 v74, vcc, v60, v38
	v_addc_co_u32_e32 v75, vcc, v61, v39, vcc
	v_add_co_u32_e32 v74, vcc, 0x400, v74
	v_addc_co_u32_e32 v75, vcc, 0, v75, vcc
	v_cndmask_b32_e64 v73, v75, v73, s[0:1]
	v_cndmask_b32_e64 v72, v74, v72, s[0:1]
	global_load_dwordx2 v[72:73], v[72:73], off
	v_add_co_u32_e32 v74, vcc, v50, v0
	v_addc_co_u32_e32 v75, vcc, 0, v17, vcc
	v_lshlrev_b64 v[76:77], 2, v[74:75]
	v_mov_b32_e32 v78, s55
	v_add_co_u32_e32 v76, vcc, s54, v76
	v_addc_co_u32_e32 v77, vcc, v78, v77, vcc
	v_lshlrev_b64 v[74:75], 3, v[74:75]
	global_store_dword v[76:77], v68, off
	v_mov_b32_e32 v76, s57
	v_add_co_u32_e32 v74, vcc, s56, v74
	v_addc_co_u32_e32 v75, vcc, v76, v75, vcc
	s_waitcnt vmcnt(1)
	global_store_dwordx2 v[74:75], v[72:73], off
.LBB181_91:                             ;   in Loop: Header=BB181_21 Depth=1
	;; [unrolled: 33-line block ×3, first 2 shown]
	s_or_b64 exec, exec, s[50:51]
	s_mov_b64 s[50:51], exec
	v_readlane_b32 vcc_lo, v79, 11
	v_readlane_b32 vcc_hi, v79, 12
	s_and_b64 vcc, s[50:51], vcc
	s_mov_b64 exec, vcc
	s_cbranch_execz .LBB181_95
; %bb.94:                               ;   in Loop: Header=BB181_21 Depth=1
	v_add_co_u32_e32 v72, vcc, v51, v62
	v_addc_co_u32_e32 v73, vcc, 0, v71, vcc
	v_add_co_u32_e32 v74, vcc, v60, v42
	v_addc_co_u32_e32 v75, vcc, v61, v43, vcc
	v_cndmask_b32_e64 v73, v75, v73, s[0:1]
	v_cndmask_b32_e64 v72, v74, v72, s[0:1]
	global_load_dwordx2 v[72:73], v[72:73], off offset:1024
	v_add_co_u32_e32 v74, vcc, v50, v0
	v_addc_co_u32_e32 v75, vcc, 0, v17, vcc
	v_lshlrev_b64 v[76:77], 2, v[74:75]
	v_mov_b32_e32 v78, s61
	v_add_co_u32_e32 v76, vcc, s60, v76
	v_addc_co_u32_e32 v77, vcc, v78, v77, vcc
	v_lshlrev_b64 v[74:75], 3, v[74:75]
	global_store_dword v[76:77], v66, off
	v_mov_b32_e32 v76, s63
	v_add_co_u32_e32 v74, vcc, s62, v74
	v_addc_co_u32_e32 v75, vcc, v76, v75, vcc
	s_waitcnt vmcnt(1)
	global_store_dwordx2 v[74:75], v[72:73], off
.LBB181_95:                             ;   in Loop: Header=BB181_21 Depth=1
	s_or_b64 exec, exec, s[50:51]
	s_mov_b64 s[50:51], exec
	v_readlane_b32 vcc_lo, v79, 13
	v_readlane_b32 vcc_hi, v79, 14
	s_and_b64 vcc, s[50:51], vcc
	s_mov_b64 exec, vcc
	s_cbranch_execz .LBB181_97
; %bb.96:                               ;   in Loop: Header=BB181_21 Depth=1
	v_add_co_u32_e32 v72, vcc, v51, v62
	v_addc_co_u32_e32 v73, vcc, 0, v71, vcc
	v_add_co_u32_e32 v72, vcc, s76, v72
	v_addc_co_u32_e32 v73, vcc, 0, v73, vcc
	;; [unrolled: 2-line block ×4, first 2 shown]
	v_cndmask_b32_e64 v73, v75, v73, s[0:1]
	v_cndmask_b32_e64 v72, v74, v72, s[0:1]
	global_load_dwordx2 v[72:73], v[72:73], off
	v_add_co_u32_e32 v74, vcc, v50, v0
	v_addc_co_u32_e32 v75, vcc, 0, v17, vcc
	v_lshlrev_b64 v[76:77], 2, v[74:75]
	v_mov_b32_e32 v78, s3
	v_add_co_u32_e32 v76, vcc, s2, v76
	v_addc_co_u32_e32 v77, vcc, v78, v77, vcc
	v_lshlrev_b64 v[74:75], 3, v[74:75]
	global_store_dword v[76:77], v65, off
	v_mov_b32_e32 v76, s65
	v_add_co_u32_e32 v74, vcc, s64, v74
	v_addc_co_u32_e32 v75, vcc, v76, v75, vcc
	s_waitcnt vmcnt(1)
	global_store_dwordx2 v[74:75], v[72:73], off
.LBB181_97:                             ;   in Loop: Header=BB181_21 Depth=1
	s_or_b64 exec, exec, s[50:51]
	s_mov_b64 s[50:51], exec
	v_readlane_b32 vcc_lo, v79, 15
	v_readlane_b32 vcc_hi, v79, 16
	s_and_b64 vcc, s[50:51], vcc
	s_mov_b64 exec, vcc
	s_cbranch_execz .LBB181_99
; %bb.98:                               ;   in Loop: Header=BB181_21 Depth=1
	v_add_co_u32_e32 v72, vcc, v51, v62
	v_addc_co_u32_e32 v73, vcc, 0, v71, vcc
	v_add_co_u32_e32 v72, vcc, s77, v72
	v_addc_co_u32_e32 v73, vcc, 0, v73, vcc
	;; [unrolled: 2-line block ×4, first 2 shown]
	v_cndmask_b32_e64 v73, v75, v73, s[0:1]
	v_cndmask_b32_e64 v72, v74, v72, s[0:1]
	global_load_dwordx2 v[72:73], v[72:73], off
	v_add_co_u32_e32 v74, vcc, v50, v0
	v_addc_co_u32_e32 v75, vcc, 0, v17, vcc
	v_lshlrev_b64 v[76:77], 2, v[74:75]
	v_mov_b32_e32 v78, s67
	v_add_co_u32_e32 v76, vcc, s66, v76
	v_addc_co_u32_e32 v77, vcc, v78, v77, vcc
	v_lshlrev_b64 v[74:75], 3, v[74:75]
	global_store_dword v[76:77], v64, off
	v_mov_b32_e32 v76, s69
	v_add_co_u32_e32 v74, vcc, s68, v74
	v_addc_co_u32_e32 v75, vcc, v76, v75, vcc
	s_waitcnt vmcnt(1)
	global_store_dwordx2 v[74:75], v[72:73], off
.LBB181_99:                             ;   in Loop: Header=BB181_21 Depth=1
	s_or_b64 exec, exec, s[50:51]
	s_mov_b64 s[50:51], exec
	v_readlane_b32 vcc_lo, v79, 17
	v_readlane_b32 vcc_hi, v79, 18
	s_and_b64 vcc, s[50:51], vcc
	s_mov_b64 exec, vcc
	s_cbranch_execz .LBB181_101
; %bb.100:                              ;   in Loop: Header=BB181_21 Depth=1
	v_add_co_u32_e32 v51, vcc, v51, v62
	v_addc_co_u32_e32 v71, vcc, 0, v71, vcc
	v_add_co_u32_e32 v51, vcc, s6, v51
	v_addc_co_u32_e32 v71, vcc, 0, v71, vcc
	;; [unrolled: 2-line block ×4, first 2 shown]
	v_cndmask_b32_e64 v73, v73, v71, s[0:1]
	v_cndmask_b32_e64 v72, v72, v51, s[0:1]
	global_load_dwordx2 v[72:73], v[72:73], off
	v_add_co_u32_e32 v50, vcc, v50, v0
	v_addc_co_u32_e32 v51, vcc, 0, v17, vcc
	v_lshlrev_b64 v[74:75], 2, v[50:51]
	v_mov_b32_e32 v17, s13
	v_add_co_u32_e32 v74, vcc, s12, v74
	v_addc_co_u32_e32 v75, vcc, v17, v75, vcc
	v_lshlrev_b64 v[50:51], 3, v[50:51]
	v_mov_b32_e32 v17, s71
	v_add_co_u32_e32 v50, vcc, s70, v50
	v_addc_co_u32_e32 v51, vcc, v17, v51, vcc
	global_store_dword v[74:75], v70, off
	s_waitcnt vmcnt(1)
	global_store_dwordx2 v[50:51], v[72:73], off
.LBB181_101:                            ;   in Loop: Header=BB181_21 Depth=1
	s_or_b64 exec, exec, s[50:51]
	v_add_co_u32_e32 v71, vcc, s78, v12
	v_pk_mov_b32 v[50:51], s[44:45], s[44:45] op_sel:[0,1]
	v_mov_b32_e32 v17, s80
	v_mad_u64_u32 v[50:51], s[50:51], v71, s36, v[50:51]
	v_addc_co_u32_e32 v17, vcc, v11, v17, vcc
	v_mov_b32_e32 v72, v51
	v_mad_u64_u32 v[72:73], s[50:51], v17, s36, v[72:73]
	v_mov_b32_e32 v71, s79
	v_add_co_u32_e32 v51, vcc, s7, v28
	v_mov_b32_e32 v17, v72
	v_addc_co_u32_e32 v71, vcc, v71, v29, vcc
	s_mov_b64 s[50:51], exec
	v_readlane_b32 vcc_lo, v79, 19
	v_readlane_b32 vcc_hi, v79, 20
	s_and_b64 vcc, s[50:51], vcc
	s_mov_b64 exec, vcc
	s_cbranch_execz .LBB181_103
; %bb.102:                              ;   in Loop: Header=BB181_21 Depth=1
	v_add_co_u32_e32 v72, vcc, v51, v62
	v_addc_co_u32_e32 v73, vcc, 0, v71, vcc
	v_add_co_u32_e32 v74, vcc, v60, v34
	v_addc_co_u32_e32 v75, vcc, v61, v35, vcc
	;; [unrolled: 2-line block ×3, first 2 shown]
	v_cndmask_b32_e64 v73, v75, v73, s[0:1]
	v_cndmask_b32_e64 v72, v74, v72, s[0:1]
	global_load_dwordx2 v[72:73], v[72:73], off
	v_add_co_u32_e32 v74, vcc, v50, v0
	v_addc_co_u32_e32 v75, vcc, 0, v17, vcc
	v_lshlrev_b64 v[76:77], 2, v[74:75]
	v_mov_b32_e32 v78, s5
	v_add_co_u32_e32 v76, vcc, s4, v76
	v_addc_co_u32_e32 v77, vcc, v78, v77, vcc
	v_lshlrev_b64 v[74:75], 3, v[74:75]
	global_store_dword v[76:77], v63, off
	v_mov_b32_e32 v76, s47
	v_add_co_u32_e32 v74, vcc, s46, v74
	v_addc_co_u32_e32 v75, vcc, v76, v75, vcc
	s_waitcnt vmcnt(1)
	global_store_dwordx2 v[74:75], v[72:73], off
.LBB181_103:                            ;   in Loop: Header=BB181_21 Depth=1
	s_or_b64 exec, exec, s[50:51]
	s_mov_b64 s[50:51], exec
	v_readlane_b32 vcc_lo, v79, 21
	v_readlane_b32 vcc_hi, v79, 22
	s_and_b64 vcc, s[50:51], vcc
	s_mov_b64 exec, vcc
	s_cbranch_execz .LBB181_105
; %bb.104:                              ;   in Loop: Header=BB181_21 Depth=1
	v_add_co_u32_e32 v72, vcc, v51, v62
	v_addc_co_u32_e32 v73, vcc, 0, v71, vcc
	v_add_co_u32_e32 v72, vcc, s72, v72
	v_addc_co_u32_e32 v73, vcc, 0, v73, vcc
	v_add_co_u32_e32 v74, vcc, v60, v36
	v_addc_co_u32_e32 v75, vcc, v61, v37, vcc
	v_add_co_u32_e32 v74, vcc, 0x500, v74
	v_addc_co_u32_e32 v75, vcc, 0, v75, vcc
	v_cndmask_b32_e64 v73, v75, v73, s[0:1]
	v_cndmask_b32_e64 v72, v74, v72, s[0:1]
	global_load_dwordx2 v[72:73], v[72:73], off
	v_add_co_u32_e32 v74, vcc, v50, v0
	v_addc_co_u32_e32 v75, vcc, 0, v17, vcc
	v_lshlrev_b64 v[76:77], 2, v[74:75]
	v_mov_b32_e32 v78, s33
	v_add_co_u32_e32 v76, vcc, s39, v76
	v_addc_co_u32_e32 v77, vcc, v78, v77, vcc
	v_lshlrev_b64 v[74:75], 3, v[74:75]
	global_store_dword v[76:77], v69, off
	v_mov_b32_e32 v76, s53
	v_add_co_u32_e32 v74, vcc, s52, v74
	v_addc_co_u32_e32 v75, vcc, v76, v75, vcc
	s_waitcnt vmcnt(1)
	global_store_dwordx2 v[74:75], v[72:73], off
.LBB181_105:                            ;   in Loop: Header=BB181_21 Depth=1
	s_or_b64 exec, exec, s[50:51]
	s_mov_b64 s[50:51], exec
	v_readlane_b32 vcc_lo, v79, 23
	v_readlane_b32 vcc_hi, v79, 24
	s_and_b64 vcc, s[50:51], vcc
	s_mov_b64 exec, vcc
	s_cbranch_execz .LBB181_107
; %bb.106:                              ;   in Loop: Header=BB181_21 Depth=1
	v_add_co_u32_e32 v72, vcc, v51, v62
	v_addc_co_u32_e32 v73, vcc, 0, v71, vcc
	v_add_co_u32_e32 v72, vcc, s73, v72
	v_addc_co_u32_e32 v73, vcc, 0, v73, vcc
	v_add_co_u32_e32 v74, vcc, v60, v38
	v_addc_co_u32_e32 v75, vcc, v61, v39, vcc
	v_add_co_u32_e32 v74, vcc, 0x500, v74
	v_addc_co_u32_e32 v75, vcc, 0, v75, vcc
	v_cndmask_b32_e64 v73, v75, v73, s[0:1]
	v_cndmask_b32_e64 v72, v74, v72, s[0:1]
	global_load_dwordx2 v[72:73], v[72:73], off
	v_add_co_u32_e32 v74, vcc, v50, v0
	v_addc_co_u32_e32 v75, vcc, 0, v17, vcc
	v_lshlrev_b64 v[76:77], 2, v[74:75]
	v_mov_b32_e32 v78, s55
	v_add_co_u32_e32 v76, vcc, s54, v76
	v_addc_co_u32_e32 v77, vcc, v78, v77, vcc
	v_lshlrev_b64 v[74:75], 3, v[74:75]
	global_store_dword v[76:77], v68, off
	v_mov_b32_e32 v76, s57
	v_add_co_u32_e32 v74, vcc, s56, v74
	v_addc_co_u32_e32 v75, vcc, v76, v75, vcc
	s_waitcnt vmcnt(1)
	global_store_dwordx2 v[74:75], v[72:73], off
.LBB181_107:                            ;   in Loop: Header=BB181_21 Depth=1
	;; [unrolled: 33-line block ×4, first 2 shown]
	s_or_b64 exec, exec, s[50:51]
	s_mov_b64 s[50:51], exec
	v_readlane_b32 vcc_lo, v79, 29
	v_readlane_b32 vcc_hi, v79, 30
	s_and_b64 vcc, s[50:51], vcc
	s_mov_b64 exec, vcc
	s_cbranch_execz .LBB181_113
; %bb.112:                              ;   in Loop: Header=BB181_21 Depth=1
	v_add_co_u32_e32 v72, vcc, v51, v62
	v_addc_co_u32_e32 v73, vcc, 0, v71, vcc
	v_add_co_u32_e32 v74, vcc, v60, v44
	v_addc_co_u32_e32 v75, vcc, v61, v45, vcc
	v_cndmask_b32_e64 v73, v75, v73, s[0:1]
	v_cndmask_b32_e64 v72, v74, v72, s[0:1]
	global_load_dwordx2 v[72:73], v[72:73], off offset:1280
	v_add_co_u32_e32 v74, vcc, v50, v0
	v_addc_co_u32_e32 v75, vcc, 0, v17, vcc
	v_lshlrev_b64 v[76:77], 2, v[74:75]
	v_mov_b32_e32 v78, s3
	v_add_co_u32_e32 v76, vcc, s2, v76
	v_addc_co_u32_e32 v77, vcc, v78, v77, vcc
	v_lshlrev_b64 v[74:75], 3, v[74:75]
	global_store_dword v[76:77], v65, off
	v_mov_b32_e32 v76, s65
	v_add_co_u32_e32 v74, vcc, s64, v74
	v_addc_co_u32_e32 v75, vcc, v76, v75, vcc
	s_waitcnt vmcnt(1)
	global_store_dwordx2 v[74:75], v[72:73], off
.LBB181_113:                            ;   in Loop: Header=BB181_21 Depth=1
	s_or_b64 exec, exec, s[50:51]
	s_mov_b64 s[50:51], exec
	v_readlane_b32 vcc_lo, v79, 31
	v_readlane_b32 vcc_hi, v79, 32
	s_and_b64 vcc, s[50:51], vcc
	s_mov_b64 exec, vcc
	s_cbranch_execz .LBB181_115
; %bb.114:                              ;   in Loop: Header=BB181_21 Depth=1
	v_add_co_u32_e32 v72, vcc, v51, v62
	v_addc_co_u32_e32 v73, vcc, 0, v71, vcc
	v_add_co_u32_e32 v72, vcc, s77, v72
	v_addc_co_u32_e32 v73, vcc, 0, v73, vcc
	;; [unrolled: 2-line block ×4, first 2 shown]
	v_cndmask_b32_e64 v73, v75, v73, s[0:1]
	v_cndmask_b32_e64 v72, v74, v72, s[0:1]
	global_load_dwordx2 v[72:73], v[72:73], off
	v_add_co_u32_e32 v74, vcc, v50, v0
	v_addc_co_u32_e32 v75, vcc, 0, v17, vcc
	v_lshlrev_b64 v[76:77], 2, v[74:75]
	v_mov_b32_e32 v78, s67
	v_add_co_u32_e32 v76, vcc, s66, v76
	v_addc_co_u32_e32 v77, vcc, v78, v77, vcc
	v_lshlrev_b64 v[74:75], 3, v[74:75]
	global_store_dword v[76:77], v64, off
	v_mov_b32_e32 v76, s69
	v_add_co_u32_e32 v74, vcc, s68, v74
	v_addc_co_u32_e32 v75, vcc, v76, v75, vcc
	s_waitcnt vmcnt(1)
	global_store_dwordx2 v[74:75], v[72:73], off
.LBB181_115:                            ;   in Loop: Header=BB181_21 Depth=1
	s_or_b64 exec, exec, s[50:51]
	s_and_saveexec_b64 s[50:51], s[14:15]
	s_cbranch_execz .LBB181_117
; %bb.116:                              ;   in Loop: Header=BB181_21 Depth=1
	v_add_co_u32_e32 v51, vcc, v51, v62
	v_addc_co_u32_e32 v71, vcc, 0, v71, vcc
	v_add_co_u32_e32 v51, vcc, s6, v51
	v_addc_co_u32_e32 v71, vcc, 0, v71, vcc
	;; [unrolled: 2-line block ×4, first 2 shown]
	v_cndmask_b32_e64 v73, v73, v71, s[0:1]
	v_cndmask_b32_e64 v72, v72, v51, s[0:1]
	global_load_dwordx2 v[72:73], v[72:73], off
	v_add_co_u32_e32 v50, vcc, v50, v0
	v_addc_co_u32_e32 v51, vcc, 0, v17, vcc
	v_lshlrev_b64 v[74:75], 2, v[50:51]
	v_mov_b32_e32 v17, s13
	v_add_co_u32_e32 v74, vcc, s12, v74
	v_addc_co_u32_e32 v75, vcc, v17, v75, vcc
	v_lshlrev_b64 v[50:51], 3, v[50:51]
	v_mov_b32_e32 v17, s71
	v_add_co_u32_e32 v50, vcc, s70, v50
	v_addc_co_u32_e32 v51, vcc, v17, v51, vcc
	global_store_dword v[74:75], v70, off
	s_waitcnt vmcnt(1)
	global_store_dwordx2 v[50:51], v[72:73], off
.LBB181_117:                            ;   in Loop: Header=BB181_21 Depth=1
	s_or_b64 exec, exec, s[50:51]
	v_add_co_u32_e32 v71, vcc, s78, v14
	v_pk_mov_b32 v[50:51], s[44:45], s[44:45] op_sel:[0,1]
	v_mov_b32_e32 v17, s80
	v_mad_u64_u32 v[50:51], s[50:51], v71, s36, v[50:51]
	v_addc_co_u32_e32 v17, vcc, v13, v17, vcc
	v_mov_b32_e32 v72, v51
	v_mad_u64_u32 v[72:73], s[50:51], v17, s36, v[72:73]
	v_mov_b32_e32 v71, s79
	v_add_co_u32_e32 v51, vcc, s7, v30
	v_mov_b32_e32 v17, v72
	v_addc_co_u32_e32 v71, vcc, v71, v31, vcc
	s_and_saveexec_b64 s[50:51], s[82:83]
	s_cbranch_execnz .LBB181_134
; %bb.118:                              ;   in Loop: Header=BB181_21 Depth=1
	s_or_b64 exec, exec, s[50:51]
	s_and_saveexec_b64 s[50:51], s[84:85]
	s_cbranch_execnz .LBB181_135
.LBB181_119:                            ;   in Loop: Header=BB181_21 Depth=1
	s_or_b64 exec, exec, s[50:51]
	s_and_saveexec_b64 s[50:51], s[86:87]
	s_cbranch_execnz .LBB181_136
.LBB181_120:                            ;   in Loop: Header=BB181_21 Depth=1
	s_or_b64 exec, exec, s[50:51]
	s_and_saveexec_b64 s[50:51], s[88:89]
	s_cbranch_execnz .LBB181_137
.LBB181_121:                            ;   in Loop: Header=BB181_21 Depth=1
	s_or_b64 exec, exec, s[50:51]
	s_and_saveexec_b64 s[50:51], s[90:91]
	s_cbranch_execnz .LBB181_138
.LBB181_122:                            ;   in Loop: Header=BB181_21 Depth=1
	s_or_b64 exec, exec, s[50:51]
	s_and_saveexec_b64 s[50:51], s[8:9]
	s_cbranch_execnz .LBB181_139
.LBB181_123:                            ;   in Loop: Header=BB181_21 Depth=1
	s_or_b64 exec, exec, s[50:51]
	s_and_saveexec_b64 s[50:51], s[92:93]
	s_cbranch_execnz .LBB181_140
.LBB181_124:                            ;   in Loop: Header=BB181_21 Depth=1
	s_or_b64 exec, exec, s[50:51]
	s_and_saveexec_b64 s[50:51], s[16:17]
	s_cbranch_execz .LBB181_126
.LBB181_125:                            ;   in Loop: Header=BB181_21 Depth=1
	v_add_co_u32_e32 v51, vcc, v51, v62
	v_addc_co_u32_e32 v71, vcc, 0, v71, vcc
	v_add_co_u32_e32 v51, vcc, s6, v51
	v_addc_co_u32_e32 v71, vcc, 0, v71, vcc
	v_add_co_u32_e32 v72, vcc, v60, v48
	v_addc_co_u32_e32 v73, vcc, v61, v49, vcc
	v_add_co_u32_e32 v72, vcc, 0x600, v72
	v_addc_co_u32_e32 v73, vcc, 0, v73, vcc
	v_cndmask_b32_e64 v73, v73, v71, s[0:1]
	v_cndmask_b32_e64 v72, v72, v51, s[0:1]
	global_load_dwordx2 v[72:73], v[72:73], off
	v_add_co_u32_e32 v50, vcc, v50, v0
	v_addc_co_u32_e32 v51, vcc, 0, v17, vcc
	v_lshlrev_b64 v[74:75], 2, v[50:51]
	v_mov_b32_e32 v17, s13
	v_add_co_u32_e32 v74, vcc, s12, v74
	v_addc_co_u32_e32 v75, vcc, v17, v75, vcc
	v_lshlrev_b64 v[50:51], 3, v[50:51]
	v_mov_b32_e32 v17, s71
	v_add_co_u32_e32 v50, vcc, s70, v50
	v_addc_co_u32_e32 v51, vcc, v17, v51, vcc
	global_store_dword v[74:75], v70, off
	s_waitcnt vmcnt(1)
	global_store_dwordx2 v[50:51], v[72:73], off
.LBB181_126:                            ;   in Loop: Header=BB181_21 Depth=1
	s_or_b64 exec, exec, s[50:51]
	v_add_co_u32_e32 v71, vcc, s78, v16
	v_pk_mov_b32 v[50:51], s[44:45], s[44:45] op_sel:[0,1]
	v_mov_b32_e32 v17, s80
	v_mad_u64_u32 v[50:51], s[50:51], v71, s36, v[50:51]
	v_addc_co_u32_e32 v17, vcc, v15, v17, vcc
	v_mov_b32_e32 v72, v51
	v_mad_u64_u32 v[72:73], s[50:51], v17, s36, v[72:73]
	v_mov_b32_e32 v71, s79
	v_add_co_u32_e32 v51, vcc, s7, v32
	v_mov_b32_e32 v17, v72
	v_addc_co_u32_e32 v71, vcc, v71, v33, vcc
	s_and_saveexec_b64 s[50:51], s[94:95]
	s_cbranch_execnz .LBB181_141
; %bb.127:                              ;   in Loop: Header=BB181_21 Depth=1
	s_or_b64 exec, exec, s[50:51]
	s_and_saveexec_b64 s[50:51], s[20:21]
	s_cbranch_execnz .LBB181_142
.LBB181_128:                            ;   in Loop: Header=BB181_21 Depth=1
	s_or_b64 exec, exec, s[50:51]
	s_and_saveexec_b64 s[50:51], s[22:23]
	s_cbranch_execnz .LBB181_143
.LBB181_129:                            ;   in Loop: Header=BB181_21 Depth=1
	s_or_b64 exec, exec, s[50:51]
	s_and_saveexec_b64 s[50:51], s[24:25]
	s_cbranch_execnz .LBB181_144
.LBB181_130:                            ;   in Loop: Header=BB181_21 Depth=1
	s_or_b64 exec, exec, s[50:51]
	s_and_saveexec_b64 s[50:51], s[26:27]
	s_cbranch_execnz .LBB181_145
.LBB181_131:                            ;   in Loop: Header=BB181_21 Depth=1
	s_or_b64 exec, exec, s[50:51]
	s_and_saveexec_b64 s[50:51], s[28:29]
	s_cbranch_execnz .LBB181_146
.LBB181_132:                            ;   in Loop: Header=BB181_21 Depth=1
	s_or_b64 exec, exec, s[50:51]
	s_and_saveexec_b64 s[50:51], s[30:31]
	s_cbranch_execnz .LBB181_147
.LBB181_133:                            ;   in Loop: Header=BB181_21 Depth=1
	s_or_b64 exec, exec, s[50:51]
	s_and_saveexec_b64 s[50:51], s[18:19]
	s_cbranch_execz .LBB181_20
	s_branch .LBB181_148
.LBB181_134:                            ;   in Loop: Header=BB181_21 Depth=1
	v_add_co_u32_e32 v72, vcc, v51, v62
	v_addc_co_u32_e32 v73, vcc, 0, v71, vcc
	v_add_co_u32_e32 v74, vcc, v60, v34
	v_addc_co_u32_e32 v75, vcc, v61, v35, vcc
	;; [unrolled: 2-line block ×3, first 2 shown]
	v_cndmask_b32_e64 v73, v75, v73, s[0:1]
	v_cndmask_b32_e64 v72, v74, v72, s[0:1]
	global_load_dwordx2 v[72:73], v[72:73], off
	v_add_co_u32_e32 v74, vcc, v50, v0
	v_addc_co_u32_e32 v75, vcc, 0, v17, vcc
	v_lshlrev_b64 v[76:77], 2, v[74:75]
	v_mov_b32_e32 v78, s5
	v_add_co_u32_e32 v76, vcc, s4, v76
	v_addc_co_u32_e32 v77, vcc, v78, v77, vcc
	v_lshlrev_b64 v[74:75], 3, v[74:75]
	global_store_dword v[76:77], v63, off
	v_mov_b32_e32 v76, s47
	v_add_co_u32_e32 v74, vcc, s46, v74
	v_addc_co_u32_e32 v75, vcc, v76, v75, vcc
	s_waitcnt vmcnt(1)
	global_store_dwordx2 v[74:75], v[72:73], off
	s_or_b64 exec, exec, s[50:51]
	s_and_saveexec_b64 s[50:51], s[84:85]
	s_cbranch_execz .LBB181_119
.LBB181_135:                            ;   in Loop: Header=BB181_21 Depth=1
	v_add_co_u32_e32 v72, vcc, v51, v62
	v_addc_co_u32_e32 v73, vcc, 0, v71, vcc
	v_add_co_u32_e32 v72, vcc, s72, v72
	v_addc_co_u32_e32 v73, vcc, 0, v73, vcc
	;; [unrolled: 2-line block ×4, first 2 shown]
	v_cndmask_b32_e64 v73, v75, v73, s[0:1]
	v_cndmask_b32_e64 v72, v74, v72, s[0:1]
	global_load_dwordx2 v[72:73], v[72:73], off
	v_add_co_u32_e32 v74, vcc, v50, v0
	v_addc_co_u32_e32 v75, vcc, 0, v17, vcc
	v_lshlrev_b64 v[76:77], 2, v[74:75]
	v_mov_b32_e32 v78, s33
	v_add_co_u32_e32 v76, vcc, s39, v76
	v_addc_co_u32_e32 v77, vcc, v78, v77, vcc
	v_lshlrev_b64 v[74:75], 3, v[74:75]
	global_store_dword v[76:77], v69, off
	v_mov_b32_e32 v76, s53
	v_add_co_u32_e32 v74, vcc, s52, v74
	v_addc_co_u32_e32 v75, vcc, v76, v75, vcc
	s_waitcnt vmcnt(1)
	global_store_dwordx2 v[74:75], v[72:73], off
	s_or_b64 exec, exec, s[50:51]
	s_and_saveexec_b64 s[50:51], s[86:87]
	s_cbranch_execz .LBB181_120
.LBB181_136:                            ;   in Loop: Header=BB181_21 Depth=1
	v_add_co_u32_e32 v72, vcc, v51, v62
	v_addc_co_u32_e32 v73, vcc, 0, v71, vcc
	v_add_co_u32_e32 v72, vcc, s73, v72
	v_addc_co_u32_e32 v73, vcc, 0, v73, vcc
	;; [unrolled: 2-line block ×4, first 2 shown]
	v_cndmask_b32_e64 v73, v75, v73, s[0:1]
	v_cndmask_b32_e64 v72, v74, v72, s[0:1]
	global_load_dwordx2 v[72:73], v[72:73], off
	v_add_co_u32_e32 v74, vcc, v50, v0
	v_addc_co_u32_e32 v75, vcc, 0, v17, vcc
	v_lshlrev_b64 v[76:77], 2, v[74:75]
	v_mov_b32_e32 v78, s55
	v_add_co_u32_e32 v76, vcc, s54, v76
	v_addc_co_u32_e32 v77, vcc, v78, v77, vcc
	v_lshlrev_b64 v[74:75], 3, v[74:75]
	global_store_dword v[76:77], v68, off
	v_mov_b32_e32 v76, s57
	v_add_co_u32_e32 v74, vcc, s56, v74
	v_addc_co_u32_e32 v75, vcc, v76, v75, vcc
	s_waitcnt vmcnt(1)
	global_store_dwordx2 v[74:75], v[72:73], off
	s_or_b64 exec, exec, s[50:51]
	s_and_saveexec_b64 s[50:51], s[88:89]
	s_cbranch_execz .LBB181_121
.LBB181_137:                            ;   in Loop: Header=BB181_21 Depth=1
	v_add_co_u32_e32 v72, vcc, v51, v62
	v_addc_co_u32_e32 v73, vcc, 0, v71, vcc
	v_add_co_u32_e32 v72, vcc, s74, v72
	v_addc_co_u32_e32 v73, vcc, 0, v73, vcc
	;; [unrolled: 2-line block ×4, first 2 shown]
	v_cndmask_b32_e64 v73, v75, v73, s[0:1]
	v_cndmask_b32_e64 v72, v74, v72, s[0:1]
	global_load_dwordx2 v[72:73], v[72:73], off
	v_add_co_u32_e32 v74, vcc, v50, v0
	v_addc_co_u32_e32 v75, vcc, 0, v17, vcc
	v_lshlrev_b64 v[76:77], 2, v[74:75]
	v_mov_b32_e32 v78, s11
	v_add_co_u32_e32 v76, vcc, s10, v76
	v_addc_co_u32_e32 v77, vcc, v78, v77, vcc
	v_lshlrev_b64 v[74:75], 3, v[74:75]
	global_store_dword v[76:77], v67, off
	v_mov_b32_e32 v76, s59
	v_add_co_u32_e32 v74, vcc, s58, v74
	v_addc_co_u32_e32 v75, vcc, v76, v75, vcc
	s_waitcnt vmcnt(1)
	global_store_dwordx2 v[74:75], v[72:73], off
	s_or_b64 exec, exec, s[50:51]
	s_and_saveexec_b64 s[50:51], s[90:91]
	s_cbranch_execz .LBB181_122
.LBB181_138:                            ;   in Loop: Header=BB181_21 Depth=1
	v_add_co_u32_e32 v72, vcc, v51, v62
	v_addc_co_u32_e32 v73, vcc, 0, v71, vcc
	v_add_co_u32_e32 v72, vcc, s75, v72
	v_addc_co_u32_e32 v73, vcc, 0, v73, vcc
	v_add_co_u32_e32 v74, vcc, v60, v42
	v_addc_co_u32_e32 v75, vcc, v61, v43, vcc
	v_add_co_u32_e32 v74, vcc, 0x600, v74
	v_addc_co_u32_e32 v75, vcc, 0, v75, vcc
	v_cndmask_b32_e64 v73, v75, v73, s[0:1]
	v_cndmask_b32_e64 v72, v74, v72, s[0:1]
	global_load_dwordx2 v[72:73], v[72:73], off
	v_add_co_u32_e32 v74, vcc, v50, v0
	v_addc_co_u32_e32 v75, vcc, 0, v17, vcc
	v_lshlrev_b64 v[76:77], 2, v[74:75]
	v_mov_b32_e32 v78, s61
	v_add_co_u32_e32 v76, vcc, s60, v76
	v_addc_co_u32_e32 v77, vcc, v78, v77, vcc
	v_lshlrev_b64 v[74:75], 3, v[74:75]
	global_store_dword v[76:77], v66, off
	v_mov_b32_e32 v76, s63
	v_add_co_u32_e32 v74, vcc, s62, v74
	v_addc_co_u32_e32 v75, vcc, v76, v75, vcc
	s_waitcnt vmcnt(1)
	global_store_dwordx2 v[74:75], v[72:73], off
	s_or_b64 exec, exec, s[50:51]
	s_and_saveexec_b64 s[50:51], s[8:9]
	s_cbranch_execz .LBB181_123
.LBB181_139:                            ;   in Loop: Header=BB181_21 Depth=1
	v_add_co_u32_e32 v72, vcc, v51, v62
	v_addc_co_u32_e32 v73, vcc, 0, v71, vcc
	v_add_co_u32_e32 v72, vcc, s76, v72
	v_addc_co_u32_e32 v73, vcc, 0, v73, vcc
	v_add_co_u32_e32 v74, vcc, v60, v44
	v_addc_co_u32_e32 v75, vcc, v61, v45, vcc
	v_add_co_u32_e32 v74, vcc, 0x600, v74
	v_addc_co_u32_e32 v75, vcc, 0, v75, vcc
	v_cndmask_b32_e64 v73, v75, v73, s[0:1]
	v_cndmask_b32_e64 v72, v74, v72, s[0:1]
	global_load_dwordx2 v[72:73], v[72:73], off
	v_add_co_u32_e32 v74, vcc, v50, v0
	v_addc_co_u32_e32 v75, vcc, 0, v17, vcc
	v_lshlrev_b64 v[76:77], 2, v[74:75]
	v_mov_b32_e32 v78, s3
	v_add_co_u32_e32 v76, vcc, s2, v76
	v_addc_co_u32_e32 v77, vcc, v78, v77, vcc
	v_lshlrev_b64 v[74:75], 3, v[74:75]
	global_store_dword v[76:77], v65, off
	v_mov_b32_e32 v76, s65
	v_add_co_u32_e32 v74, vcc, s64, v74
	v_addc_co_u32_e32 v75, vcc, v76, v75, vcc
	s_waitcnt vmcnt(1)
	global_store_dwordx2 v[74:75], v[72:73], off
	s_or_b64 exec, exec, s[50:51]
	s_and_saveexec_b64 s[50:51], s[92:93]
	s_cbranch_execz .LBB181_124
.LBB181_140:                            ;   in Loop: Header=BB181_21 Depth=1
	v_add_co_u32_e32 v72, vcc, v51, v62
	v_addc_co_u32_e32 v73, vcc, 0, v71, vcc
	v_add_co_u32_e32 v74, vcc, v60, v46
	v_addc_co_u32_e32 v75, vcc, v61, v47, vcc
	v_cndmask_b32_e64 v73, v75, v73, s[0:1]
	v_cndmask_b32_e64 v72, v74, v72, s[0:1]
	global_load_dwordx2 v[72:73], v[72:73], off offset:1536
	v_add_co_u32_e32 v74, vcc, v50, v0
	v_addc_co_u32_e32 v75, vcc, 0, v17, vcc
	v_lshlrev_b64 v[76:77], 2, v[74:75]
	v_mov_b32_e32 v78, s67
	v_add_co_u32_e32 v76, vcc, s66, v76
	v_addc_co_u32_e32 v77, vcc, v78, v77, vcc
	v_lshlrev_b64 v[74:75], 3, v[74:75]
	global_store_dword v[76:77], v64, off
	v_mov_b32_e32 v76, s69
	v_add_co_u32_e32 v74, vcc, s68, v74
	v_addc_co_u32_e32 v75, vcc, v76, v75, vcc
	s_waitcnt vmcnt(1)
	global_store_dwordx2 v[74:75], v[72:73], off
	s_or_b64 exec, exec, s[50:51]
	s_and_saveexec_b64 s[50:51], s[16:17]
	s_cbranch_execnz .LBB181_125
	s_branch .LBB181_126
.LBB181_141:                            ;   in Loop: Header=BB181_21 Depth=1
	v_add_co_u32_e32 v72, vcc, v51, v62
	v_addc_co_u32_e32 v73, vcc, 0, v71, vcc
	v_add_co_u32_e32 v74, vcc, v60, v34
	v_addc_co_u32_e32 v75, vcc, v61, v35, vcc
	;; [unrolled: 2-line block ×3, first 2 shown]
	v_cndmask_b32_e64 v73, v75, v73, s[0:1]
	v_cndmask_b32_e64 v72, v74, v72, s[0:1]
	global_load_dwordx2 v[72:73], v[72:73], off
	v_add_co_u32_e32 v74, vcc, v50, v0
	v_addc_co_u32_e32 v75, vcc, 0, v17, vcc
	v_lshlrev_b64 v[76:77], 2, v[74:75]
	v_mov_b32_e32 v78, s5
	v_add_co_u32_e32 v76, vcc, s4, v76
	v_addc_co_u32_e32 v77, vcc, v78, v77, vcc
	v_lshlrev_b64 v[74:75], 3, v[74:75]
	global_store_dword v[76:77], v63, off
	v_mov_b32_e32 v63, s47
	v_add_co_u32_e32 v74, vcc, s46, v74
	v_addc_co_u32_e32 v75, vcc, v63, v75, vcc
	s_waitcnt vmcnt(1)
	global_store_dwordx2 v[74:75], v[72:73], off
	s_or_b64 exec, exec, s[50:51]
	s_and_saveexec_b64 s[50:51], s[20:21]
	s_cbranch_execz .LBB181_128
.LBB181_142:                            ;   in Loop: Header=BB181_21 Depth=1
	v_add_co_u32_e32 v63, vcc, v51, v62
	v_addc_co_u32_e32 v72, vcc, 0, v71, vcc
	v_add_co_u32_e32 v63, vcc, s72, v63
	v_addc_co_u32_e32 v72, vcc, 0, v72, vcc
	;; [unrolled: 2-line block ×4, first 2 shown]
	v_cndmask_b32_e64 v73, v73, v72, s[0:1]
	v_cndmask_b32_e64 v72, v75, v63, s[0:1]
	global_load_dwordx2 v[72:73], v[72:73], off
	v_add_co_u32_e32 v74, vcc, v50, v0
	v_addc_co_u32_e32 v75, vcc, 0, v17, vcc
	v_lshlrev_b64 v[76:77], 2, v[74:75]
	v_mov_b32_e32 v63, s33
	v_add_co_u32_e32 v76, vcc, s39, v76
	v_addc_co_u32_e32 v77, vcc, v63, v77, vcc
	v_lshlrev_b64 v[74:75], 3, v[74:75]
	v_mov_b32_e32 v63, s53
	v_add_co_u32_e32 v74, vcc, s52, v74
	v_addc_co_u32_e32 v75, vcc, v63, v75, vcc
	global_store_dword v[76:77], v69, off
	s_waitcnt vmcnt(1)
	global_store_dwordx2 v[74:75], v[72:73], off
	s_or_b64 exec, exec, s[50:51]
	s_and_saveexec_b64 s[50:51], s[22:23]
	s_cbranch_execz .LBB181_129
.LBB181_143:                            ;   in Loop: Header=BB181_21 Depth=1
	v_add_co_u32_e32 v63, vcc, v51, v62
	v_addc_co_u32_e32 v69, vcc, 0, v71, vcc
	v_add_co_u32_e32 v63, vcc, s73, v63
	v_addc_co_u32_e32 v69, vcc, 0, v69, vcc
	;; [unrolled: 2-line block ×4, first 2 shown]
	v_cndmask_b32_e64 v73, v73, v69, s[0:1]
	v_cndmask_b32_e64 v72, v72, v63, s[0:1]
	global_load_dwordx2 v[72:73], v[72:73], off
	v_add_co_u32_e32 v74, vcc, v50, v0
	v_addc_co_u32_e32 v75, vcc, 0, v17, vcc
	v_lshlrev_b64 v[76:77], 2, v[74:75]
	v_mov_b32_e32 v63, s55
	v_add_co_u32_e32 v76, vcc, s54, v76
	v_addc_co_u32_e32 v77, vcc, v63, v77, vcc
	global_store_dword v[76:77], v68, off
	v_lshlrev_b64 v[68:69], 3, v[74:75]
	v_mov_b32_e32 v63, s57
	v_add_co_u32_e32 v68, vcc, s56, v68
	v_addc_co_u32_e32 v69, vcc, v63, v69, vcc
	s_waitcnt vmcnt(1)
	global_store_dwordx2 v[68:69], v[72:73], off
	s_or_b64 exec, exec, s[50:51]
	s_and_saveexec_b64 s[50:51], s[24:25]
	s_cbranch_execz .LBB181_130
.LBB181_144:                            ;   in Loop: Header=BB181_21 Depth=1
	v_add_co_u32_e32 v63, vcc, v51, v62
	v_addc_co_u32_e32 v68, vcc, 0, v71, vcc
	v_add_co_u32_e32 v63, vcc, s74, v63
	v_addc_co_u32_e32 v68, vcc, 0, v68, vcc
	;; [unrolled: 2-line block ×4, first 2 shown]
	v_cndmask_b32_e64 v69, v69, v68, s[0:1]
	v_cndmask_b32_e64 v68, v73, v63, s[0:1]
	global_load_dwordx2 v[68:69], v[68:69], off
	v_add_co_u32_e32 v72, vcc, v50, v0
	v_addc_co_u32_e32 v73, vcc, 0, v17, vcc
	v_lshlrev_b64 v[74:75], 2, v[72:73]
	v_mov_b32_e32 v63, s11
	v_add_co_u32_e32 v74, vcc, s10, v74
	v_addc_co_u32_e32 v75, vcc, v63, v75, vcc
	v_lshlrev_b64 v[72:73], 3, v[72:73]
	v_mov_b32_e32 v63, s59
	v_add_co_u32_e32 v72, vcc, s58, v72
	v_addc_co_u32_e32 v73, vcc, v63, v73, vcc
	global_store_dword v[74:75], v67, off
	s_waitcnt vmcnt(1)
	global_store_dwordx2 v[72:73], v[68:69], off
	s_or_b64 exec, exec, s[50:51]
	s_and_saveexec_b64 s[50:51], s[26:27]
	s_cbranch_execz .LBB181_131
.LBB181_145:                            ;   in Loop: Header=BB181_21 Depth=1
	v_add_co_u32_e32 v63, vcc, v51, v62
	v_addc_co_u32_e32 v67, vcc, 0, v71, vcc
	v_add_co_u32_e32 v63, vcc, s75, v63
	v_addc_co_u32_e32 v67, vcc, 0, v67, vcc
	;; [unrolled: 2-line block ×4, first 2 shown]
	v_cndmask_b32_e64 v69, v69, v67, s[0:1]
	v_cndmask_b32_e64 v68, v68, v63, s[0:1]
	global_load_dwordx2 v[68:69], v[68:69], off
	v_add_co_u32_e32 v72, vcc, v50, v0
	v_addc_co_u32_e32 v73, vcc, 0, v17, vcc
	v_lshlrev_b64 v[74:75], 2, v[72:73]
	v_mov_b32_e32 v63, s61
	v_add_co_u32_e32 v74, vcc, s60, v74
	v_addc_co_u32_e32 v75, vcc, v63, v75, vcc
	global_store_dword v[74:75], v66, off
	v_lshlrev_b64 v[66:67], 3, v[72:73]
	v_mov_b32_e32 v63, s63
	v_add_co_u32_e32 v66, vcc, s62, v66
	v_addc_co_u32_e32 v67, vcc, v63, v67, vcc
	s_waitcnt vmcnt(1)
	global_store_dwordx2 v[66:67], v[68:69], off
	s_or_b64 exec, exec, s[50:51]
	s_and_saveexec_b64 s[50:51], s[28:29]
	s_cbranch_execz .LBB181_132
.LBB181_146:                            ;   in Loop: Header=BB181_21 Depth=1
	v_add_co_u32_e32 v63, vcc, v51, v62
	v_addc_co_u32_e32 v66, vcc, 0, v71, vcc
	v_add_co_u32_e32 v63, vcc, s76, v63
	v_addc_co_u32_e32 v66, vcc, 0, v66, vcc
	;; [unrolled: 2-line block ×4, first 2 shown]
	v_cndmask_b32_e64 v67, v67, v66, s[0:1]
	v_cndmask_b32_e64 v66, v69, v63, s[0:1]
	global_load_dwordx2 v[66:67], v[66:67], off
	v_add_co_u32_e32 v68, vcc, v50, v0
	v_addc_co_u32_e32 v69, vcc, 0, v17, vcc
	v_lshlrev_b64 v[72:73], 2, v[68:69]
	v_mov_b32_e32 v63, s3
	v_add_co_u32_e32 v72, vcc, s2, v72
	v_addc_co_u32_e32 v73, vcc, v63, v73, vcc
	v_lshlrev_b64 v[68:69], 3, v[68:69]
	v_mov_b32_e32 v63, s65
	v_add_co_u32_e32 v68, vcc, s64, v68
	v_addc_co_u32_e32 v69, vcc, v63, v69, vcc
	global_store_dword v[72:73], v65, off
	s_waitcnt vmcnt(1)
	global_store_dwordx2 v[68:69], v[66:67], off
	s_or_b64 exec, exec, s[50:51]
	s_and_saveexec_b64 s[50:51], s[30:31]
	s_cbranch_execz .LBB181_133
.LBB181_147:                            ;   in Loop: Header=BB181_21 Depth=1
	v_add_co_u32_e32 v63, vcc, v51, v62
	v_addc_co_u32_e32 v65, vcc, 0, v71, vcc
	v_add_co_u32_e32 v63, vcc, s77, v63
	v_addc_co_u32_e32 v65, vcc, 0, v65, vcc
	;; [unrolled: 2-line block ×4, first 2 shown]
	v_cndmask_b32_e64 v67, v67, v65, s[0:1]
	v_cndmask_b32_e64 v66, v66, v63, s[0:1]
	global_load_dwordx2 v[66:67], v[66:67], off
	v_add_co_u32_e32 v68, vcc, v50, v0
	v_addc_co_u32_e32 v69, vcc, 0, v17, vcc
	v_lshlrev_b64 v[72:73], 2, v[68:69]
	v_mov_b32_e32 v63, s67
	v_add_co_u32_e32 v72, vcc, s66, v72
	v_addc_co_u32_e32 v73, vcc, v63, v73, vcc
	global_store_dword v[72:73], v64, off
	v_lshlrev_b64 v[64:65], 3, v[68:69]
	v_mov_b32_e32 v63, s69
	v_add_co_u32_e32 v64, vcc, s68, v64
	v_addc_co_u32_e32 v65, vcc, v63, v65, vcc
	s_waitcnt vmcnt(1)
	global_store_dwordx2 v[64:65], v[66:67], off
	s_or_b64 exec, exec, s[50:51]
	s_and_saveexec_b64 s[50:51], s[18:19]
	s_cbranch_execz .LBB181_20
.LBB181_148:                            ;   in Loop: Header=BB181_21 Depth=1
	v_add_co_u32_e32 v51, vcc, v51, v62
	v_addc_co_u32_e32 v62, vcc, 0, v71, vcc
	v_add_co_u32_e32 v60, vcc, v60, v48
	v_addc_co_u32_e32 v61, vcc, v61, v49, vcc
	v_cndmask_b32_e64 v61, v61, v62, s[0:1]
	v_cndmask_b32_e64 v60, v60, v51, s[0:1]
	global_load_dwordx2 v[60:61], v[60:61], off offset:1792
	v_add_co_u32_e32 v50, vcc, v50, v0
	v_addc_co_u32_e32 v51, vcc, 0, v17, vcc
	v_lshlrev_b64 v[62:63], 2, v[50:51]
	v_mov_b32_e32 v17, s13
	v_add_co_u32_e32 v62, vcc, s12, v62
	v_addc_co_u32_e32 v63, vcc, v17, v63, vcc
	v_lshlrev_b64 v[50:51], 3, v[50:51]
	v_mov_b32_e32 v17, s71
	v_add_co_u32_e32 v50, vcc, s70, v50
	v_addc_co_u32_e32 v51, vcc, v17, v51, vcc
	global_store_dword v[62:63], v70, off
	s_waitcnt vmcnt(1)
	global_store_dwordx2 v[50:51], v[60:61], off
	s_branch .LBB181_20
.LBB181_149:
	s_endpgm
	.section	.rodata,"a",@progbits
	.p2align	6, 0x0
	.amdhsa_kernel _ZN9rocsparseL35bsr2csr_block_per_row_33_256_kernelILj1024ELj256ELj32E21rocsparse_complex_numIfEliEEv20rocsparse_direction_T4_S4_21rocsparse_index_base_PKT2_PKT3_PKS4_S4_S5_PS6_PS9_PS4_
		.amdhsa_group_segment_fixed_size 0
		.amdhsa_private_segment_fixed_size 0
		.amdhsa_kernarg_size 72
		.amdhsa_user_sgpr_count 6
		.amdhsa_user_sgpr_private_segment_buffer 1
		.amdhsa_user_sgpr_dispatch_ptr 0
		.amdhsa_user_sgpr_queue_ptr 0
		.amdhsa_user_sgpr_kernarg_segment_ptr 1
		.amdhsa_user_sgpr_dispatch_id 0
		.amdhsa_user_sgpr_flat_scratch_init 0
		.amdhsa_user_sgpr_kernarg_preload_length 0
		.amdhsa_user_sgpr_kernarg_preload_offset 0
		.amdhsa_user_sgpr_private_segment_size 0
		.amdhsa_uses_dynamic_stack 0
		.amdhsa_system_sgpr_private_segment_wavefront_offset 0
		.amdhsa_system_sgpr_workgroup_id_x 1
		.amdhsa_system_sgpr_workgroup_id_y 0
		.amdhsa_system_sgpr_workgroup_id_z 0
		.amdhsa_system_sgpr_workgroup_info 0
		.amdhsa_system_vgpr_workitem_id 0
		.amdhsa_next_free_vgpr 81
		.amdhsa_next_free_sgpr 96
		.amdhsa_accum_offset 84
		.amdhsa_reserve_vcc 1
		.amdhsa_reserve_flat_scratch 0
		.amdhsa_float_round_mode_32 0
		.amdhsa_float_round_mode_16_64 0
		.amdhsa_float_denorm_mode_32 3
		.amdhsa_float_denorm_mode_16_64 3
		.amdhsa_dx10_clamp 1
		.amdhsa_ieee_mode 1
		.amdhsa_fp16_overflow 0
		.amdhsa_tg_split 0
		.amdhsa_exception_fp_ieee_invalid_op 0
		.amdhsa_exception_fp_denorm_src 0
		.amdhsa_exception_fp_ieee_div_zero 0
		.amdhsa_exception_fp_ieee_overflow 0
		.amdhsa_exception_fp_ieee_underflow 0
		.amdhsa_exception_fp_ieee_inexact 0
		.amdhsa_exception_int_div_zero 0
	.end_amdhsa_kernel
	.section	.text._ZN9rocsparseL35bsr2csr_block_per_row_33_256_kernelILj1024ELj256ELj32E21rocsparse_complex_numIfEliEEv20rocsparse_direction_T4_S4_21rocsparse_index_base_PKT2_PKT3_PKS4_S4_S5_PS6_PS9_PS4_,"axG",@progbits,_ZN9rocsparseL35bsr2csr_block_per_row_33_256_kernelILj1024ELj256ELj32E21rocsparse_complex_numIfEliEEv20rocsparse_direction_T4_S4_21rocsparse_index_base_PKT2_PKT3_PKS4_S4_S5_PS6_PS9_PS4_,comdat
.Lfunc_end181:
	.size	_ZN9rocsparseL35bsr2csr_block_per_row_33_256_kernelILj1024ELj256ELj32E21rocsparse_complex_numIfEliEEv20rocsparse_direction_T4_S4_21rocsparse_index_base_PKT2_PKT3_PKS4_S4_S5_PS6_PS9_PS4_, .Lfunc_end181-_ZN9rocsparseL35bsr2csr_block_per_row_33_256_kernelILj1024ELj256ELj32E21rocsparse_complex_numIfEliEEv20rocsparse_direction_T4_S4_21rocsparse_index_base_PKT2_PKT3_PKS4_S4_S5_PS6_PS9_PS4_
                                        ; -- End function
	.section	.AMDGPU.csdata,"",@progbits
; Kernel info:
; codeLenInByte = 13488
; NumSgprs: 100
; NumVgprs: 81
; NumAgprs: 0
; TotalNumVgprs: 81
; ScratchSize: 0
; MemoryBound: 0
; FloatMode: 240
; IeeeMode: 1
; LDSByteSize: 0 bytes/workgroup (compile time only)
; SGPRBlocks: 12
; VGPRBlocks: 10
; NumSGPRsForWavesPerEU: 100
; NumVGPRsForWavesPerEU: 81
; AccumOffset: 84
; Occupancy: 5
; WaveLimiterHint : 1
; COMPUTE_PGM_RSRC2:SCRATCH_EN: 0
; COMPUTE_PGM_RSRC2:USER_SGPR: 6
; COMPUTE_PGM_RSRC2:TRAP_HANDLER: 0
; COMPUTE_PGM_RSRC2:TGID_X_EN: 1
; COMPUTE_PGM_RSRC2:TGID_Y_EN: 0
; COMPUTE_PGM_RSRC2:TGID_Z_EN: 0
; COMPUTE_PGM_RSRC2:TIDIG_COMP_CNT: 0
; COMPUTE_PGM_RSRC3_GFX90A:ACCUM_OFFSET: 20
; COMPUTE_PGM_RSRC3_GFX90A:TG_SPLIT: 0
	.section	.text._ZN9rocsparseL35bsr2csr_block_dim_equals_one_kernelILj1024E21rocsparse_complex_numIfEilEEvT2_S3_21rocsparse_index_base_PKT0_PKT1_PKS3_S4_PS5_PS8_PS3_,"axG",@progbits,_ZN9rocsparseL35bsr2csr_block_dim_equals_one_kernelILj1024E21rocsparse_complex_numIfEilEEvT2_S3_21rocsparse_index_base_PKT0_PKT1_PKS3_S4_PS5_PS8_PS3_,comdat
	.globl	_ZN9rocsparseL35bsr2csr_block_dim_equals_one_kernelILj1024E21rocsparse_complex_numIfEilEEvT2_S3_21rocsparse_index_base_PKT0_PKT1_PKS3_S4_PS5_PS8_PS3_ ; -- Begin function _ZN9rocsparseL35bsr2csr_block_dim_equals_one_kernelILj1024E21rocsparse_complex_numIfEilEEvT2_S3_21rocsparse_index_base_PKT0_PKT1_PKS3_S4_PS5_PS8_PS3_
	.p2align	8
	.type	_ZN9rocsparseL35bsr2csr_block_dim_equals_one_kernelILj1024E21rocsparse_complex_numIfEilEEvT2_S3_21rocsparse_index_base_PKT0_PKT1_PKS3_S4_PS5_PS8_PS3_,@function
_ZN9rocsparseL35bsr2csr_block_dim_equals_one_kernelILj1024E21rocsparse_complex_numIfEilEEvT2_S3_21rocsparse_index_base_PKT0_PKT1_PKS3_S4_PS5_PS8_PS3_: ; @_ZN9rocsparseL35bsr2csr_block_dim_equals_one_kernelILj1024E21rocsparse_complex_numIfEilEEvT2_S3_21rocsparse_index_base_PKT0_PKT1_PKS3_S4_PS5_PS8_PS3_
; %bb.0:
	v_lshl_or_b32 v0, s6, 10, v0
	v_mov_b32_e32 v1, 0
	s_load_dwordx2 s[14:15], s[4:5], 0x0
	s_load_dword s20, s[4:5], 0x10
	s_load_dwordx4 s[0:3], s[4:5], 0x18
	s_load_dwordx2 s[8:9], s[4:5], 0x28
	s_load_dword s21, s[4:5], 0x30
	s_load_dwordx2 s[10:11], s[4:5], 0x48
	s_load_dwordx2 s[12:13], s[4:5], 0x38
	s_waitcnt lgkmcnt(0)
	v_cmp_gt_i64_e32 vcc, s[14:15], v[0:1]
	s_and_saveexec_b64 s[6:7], vcc
	s_cbranch_execz .LBB182_6
; %bb.1:
	s_load_dwordx2 s[16:17], s[4:5], 0x40
	v_cmp_ne_u32_e32 vcc, 0, v0
                                        ; implicit-def: $sgpr22
	s_and_saveexec_b64 s[18:19], vcc
	s_xor_b64 s[18:19], exec, s[18:19]
; %bb.2:
	s_sub_i32 s22, s21, s20
; %bb.3:
	s_or_saveexec_b64 s[18:19], s[18:19]
	v_mov_b32_e32 v2, s22
	s_xor_b64 exec, exec, s[18:19]
	s_cbranch_execz .LBB182_5
; %bb.4:
	s_load_dword s22, s[2:3], 0x0
	s_sub_i32 s23, s21, s20
	v_mov_b32_e32 v2, 0
	s_waitcnt lgkmcnt(0)
	s_add_i32 s22, s23, s22
	v_mov_b32_e32 v3, s22
	global_store_dword v2, v3, s[16:17]
	v_mov_b32_e32 v2, s23
.LBB182_5:
	s_or_b64 exec, exec, s[18:19]
	v_lshlrev_b64 v[4:5], 2, v[0:1]
	v_mov_b32_e32 v3, s3
	v_add_co_u32_e32 v6, vcc, s2, v4
	v_addc_co_u32_e32 v7, vcc, v3, v5, vcc
	global_load_dword v3, v[6:7], off offset:4
	s_waitcnt lgkmcnt(0)
	v_mov_b32_e32 v6, s17
	s_waitcnt vmcnt(0)
	v_add_u32_e32 v7, v2, v3
	v_add_co_u32_e32 v2, vcc, s16, v4
	v_addc_co_u32_e32 v3, vcc, v6, v5, vcc
	global_store_dword v[2:3], v7, off offset:4
.LBB182_6:
	s_or_b64 exec, exec, s[6:7]
	s_lshl_b64 s[6:7], s[14:15], 2
	s_add_u32 s6, s2, s6
	s_addc_u32 s7, s3, s7
	s_load_dword s14, s[6:7], 0x0
	s_load_dword s15, s[2:3], 0x0
	s_waitcnt lgkmcnt(0)
	s_sub_i32 s2, s14, s15
	s_ashr_i32 s3, s2, 31
	v_cmp_gt_i64_e32 vcc, s[2:3], v[0:1]
	s_and_saveexec_b64 s[6:7], vcc
	s_cbranch_execz .LBB182_9
; %bb.7:
	s_load_dword s4, s[4:5], 0x50
	s_sub_u32 s16, s21, s20
	s_mov_b32 s5, 0
	s_subb_u32 s17, 0, 0
	v_lshlrev_b64 v[2:3], 3, v[0:1]
	s_waitcnt lgkmcnt(0)
	s_lshl_b32 s4, s4, 10
	s_lshl_b64 s[6:7], s[4:5], 3
	s_mov_b64 s[14:15], 0
	v_mov_b32_e32 v4, s9
	v_mov_b32_e32 v5, s17
	;; [unrolled: 1-line block ×7, first 2 shown]
.LBB182_8:                              ; =>This Inner Loop Header: Depth=1
	v_add_co_u32_e32 v12, vcc, s8, v2
	v_addc_co_u32_e32 v13, vcc, v4, v3, vcc
	v_add_co_u32_e32 v14, vcc, s0, v2
	v_addc_co_u32_e32 v15, vcc, v7, v3, vcc
	global_load_dwordx2 v[16:17], v[12:13], off
	global_load_dwordx2 v[18:19], v[14:15], off
	v_add_co_u32_e32 v12, vcc, s10, v2
	v_addc_co_u32_e32 v13, vcc, v6, v3, vcc
	v_add_co_u32_e32 v14, vcc, s12, v2
	v_addc_co_u32_e32 v15, vcc, v8, v3, vcc
	;; [unrolled: 2-line block ×4, first 2 shown]
	v_cmp_le_i64_e32 vcc, s[2:3], v[0:1]
	s_or_b64 s[14:15], vcc, s[14:15]
	s_waitcnt vmcnt(1)
	v_add_co_u32_e32 v16, vcc, s16, v16
	v_addc_co_u32_e32 v17, vcc, v5, v17, vcc
	s_waitcnt vmcnt(0)
	global_store_dwordx2 v[14:15], v[18:19], off
	global_store_dwordx2 v[12:13], v[16:17], off
	s_andn2_b64 exec, exec, s[14:15]
	s_cbranch_execnz .LBB182_8
.LBB182_9:
	s_endpgm
	.section	.rodata,"a",@progbits
	.p2align	6, 0x0
	.amdhsa_kernel _ZN9rocsparseL35bsr2csr_block_dim_equals_one_kernelILj1024E21rocsparse_complex_numIfEilEEvT2_S3_21rocsparse_index_base_PKT0_PKT1_PKS3_S4_PS5_PS8_PS3_
		.amdhsa_group_segment_fixed_size 0
		.amdhsa_private_segment_fixed_size 0
		.amdhsa_kernarg_size 336
		.amdhsa_user_sgpr_count 6
		.amdhsa_user_sgpr_private_segment_buffer 1
		.amdhsa_user_sgpr_dispatch_ptr 0
		.amdhsa_user_sgpr_queue_ptr 0
		.amdhsa_user_sgpr_kernarg_segment_ptr 1
		.amdhsa_user_sgpr_dispatch_id 0
		.amdhsa_user_sgpr_flat_scratch_init 0
		.amdhsa_user_sgpr_kernarg_preload_length 0
		.amdhsa_user_sgpr_kernarg_preload_offset 0
		.amdhsa_user_sgpr_private_segment_size 0
		.amdhsa_uses_dynamic_stack 0
		.amdhsa_system_sgpr_private_segment_wavefront_offset 0
		.amdhsa_system_sgpr_workgroup_id_x 1
		.amdhsa_system_sgpr_workgroup_id_y 0
		.amdhsa_system_sgpr_workgroup_id_z 0
		.amdhsa_system_sgpr_workgroup_info 0
		.amdhsa_system_vgpr_workitem_id 0
		.amdhsa_next_free_vgpr 20
		.amdhsa_next_free_sgpr 24
		.amdhsa_accum_offset 20
		.amdhsa_reserve_vcc 1
		.amdhsa_reserve_flat_scratch 0
		.amdhsa_float_round_mode_32 0
		.amdhsa_float_round_mode_16_64 0
		.amdhsa_float_denorm_mode_32 3
		.amdhsa_float_denorm_mode_16_64 3
		.amdhsa_dx10_clamp 1
		.amdhsa_ieee_mode 1
		.amdhsa_fp16_overflow 0
		.amdhsa_tg_split 0
		.amdhsa_exception_fp_ieee_invalid_op 0
		.amdhsa_exception_fp_denorm_src 0
		.amdhsa_exception_fp_ieee_div_zero 0
		.amdhsa_exception_fp_ieee_overflow 0
		.amdhsa_exception_fp_ieee_underflow 0
		.amdhsa_exception_fp_ieee_inexact 0
		.amdhsa_exception_int_div_zero 0
	.end_amdhsa_kernel
	.section	.text._ZN9rocsparseL35bsr2csr_block_dim_equals_one_kernelILj1024E21rocsparse_complex_numIfEilEEvT2_S3_21rocsparse_index_base_PKT0_PKT1_PKS3_S4_PS5_PS8_PS3_,"axG",@progbits,_ZN9rocsparseL35bsr2csr_block_dim_equals_one_kernelILj1024E21rocsparse_complex_numIfEilEEvT2_S3_21rocsparse_index_base_PKT0_PKT1_PKS3_S4_PS5_PS8_PS3_,comdat
.Lfunc_end182:
	.size	_ZN9rocsparseL35bsr2csr_block_dim_equals_one_kernelILj1024E21rocsparse_complex_numIfEilEEvT2_S3_21rocsparse_index_base_PKT0_PKT1_PKS3_S4_PS5_PS8_PS3_, .Lfunc_end182-_ZN9rocsparseL35bsr2csr_block_dim_equals_one_kernelILj1024E21rocsparse_complex_numIfEilEEvT2_S3_21rocsparse_index_base_PKT0_PKT1_PKS3_S4_PS5_PS8_PS3_
                                        ; -- End function
	.section	.AMDGPU.csdata,"",@progbits
; Kernel info:
; codeLenInByte = 472
; NumSgprs: 28
; NumVgprs: 20
; NumAgprs: 0
; TotalNumVgprs: 20
; ScratchSize: 0
; MemoryBound: 0
; FloatMode: 240
; IeeeMode: 1
; LDSByteSize: 0 bytes/workgroup (compile time only)
; SGPRBlocks: 3
; VGPRBlocks: 2
; NumSGPRsForWavesPerEU: 28
; NumVGPRsForWavesPerEU: 20
; AccumOffset: 20
; Occupancy: 8
; WaveLimiterHint : 0
; COMPUTE_PGM_RSRC2:SCRATCH_EN: 0
; COMPUTE_PGM_RSRC2:USER_SGPR: 6
; COMPUTE_PGM_RSRC2:TRAP_HANDLER: 0
; COMPUTE_PGM_RSRC2:TGID_X_EN: 1
; COMPUTE_PGM_RSRC2:TGID_Y_EN: 0
; COMPUTE_PGM_RSRC2:TGID_Z_EN: 0
; COMPUTE_PGM_RSRC2:TIDIG_COMP_CNT: 0
; COMPUTE_PGM_RSRC3_GFX90A:ACCUM_OFFSET: 4
; COMPUTE_PGM_RSRC3_GFX90A:TG_SPLIT: 0
	.section	.text._ZN9rocsparseL32bsr2csr_block_per_row_2_7_kernelILj256ELj2E21rocsparse_complex_numIfEilEEv20rocsparse_direction_T3_S4_21rocsparse_index_base_PKT1_PKT2_PKS4_S4_S5_PS6_PS9_PS4_,"axG",@progbits,_ZN9rocsparseL32bsr2csr_block_per_row_2_7_kernelILj256ELj2E21rocsparse_complex_numIfEilEEv20rocsparse_direction_T3_S4_21rocsparse_index_base_PKT1_PKT2_PKS4_S4_S5_PS6_PS9_PS4_,comdat
	.globl	_ZN9rocsparseL32bsr2csr_block_per_row_2_7_kernelILj256ELj2E21rocsparse_complex_numIfEilEEv20rocsparse_direction_T3_S4_21rocsparse_index_base_PKT1_PKT2_PKS4_S4_S5_PS6_PS9_PS4_ ; -- Begin function _ZN9rocsparseL32bsr2csr_block_per_row_2_7_kernelILj256ELj2E21rocsparse_complex_numIfEilEEv20rocsparse_direction_T3_S4_21rocsparse_index_base_PKT1_PKT2_PKS4_S4_S5_PS6_PS9_PS4_
	.p2align	8
	.type	_ZN9rocsparseL32bsr2csr_block_per_row_2_7_kernelILj256ELj2E21rocsparse_complex_numIfEilEEv20rocsparse_direction_T3_S4_21rocsparse_index_base_PKT1_PKT2_PKS4_S4_S5_PS6_PS9_PS4_,@function
_ZN9rocsparseL32bsr2csr_block_per_row_2_7_kernelILj256ELj2E21rocsparse_complex_numIfEilEEv20rocsparse_direction_T3_S4_21rocsparse_index_base_PKT1_PKT2_PKS4_S4_S5_PS6_PS9_PS4_: ; @_ZN9rocsparseL32bsr2csr_block_per_row_2_7_kernelILj256ELj2E21rocsparse_complex_numIfEilEEv20rocsparse_direction_T3_S4_21rocsparse_index_base_PKT1_PKT2_PKS4_S4_S5_PS6_PS9_PS4_
; %bb.0:
	s_load_dwordx2 s[0:1], s[4:5], 0x28
	s_load_dword s12, s[4:5], 0x40
	s_load_dwordx2 s[2:3], s[4:5], 0x50
	s_mov_b32 s7, 0
	s_lshl_b64 s[8:9], s[6:7], 2
	s_waitcnt lgkmcnt(0)
	s_add_u32 s0, s0, s8
	s_addc_u32 s1, s1, s9
	s_load_dwordx2 s[0:1], s[0:1], 0x0
	v_or_b32_e32 v1, s6, v0
	v_cmp_eq_u32_e32 vcc, 0, v1
	s_and_saveexec_b64 s[8:9], vcc
	s_cbranch_execz .LBB183_2
; %bb.1:
	v_mov_b32_e32 v1, 0
	v_mov_b32_e32 v2, s12
	global_store_dword v1, v2, s[2:3]
.LBB183_2:
	s_or_b64 exec, exec, s[8:9]
	s_load_dword s13, s[4:5], 0x18
	v_and_b32_e32 v10, 1, v0
	s_lshl_b64 s[6:7], s[6:7], 3
	v_lshl_or_b32 v3, v10, 2, s6
	v_mov_b32_e32 v5, s7
	s_waitcnt lgkmcnt(0)
	s_sub_i32 s8, s0, s13
	s_sub_i32 s14, s1, s13
	;; [unrolled: 1-line block ×3, first 2 shown]
	s_lshl_b32 s9, s9, 1
	s_lshl_b32 s1, s8, 2
	v_mul_lo_u32 v2, s9, v10
	s_add_i32 s9, s9, s12
	s_add_i32 s9, s9, s1
	v_mov_b32_e32 v6, s3
	v_add_co_u32_e32 v4, vcc, s2, v3
	v_lshrrev_b32_e32 v1, 1, v0
	v_add_u32_e32 v0, s9, v2
	v_addc_co_u32_e32 v5, vcc, v6, v5, vcc
	global_store_dword v[4:5], v0, off offset:4
	v_add_u32_e32 v0, s8, v1
	v_cmp_gt_i32_e32 vcc, s14, v0
	s_and_saveexec_b64 s[2:3], vcc
	s_cbranch_execz .LBB183_5
; %bb.3:
	s_load_dwordx2 s[2:3], s[4:5], 0x30
	s_load_dwordx2 s[6:7], s[4:5], 0x48
	;; [unrolled: 1-line block ×3, first 2 shown]
	s_load_dword s1, s[4:5], 0x0
	s_load_dwordx2 s[10:11], s[4:5], 0x58
	v_lshlrev_b32_e32 v1, 1, v1
	v_mov_b32_e32 v3, 0
	s_mov_b32 s17, 0
	s_waitcnt lgkmcnt(0)
	s_cmp_eq_u32 s1, 0
	s_cselect_b64 vcc, -1, 0
	s_add_u32 s15, s8, 8
	s_addc_u32 s1, s9, 0
	s_add_u32 s16, s8, 16
	s_addc_u32 s19, s9, 0
	s_lshl_b32 s0, s0, 2
	v_add3_u32 v1, v2, s0, v1
	s_lshl_b32 s0, s13, 2
	v_lshlrev_b32_e32 v4, 1, v10
	v_mov_b32_e32 v5, v3
	v_subrev_u32_e32 v6, s0, v1
	v_lshlrev_b32_e32 v11, 2, v0
	s_mov_b64 s[4:5], 0
	v_mov_b32_e32 v12, s3
	v_mov_b32_e32 v13, s17
	;; [unrolled: 1-line block ×9, first 2 shown]
.LBB183_4:                              ; =>This Inner Loop Header: Depth=1
	v_ashrrev_i32_e32 v1, 31, v0
	v_lshlrev_b64 v[22:23], 3, v[0:1]
	v_add_u32_e32 v2, v10, v11
	v_or_b32_e32 v20, v4, v11
	v_mov_b32_e32 v21, v5
	v_add_co_u32_e64 v22, s[0:1], s2, v22
	v_cndmask_b32_e32 v8, v2, v20, vcc
	v_lshlrev_b64 v[20:21], 3, v[20:21]
	v_addc_co_u32_e64 v23, s[0:1], v12, v23, s[0:1]
	v_add_co_u32_e64 v1, s[0:1], s15, v20
	v_lshlrev_b64 v[24:25], 3, v[2:3]
	v_addc_co_u32_e64 v2, s[0:1], v18, v21, s[0:1]
	v_add_co_u32_e64 v7, s[0:1], s16, v24
	v_lshlrev_b64 v[26:27], 3, v[8:9]
	v_addc_co_u32_e64 v8, s[0:1], v19, v25, s[0:1]
	global_load_dwordx2 v[24:25], v[22:23], off
	v_add_co_u32_e64 v26, s[0:1], s8, v26
	v_addc_co_u32_e64 v27, s[0:1], v16, v27, s[0:1]
	v_cndmask_b32_e32 v29, v8, v2, vcc
	v_cndmask_b32_e32 v28, v7, v1, vcc
	global_load_dwordx2 v[20:21], v[26:27], off
	global_load_dwordx2 v[22:23], v[28:29], off
	v_ashrrev_i32_e32 v7, 31, v6
	v_lshlrev_b64 v[26:27], 3, v[6:7]
	v_add_co_u32_e64 v28, s[0:1], s10, v26
	v_addc_co_u32_e64 v29, s[0:1], v15, v27, s[0:1]
	v_add_co_u32_e64 v26, s[0:1], s6, v26
	v_add_u32_e32 v0, 0x80, v0
	v_addc_co_u32_e64 v27, s[0:1], v17, v27, s[0:1]
	v_cmp_le_i32_e64 s[0:1], s14, v0
	s_or_b64 s[4:5], s[0:1], s[4:5]
	v_add_u32_e32 v11, 0x200, v11
	v_add_u32_e32 v6, 0x100, v6
	s_waitcnt vmcnt(2)
	v_subrev_co_u32_e64 v24, s[0:1], s13, v24
	v_subb_co_u32_e64 v25, s[0:1], v25, v13, s[0:1]
	v_lshlrev_b64 v[24:25], 1, v[24:25]
	s_waitcnt vmcnt(0)
	global_store_dwordx4 v[26:27], v[20:23], off
	s_nop 0
	v_add_co_u32_e64 v20, s[0:1], s12, v24
	v_addc_co_u32_e64 v21, s[0:1], v25, v14, s[0:1]
	v_add_co_u32_e64 v22, s[0:1], 1, v20
	v_addc_co_u32_e64 v23, s[0:1], 0, v21, s[0:1]
	global_store_dwordx4 v[28:29], v[20:23], off
	s_andn2_b64 exec, exec, s[4:5]
	s_cbranch_execnz .LBB183_4
.LBB183_5:
	s_endpgm
	.section	.rodata,"a",@progbits
	.p2align	6, 0x0
	.amdhsa_kernel _ZN9rocsparseL32bsr2csr_block_per_row_2_7_kernelILj256ELj2E21rocsparse_complex_numIfEilEEv20rocsparse_direction_T3_S4_21rocsparse_index_base_PKT1_PKT2_PKS4_S4_S5_PS6_PS9_PS4_
		.amdhsa_group_segment_fixed_size 0
		.amdhsa_private_segment_fixed_size 0
		.amdhsa_kernarg_size 96
		.amdhsa_user_sgpr_count 6
		.amdhsa_user_sgpr_private_segment_buffer 1
		.amdhsa_user_sgpr_dispatch_ptr 0
		.amdhsa_user_sgpr_queue_ptr 0
		.amdhsa_user_sgpr_kernarg_segment_ptr 1
		.amdhsa_user_sgpr_dispatch_id 0
		.amdhsa_user_sgpr_flat_scratch_init 0
		.amdhsa_user_sgpr_kernarg_preload_length 0
		.amdhsa_user_sgpr_kernarg_preload_offset 0
		.amdhsa_user_sgpr_private_segment_size 0
		.amdhsa_uses_dynamic_stack 0
		.amdhsa_system_sgpr_private_segment_wavefront_offset 0
		.amdhsa_system_sgpr_workgroup_id_x 1
		.amdhsa_system_sgpr_workgroup_id_y 0
		.amdhsa_system_sgpr_workgroup_id_z 0
		.amdhsa_system_sgpr_workgroup_info 0
		.amdhsa_system_vgpr_workitem_id 0
		.amdhsa_next_free_vgpr 30
		.amdhsa_next_free_sgpr 20
		.amdhsa_accum_offset 32
		.amdhsa_reserve_vcc 1
		.amdhsa_reserve_flat_scratch 0
		.amdhsa_float_round_mode_32 0
		.amdhsa_float_round_mode_16_64 0
		.amdhsa_float_denorm_mode_32 3
		.amdhsa_float_denorm_mode_16_64 3
		.amdhsa_dx10_clamp 1
		.amdhsa_ieee_mode 1
		.amdhsa_fp16_overflow 0
		.amdhsa_tg_split 0
		.amdhsa_exception_fp_ieee_invalid_op 0
		.amdhsa_exception_fp_denorm_src 0
		.amdhsa_exception_fp_ieee_div_zero 0
		.amdhsa_exception_fp_ieee_overflow 0
		.amdhsa_exception_fp_ieee_underflow 0
		.amdhsa_exception_fp_ieee_inexact 0
		.amdhsa_exception_int_div_zero 0
	.end_amdhsa_kernel
	.section	.text._ZN9rocsparseL32bsr2csr_block_per_row_2_7_kernelILj256ELj2E21rocsparse_complex_numIfEilEEv20rocsparse_direction_T3_S4_21rocsparse_index_base_PKT1_PKT2_PKS4_S4_S5_PS6_PS9_PS4_,"axG",@progbits,_ZN9rocsparseL32bsr2csr_block_per_row_2_7_kernelILj256ELj2E21rocsparse_complex_numIfEilEEv20rocsparse_direction_T3_S4_21rocsparse_index_base_PKT1_PKT2_PKS4_S4_S5_PS6_PS9_PS4_,comdat
.Lfunc_end183:
	.size	_ZN9rocsparseL32bsr2csr_block_per_row_2_7_kernelILj256ELj2E21rocsparse_complex_numIfEilEEv20rocsparse_direction_T3_S4_21rocsparse_index_base_PKT1_PKT2_PKS4_S4_S5_PS6_PS9_PS4_, .Lfunc_end183-_ZN9rocsparseL32bsr2csr_block_per_row_2_7_kernelILj256ELj2E21rocsparse_complex_numIfEilEEv20rocsparse_direction_T3_S4_21rocsparse_index_base_PKT1_PKT2_PKS4_S4_S5_PS6_PS9_PS4_
                                        ; -- End function
	.section	.AMDGPU.csdata,"",@progbits
; Kernel info:
; codeLenInByte = 676
; NumSgprs: 24
; NumVgprs: 30
; NumAgprs: 0
; TotalNumVgprs: 30
; ScratchSize: 0
; MemoryBound: 0
; FloatMode: 240
; IeeeMode: 1
; LDSByteSize: 0 bytes/workgroup (compile time only)
; SGPRBlocks: 2
; VGPRBlocks: 3
; NumSGPRsForWavesPerEU: 24
; NumVGPRsForWavesPerEU: 30
; AccumOffset: 32
; Occupancy: 8
; WaveLimiterHint : 0
; COMPUTE_PGM_RSRC2:SCRATCH_EN: 0
; COMPUTE_PGM_RSRC2:USER_SGPR: 6
; COMPUTE_PGM_RSRC2:TRAP_HANDLER: 0
; COMPUTE_PGM_RSRC2:TGID_X_EN: 1
; COMPUTE_PGM_RSRC2:TGID_Y_EN: 0
; COMPUTE_PGM_RSRC2:TGID_Z_EN: 0
; COMPUTE_PGM_RSRC2:TIDIG_COMP_CNT: 0
; COMPUTE_PGM_RSRC3_GFX90A:ACCUM_OFFSET: 7
; COMPUTE_PGM_RSRC3_GFX90A:TG_SPLIT: 0
	.section	.text._ZN9rocsparseL32bsr2csr_block_per_row_2_7_kernelILj256ELj3E21rocsparse_complex_numIfEilEEv20rocsparse_direction_T3_S4_21rocsparse_index_base_PKT1_PKT2_PKS4_S4_S5_PS6_PS9_PS4_,"axG",@progbits,_ZN9rocsparseL32bsr2csr_block_per_row_2_7_kernelILj256ELj3E21rocsparse_complex_numIfEilEEv20rocsparse_direction_T3_S4_21rocsparse_index_base_PKT1_PKT2_PKS4_S4_S5_PS6_PS9_PS4_,comdat
	.globl	_ZN9rocsparseL32bsr2csr_block_per_row_2_7_kernelILj256ELj3E21rocsparse_complex_numIfEilEEv20rocsparse_direction_T3_S4_21rocsparse_index_base_PKT1_PKT2_PKS4_S4_S5_PS6_PS9_PS4_ ; -- Begin function _ZN9rocsparseL32bsr2csr_block_per_row_2_7_kernelILj256ELj3E21rocsparse_complex_numIfEilEEv20rocsparse_direction_T3_S4_21rocsparse_index_base_PKT1_PKT2_PKS4_S4_S5_PS6_PS9_PS4_
	.p2align	8
	.type	_ZN9rocsparseL32bsr2csr_block_per_row_2_7_kernelILj256ELj3E21rocsparse_complex_numIfEilEEv20rocsparse_direction_T3_S4_21rocsparse_index_base_PKT1_PKT2_PKS4_S4_S5_PS6_PS9_PS4_,@function
_ZN9rocsparseL32bsr2csr_block_per_row_2_7_kernelILj256ELj3E21rocsparse_complex_numIfEilEEv20rocsparse_direction_T3_S4_21rocsparse_index_base_PKT1_PKT2_PKS4_S4_S5_PS6_PS9_PS4_: ; @_ZN9rocsparseL32bsr2csr_block_per_row_2_7_kernelILj256ELj3E21rocsparse_complex_numIfEilEEv20rocsparse_direction_T3_S4_21rocsparse_index_base_PKT1_PKT2_PKS4_S4_S5_PS6_PS9_PS4_
; %bb.0:
	s_load_dwordx2 s[2:3], s[4:5], 0x28
	s_load_dword s8, s[4:5], 0x40
	s_load_dwordx2 s[0:1], s[4:5], 0x50
	s_mov_b32 s7, 0
	s_lshl_b64 s[10:11], s[6:7], 2
	s_waitcnt lgkmcnt(0)
	s_add_u32 s10, s2, s10
	v_or_b32_e32 v1, s6, v0
	s_addc_u32 s11, s3, s11
	v_cmp_eq_u32_e32 vcc, 0, v1
	s_and_saveexec_b64 s[2:3], vcc
	s_cbranch_execz .LBB184_2
; %bb.1:
	v_mov_b32_e32 v1, 0
	v_mov_b32_e32 v2, s8
	global_store_dword v1, v2, s[0:1]
.LBB184_2:
	s_or_b64 exec, exec, s[2:3]
	v_and_b32_e32 v1, 3, v0
	v_cmp_ne_u32_e32 vcc, 3, v1
	s_and_saveexec_b64 s[2:3], vcc
	s_cbranch_execz .LBB184_6
; %bb.3:
	s_load_dwordx2 s[2:3], s[10:11], 0x0
	s_load_dword s14, s[4:5], 0x18
	v_lshrrev_b32_e32 v4, 2, v0
	v_lshlrev_b32_e32 v2, 2, v1
	s_waitcnt lgkmcnt(0)
	s_sub_i32 s7, s2, s14
	s_sub_i32 s15, s3, s14
	;; [unrolled: 1-line block ×3, first 2 shown]
	s_mul_i32 s9, s9, 3
	s_mul_i32 s3, s7, 9
	v_mul_lo_u32 v5, s9, v1
	s_add_i32 s9, s9, s8
	s_add_i32 s9, s9, s3
	s_mul_hi_u32 s3, s6, 12
	s_mul_i32 s6, s6, 12
	s_add_u32 s0, s0, s6
	v_add_u32_e32 v0, s9, v5
	s_addc_u32 s1, s1, s3
	global_store_dword v2, v0, s[0:1] offset:4
	v_add_u32_e32 v0, s7, v4
	v_cmp_gt_i32_e32 vcc, s15, v0
	s_and_b64 exec, exec, vcc
	s_cbranch_execz .LBB184_6
; %bb.4:
	s_load_dwordx2 s[6:7], s[4:5], 0x30
	s_load_dwordx2 s[10:11], s[4:5], 0x48
	;; [unrolled: 1-line block ×3, first 2 shown]
	s_load_dword s3, s[4:5], 0x0
	s_load_dwordx2 s[12:13], s[4:5], 0x58
	v_lshlrev_b32_e32 v2, 3, v1
	v_lshlrev_b32_e32 v1, 4, v1
	s_waitcnt lgkmcnt(0)
	v_mov_b32_e32 v7, s1
	v_add_co_u32_e64 v6, s[0:1], s0, v2
	v_addc_co_u32_e64 v7, s[0:1], 0, v7, s[0:1]
	v_add_co_u32_e64 v8, s[0:1], v6, v1
	v_addc_co_u32_e64 v9, s[0:1], 0, v7, s[0:1]
	s_mul_i32 s0, s2, 9
	v_mul_u32_u24_e32 v1, 3, v4
	s_mov_b32 s16, 0
	s_cmp_eq_u32 s3, 0
	v_add3_u32 v1, v5, s0, v1
	s_mul_i32 s0, s14, 9
	v_mov_b32_e32 v3, 0
	s_mov_b32 s9, s16
	s_cselect_b64 vcc, -1, 0
	v_lshl_add_u32 v2, v0, 3, v0
	v_subrev_u32_e32 v4, s0, v1
	s_mov_b64 s[4:5], 0
	v_mov_b32_e32 v10, s7
	v_mov_b32_e32 v11, s16
	;; [unrolled: 1-line block ×4, first 2 shown]
.LBB184_5:                              ; =>This Inner Loop Header: Depth=1
	v_ashrrev_i32_e32 v1, 31, v0
	v_lshlrev_b64 v[14:15], 3, v[2:3]
	v_lshlrev_b64 v[16:17], 3, v[0:1]
	v_add_co_u32_e64 v1, s[0:1], v6, v14
	v_addc_co_u32_e64 v5, s[0:1], v7, v15, s[0:1]
	v_add_co_u32_e64 v14, s[0:1], v8, v14
	v_addc_co_u32_e64 v15, s[0:1], v9, v15, s[0:1]
	;; [unrolled: 2-line block ×6, first 2 shown]
	v_cndmask_b32_e32 v19, v5, v15, vcc
	v_cndmask_b32_e32 v18, v1, v14, vcc
	v_add_co_u32_e64 v1, s[0:1], 48, v1
	v_addc_co_u32_e64 v5, s[0:1], 0, v5, s[0:1]
	global_load_dwordx2 v[20:21], v[16:17], off
	global_load_dwordx2 v[14:15], v[18:19], off
	v_cndmask_b32_e32 v19, v25, v23, vcc
	v_cndmask_b32_e32 v18, v24, v22, vcc
	;; [unrolled: 1-line block ×4, first 2 shown]
	global_load_dwordx2 v[16:17], v[18:19], off
	global_load_dwordx2 v[24:25], v[22:23], off
	v_ashrrev_i32_e32 v5, 31, v4
	v_lshlrev_b64 v[18:19], 3, v[4:5]
	v_add_co_u32_e64 v22, s[0:1], s12, v18
	v_addc_co_u32_e64 v23, s[0:1], v12, v19, s[0:1]
	v_add_co_u32_e64 v18, s[0:1], s10, v18
	v_add_u32_e32 v0, 64, v0
	v_addc_co_u32_e64 v19, s[0:1], v13, v19, s[0:1]
	v_cmp_le_i32_e64 s[0:1], s15, v0
	s_or_b64 s[4:5], s[0:1], s[4:5]
	v_add_u32_e32 v2, 0x240, v2
	v_add_u32_e32 v4, 0xc0, v4
	s_waitcnt vmcnt(1)
	global_store_dwordx4 v[18:19], v[14:17], off
	s_waitcnt vmcnt(1)
	global_store_dwordx2 v[18:19], v[24:25], off offset:16
	v_subrev_co_u32_e64 v1, s[0:1], s14, v20
	v_subb_co_u32_e64 v5, s[0:1], v21, v11, s[0:1]
	v_mad_u64_u32 v[20:21], s[0:1], v1, 3, s[8:9]
	v_mov_b32_e32 v16, v21
	v_mad_u64_u32 v[16:17], s[0:1], v5, 3, v[16:17]
	v_mov_b32_e32 v1, v16
	v_mov_b32_e32 v15, v16
	v_add_co_u32_e64 v16, s[2:3], 1, v20
	v_mov_b32_e32 v14, v20
	v_add_co_u32_e64 v18, s[0:1], 2, v20
	v_addc_co_u32_e64 v17, s[2:3], 0, v1, s[2:3]
	v_addc_co_u32_e64 v19, s[0:1], 0, v1, s[0:1]
	global_store_dwordx4 v[22:23], v[14:17], off
	global_store_dwordx2 v[22:23], v[18:19], off offset:16
	s_andn2_b64 exec, exec, s[4:5]
	s_cbranch_execnz .LBB184_5
.LBB184_6:
	s_endpgm
	.section	.rodata,"a",@progbits
	.p2align	6, 0x0
	.amdhsa_kernel _ZN9rocsparseL32bsr2csr_block_per_row_2_7_kernelILj256ELj3E21rocsparse_complex_numIfEilEEv20rocsparse_direction_T3_S4_21rocsparse_index_base_PKT1_PKT2_PKS4_S4_S5_PS6_PS9_PS4_
		.amdhsa_group_segment_fixed_size 0
		.amdhsa_private_segment_fixed_size 0
		.amdhsa_kernarg_size 96
		.amdhsa_user_sgpr_count 6
		.amdhsa_user_sgpr_private_segment_buffer 1
		.amdhsa_user_sgpr_dispatch_ptr 0
		.amdhsa_user_sgpr_queue_ptr 0
		.amdhsa_user_sgpr_kernarg_segment_ptr 1
		.amdhsa_user_sgpr_dispatch_id 0
		.amdhsa_user_sgpr_flat_scratch_init 0
		.amdhsa_user_sgpr_kernarg_preload_length 0
		.amdhsa_user_sgpr_kernarg_preload_offset 0
		.amdhsa_user_sgpr_private_segment_size 0
		.amdhsa_uses_dynamic_stack 0
		.amdhsa_system_sgpr_private_segment_wavefront_offset 0
		.amdhsa_system_sgpr_workgroup_id_x 1
		.amdhsa_system_sgpr_workgroup_id_y 0
		.amdhsa_system_sgpr_workgroup_id_z 0
		.amdhsa_system_sgpr_workgroup_info 0
		.amdhsa_system_vgpr_workitem_id 0
		.amdhsa_next_free_vgpr 28
		.amdhsa_next_free_sgpr 17
		.amdhsa_accum_offset 28
		.amdhsa_reserve_vcc 1
		.amdhsa_reserve_flat_scratch 0
		.amdhsa_float_round_mode_32 0
		.amdhsa_float_round_mode_16_64 0
		.amdhsa_float_denorm_mode_32 3
		.amdhsa_float_denorm_mode_16_64 3
		.amdhsa_dx10_clamp 1
		.amdhsa_ieee_mode 1
		.amdhsa_fp16_overflow 0
		.amdhsa_tg_split 0
		.amdhsa_exception_fp_ieee_invalid_op 0
		.amdhsa_exception_fp_denorm_src 0
		.amdhsa_exception_fp_ieee_div_zero 0
		.amdhsa_exception_fp_ieee_overflow 0
		.amdhsa_exception_fp_ieee_underflow 0
		.amdhsa_exception_fp_ieee_inexact 0
		.amdhsa_exception_int_div_zero 0
	.end_amdhsa_kernel
	.section	.text._ZN9rocsparseL32bsr2csr_block_per_row_2_7_kernelILj256ELj3E21rocsparse_complex_numIfEilEEv20rocsparse_direction_T3_S4_21rocsparse_index_base_PKT1_PKT2_PKS4_S4_S5_PS6_PS9_PS4_,"axG",@progbits,_ZN9rocsparseL32bsr2csr_block_per_row_2_7_kernelILj256ELj3E21rocsparse_complex_numIfEilEEv20rocsparse_direction_T3_S4_21rocsparse_index_base_PKT1_PKT2_PKS4_S4_S5_PS6_PS9_PS4_,comdat
.Lfunc_end184:
	.size	_ZN9rocsparseL32bsr2csr_block_per_row_2_7_kernelILj256ELj3E21rocsparse_complex_numIfEilEEv20rocsparse_direction_T3_S4_21rocsparse_index_base_PKT1_PKT2_PKS4_S4_S5_PS6_PS9_PS4_, .Lfunc_end184-_ZN9rocsparseL32bsr2csr_block_per_row_2_7_kernelILj256ELj3E21rocsparse_complex_numIfEilEEv20rocsparse_direction_T3_S4_21rocsparse_index_base_PKT1_PKT2_PKS4_S4_S5_PS6_PS9_PS4_
                                        ; -- End function
	.section	.AMDGPU.csdata,"",@progbits
; Kernel info:
; codeLenInByte = 760
; NumSgprs: 21
; NumVgprs: 28
; NumAgprs: 0
; TotalNumVgprs: 28
; ScratchSize: 0
; MemoryBound: 0
; FloatMode: 240
; IeeeMode: 1
; LDSByteSize: 0 bytes/workgroup (compile time only)
; SGPRBlocks: 2
; VGPRBlocks: 3
; NumSGPRsForWavesPerEU: 21
; NumVGPRsForWavesPerEU: 28
; AccumOffset: 28
; Occupancy: 8
; WaveLimiterHint : 0
; COMPUTE_PGM_RSRC2:SCRATCH_EN: 0
; COMPUTE_PGM_RSRC2:USER_SGPR: 6
; COMPUTE_PGM_RSRC2:TRAP_HANDLER: 0
; COMPUTE_PGM_RSRC2:TGID_X_EN: 1
; COMPUTE_PGM_RSRC2:TGID_Y_EN: 0
; COMPUTE_PGM_RSRC2:TGID_Z_EN: 0
; COMPUTE_PGM_RSRC2:TIDIG_COMP_CNT: 0
; COMPUTE_PGM_RSRC3_GFX90A:ACCUM_OFFSET: 6
; COMPUTE_PGM_RSRC3_GFX90A:TG_SPLIT: 0
	.section	.text._ZN9rocsparseL32bsr2csr_block_per_row_2_7_kernelILj256ELj4E21rocsparse_complex_numIfEilEEv20rocsparse_direction_T3_S4_21rocsparse_index_base_PKT1_PKT2_PKS4_S4_S5_PS6_PS9_PS4_,"axG",@progbits,_ZN9rocsparseL32bsr2csr_block_per_row_2_7_kernelILj256ELj4E21rocsparse_complex_numIfEilEEv20rocsparse_direction_T3_S4_21rocsparse_index_base_PKT1_PKT2_PKS4_S4_S5_PS6_PS9_PS4_,comdat
	.globl	_ZN9rocsparseL32bsr2csr_block_per_row_2_7_kernelILj256ELj4E21rocsparse_complex_numIfEilEEv20rocsparse_direction_T3_S4_21rocsparse_index_base_PKT1_PKT2_PKS4_S4_S5_PS6_PS9_PS4_ ; -- Begin function _ZN9rocsparseL32bsr2csr_block_per_row_2_7_kernelILj256ELj4E21rocsparse_complex_numIfEilEEv20rocsparse_direction_T3_S4_21rocsparse_index_base_PKT1_PKT2_PKS4_S4_S5_PS6_PS9_PS4_
	.p2align	8
	.type	_ZN9rocsparseL32bsr2csr_block_per_row_2_7_kernelILj256ELj4E21rocsparse_complex_numIfEilEEv20rocsparse_direction_T3_S4_21rocsparse_index_base_PKT1_PKT2_PKS4_S4_S5_PS6_PS9_PS4_,@function
_ZN9rocsparseL32bsr2csr_block_per_row_2_7_kernelILj256ELj4E21rocsparse_complex_numIfEilEEv20rocsparse_direction_T3_S4_21rocsparse_index_base_PKT1_PKT2_PKS4_S4_S5_PS6_PS9_PS4_: ; @_ZN9rocsparseL32bsr2csr_block_per_row_2_7_kernelILj256ELj4E21rocsparse_complex_numIfEilEEv20rocsparse_direction_T3_S4_21rocsparse_index_base_PKT1_PKT2_PKS4_S4_S5_PS6_PS9_PS4_
; %bb.0:
	s_load_dwordx2 s[0:1], s[4:5], 0x28
	s_load_dword s12, s[4:5], 0x40
	s_load_dwordx2 s[2:3], s[4:5], 0x50
	s_mov_b32 s7, 0
	s_lshl_b64 s[8:9], s[6:7], 2
	s_waitcnt lgkmcnt(0)
	s_add_u32 s0, s0, s8
	s_addc_u32 s1, s1, s9
	s_load_dwordx2 s[0:1], s[0:1], 0x0
	v_or_b32_e32 v1, s6, v0
	v_cmp_eq_u32_e32 vcc, 0, v1
	s_and_saveexec_b64 s[8:9], vcc
	s_cbranch_execz .LBB185_2
; %bb.1:
	v_mov_b32_e32 v1, 0
	v_mov_b32_e32 v2, s12
	global_store_dword v1, v2, s[2:3]
.LBB185_2:
	s_or_b64 exec, exec, s[8:9]
	s_load_dword s13, s[4:5], 0x18
	v_and_b32_e32 v10, 3, v0
	s_lshl_b64 s[6:7], s[6:7], 4
	v_lshl_or_b32 v3, v10, 2, s6
	v_mov_b32_e32 v5, s7
	s_waitcnt lgkmcnt(0)
	s_sub_i32 s8, s0, s13
	s_sub_i32 s14, s1, s13
	;; [unrolled: 1-line block ×3, first 2 shown]
	s_lshl_b32 s9, s9, 2
	s_lshl_b32 s1, s8, 4
	v_mul_lo_u32 v2, s9, v10
	s_add_i32 s9, s9, s12
	s_add_i32 s9, s9, s1
	v_mov_b32_e32 v6, s3
	v_add_co_u32_e32 v4, vcc, s2, v3
	v_lshrrev_b32_e32 v1, 2, v0
	v_add_u32_e32 v0, s9, v2
	v_addc_co_u32_e32 v5, vcc, v6, v5, vcc
	global_store_dword v[4:5], v0, off offset:4
	v_add_u32_e32 v0, s8, v1
	v_cmp_gt_i32_e32 vcc, s14, v0
	s_and_saveexec_b64 s[2:3], vcc
	s_cbranch_execz .LBB185_5
; %bb.3:
	s_load_dwordx2 s[2:3], s[4:5], 0x30
	s_load_dwordx2 s[6:7], s[4:5], 0x48
	;; [unrolled: 1-line block ×3, first 2 shown]
	s_load_dword s1, s[4:5], 0x0
	s_load_dwordx2 s[10:11], s[4:5], 0x58
	v_lshlrev_b32_e32 v1, 2, v1
	v_mov_b32_e32 v3, 0
	s_mov_b32 s15, 0
	s_waitcnt lgkmcnt(0)
	s_cmp_eq_u32 s1, 0
	s_cselect_b64 vcc, -1, 0
	s_lshl_b32 s0, s0, 4
	v_add3_u32 v1, v2, s0, v1
	s_lshl_b32 s0, s13, 4
	v_lshlrev_b32_e32 v4, 2, v10
	v_mov_b32_e32 v5, v3
	v_subrev_u32_e32 v6, s0, v1
	v_lshlrev_b32_e32 v11, 4, v0
	s_mov_b64 s[4:5], 0
	v_mov_b32_e32 v12, s3
	v_mov_b32_e32 v13, s15
	;; [unrolled: 1-line block ×6, first 2 shown]
	s_movk_i32 s3, 0x60
	v_mov_b32_e32 v9, 0
.LBB185_4:                              ; =>This Inner Loop Header: Depth=1
	v_ashrrev_i32_e32 v1, 31, v0
	v_lshlrev_b64 v[20:21], 3, v[0:1]
	v_add_u32_e32 v2, v10, v11
	v_or_b32_e32 v18, v4, v11
	v_mov_b32_e32 v19, v5
	v_add_co_u32_e64 v20, s[0:1], s2, v20
	v_cndmask_b32_e32 v8, v2, v18, vcc
	v_lshlrev_b64 v[18:19], 3, v[18:19]
	v_addc_co_u32_e64 v21, s[0:1], v12, v21, s[0:1]
	v_add_co_u32_e64 v1, s[0:1], s8, v18
	v_lshlrev_b64 v[22:23], 3, v[2:3]
	v_addc_co_u32_e64 v2, s[0:1], v16, v19, s[0:1]
	v_add_co_u32_e64 v7, s[0:1], s8, v22
	v_lshlrev_b64 v[24:25], 3, v[8:9]
	v_addc_co_u32_e64 v8, s[0:1], v16, v23, s[0:1]
	v_add_co_u32_e64 v18, s[0:1], s8, v24
	v_addc_co_u32_e64 v19, s[0:1], v16, v25, s[0:1]
	global_load_dwordx2 v[26:27], v[20:21], off
	v_add_co_u32_e64 v20, s[0:1], 8, v1
	v_addc_co_u32_e64 v21, s[0:1], 0, v2, s[0:1]
	v_add_co_u32_e64 v22, s[0:1], 32, v7
	v_addc_co_u32_e64 v23, s[0:1], 0, v8, s[0:1]
	;; [unrolled: 2-line block ×6, first 2 shown]
	v_cndmask_b32_e32 v29, v23, v21, vcc
	v_cndmask_b32_e32 v28, v22, v20, vcc
	global_load_dwordx2 v[18:19], v[18:19], off
	v_cndmask_b32_e32 v31, v31, v25, vcc
	v_cndmask_b32_e32 v30, v30, v24, vcc
	;; [unrolled: 1-line block ×4, first 2 shown]
	global_load_dwordx2 v[20:21], v[28:29], off
	global_load_dwordx2 v[22:23], v[30:31], off
	;; [unrolled: 1-line block ×3, first 2 shown]
	v_ashrrev_i32_e32 v7, 31, v6
	v_lshlrev_b64 v[28:29], 3, v[6:7]
	v_add_co_u32_e64 v30, s[0:1], s10, v28
	v_addc_co_u32_e64 v31, s[0:1], v15, v29, s[0:1]
	v_add_co_u32_e64 v28, s[0:1], s6, v28
	v_add_u32_e32 v0, 64, v0
	v_addc_co_u32_e64 v29, s[0:1], v17, v29, s[0:1]
	v_cmp_le_i32_e64 s[0:1], s14, v0
	s_or_b64 s[4:5], s[0:1], s[4:5]
	v_add_u32_e32 v11, 0x400, v11
	v_add_u32_e32 v6, 0x100, v6
	s_waitcnt vmcnt(2)
	global_store_dwordx4 v[28:29], v[18:21], off
	s_waitcnt vmcnt(1)
	global_store_dwordx4 v[28:29], v[22:25], off offset:16
	v_subrev_co_u32_e64 v26, s[0:1], s13, v26
	v_subb_co_u32_e64 v27, s[0:1], v27, v13, s[0:1]
	v_lshlrev_b64 v[26:27], 2, v[26:27]
	v_add_co_u32_e64 v26, s[0:1], s12, v26
	v_addc_co_u32_e64 v27, s[0:1], v27, v14, s[0:1]
	v_add_co_u32_e64 v28, s[0:1], 1, v26
	v_addc_co_u32_e64 v29, s[0:1], 0, v27, s[0:1]
	;; [unrolled: 2-line block ×4, first 2 shown]
	global_store_dwordx4 v[30:31], v[26:29], off
	global_store_dwordx4 v[30:31], v[18:21], off offset:16
	s_andn2_b64 exec, exec, s[4:5]
	s_cbranch_execnz .LBB185_4
.LBB185_5:
	s_endpgm
	.section	.rodata,"a",@progbits
	.p2align	6, 0x0
	.amdhsa_kernel _ZN9rocsparseL32bsr2csr_block_per_row_2_7_kernelILj256ELj4E21rocsparse_complex_numIfEilEEv20rocsparse_direction_T3_S4_21rocsparse_index_base_PKT1_PKT2_PKS4_S4_S5_PS6_PS9_PS4_
		.amdhsa_group_segment_fixed_size 0
		.amdhsa_private_segment_fixed_size 0
		.amdhsa_kernarg_size 96
		.amdhsa_user_sgpr_count 6
		.amdhsa_user_sgpr_private_segment_buffer 1
		.amdhsa_user_sgpr_dispatch_ptr 0
		.amdhsa_user_sgpr_queue_ptr 0
		.amdhsa_user_sgpr_kernarg_segment_ptr 1
		.amdhsa_user_sgpr_dispatch_id 0
		.amdhsa_user_sgpr_flat_scratch_init 0
		.amdhsa_user_sgpr_kernarg_preload_length 0
		.amdhsa_user_sgpr_kernarg_preload_offset 0
		.amdhsa_user_sgpr_private_segment_size 0
		.amdhsa_uses_dynamic_stack 0
		.amdhsa_system_sgpr_private_segment_wavefront_offset 0
		.amdhsa_system_sgpr_workgroup_id_x 1
		.amdhsa_system_sgpr_workgroup_id_y 0
		.amdhsa_system_sgpr_workgroup_id_z 0
		.amdhsa_system_sgpr_workgroup_info 0
		.amdhsa_system_vgpr_workitem_id 0
		.amdhsa_next_free_vgpr 34
		.amdhsa_next_free_sgpr 16
		.amdhsa_accum_offset 36
		.amdhsa_reserve_vcc 1
		.amdhsa_reserve_flat_scratch 0
		.amdhsa_float_round_mode_32 0
		.amdhsa_float_round_mode_16_64 0
		.amdhsa_float_denorm_mode_32 3
		.amdhsa_float_denorm_mode_16_64 3
		.amdhsa_dx10_clamp 1
		.amdhsa_ieee_mode 1
		.amdhsa_fp16_overflow 0
		.amdhsa_tg_split 0
		.amdhsa_exception_fp_ieee_invalid_op 0
		.amdhsa_exception_fp_denorm_src 0
		.amdhsa_exception_fp_ieee_div_zero 0
		.amdhsa_exception_fp_ieee_overflow 0
		.amdhsa_exception_fp_ieee_underflow 0
		.amdhsa_exception_fp_ieee_inexact 0
		.amdhsa_exception_int_div_zero 0
	.end_amdhsa_kernel
	.section	.text._ZN9rocsparseL32bsr2csr_block_per_row_2_7_kernelILj256ELj4E21rocsparse_complex_numIfEilEEv20rocsparse_direction_T3_S4_21rocsparse_index_base_PKT1_PKT2_PKS4_S4_S5_PS6_PS9_PS4_,"axG",@progbits,_ZN9rocsparseL32bsr2csr_block_per_row_2_7_kernelILj256ELj4E21rocsparse_complex_numIfEilEEv20rocsparse_direction_T3_S4_21rocsparse_index_base_PKT1_PKT2_PKS4_S4_S5_PS6_PS9_PS4_,comdat
.Lfunc_end185:
	.size	_ZN9rocsparseL32bsr2csr_block_per_row_2_7_kernelILj256ELj4E21rocsparse_complex_numIfEilEEv20rocsparse_direction_T3_S4_21rocsparse_index_base_PKT1_PKT2_PKS4_S4_S5_PS6_PS9_PS4_, .Lfunc_end185-_ZN9rocsparseL32bsr2csr_block_per_row_2_7_kernelILj256ELj4E21rocsparse_complex_numIfEilEEv20rocsparse_direction_T3_S4_21rocsparse_index_base_PKT1_PKT2_PKS4_S4_S5_PS6_PS9_PS4_
                                        ; -- End function
	.section	.AMDGPU.csdata,"",@progbits
; Kernel info:
; codeLenInByte = 824
; NumSgprs: 20
; NumVgprs: 34
; NumAgprs: 0
; TotalNumVgprs: 34
; ScratchSize: 0
; MemoryBound: 0
; FloatMode: 240
; IeeeMode: 1
; LDSByteSize: 0 bytes/workgroup (compile time only)
; SGPRBlocks: 2
; VGPRBlocks: 4
; NumSGPRsForWavesPerEU: 20
; NumVGPRsForWavesPerEU: 34
; AccumOffset: 36
; Occupancy: 8
; WaveLimiterHint : 0
; COMPUTE_PGM_RSRC2:SCRATCH_EN: 0
; COMPUTE_PGM_RSRC2:USER_SGPR: 6
; COMPUTE_PGM_RSRC2:TRAP_HANDLER: 0
; COMPUTE_PGM_RSRC2:TGID_X_EN: 1
; COMPUTE_PGM_RSRC2:TGID_Y_EN: 0
; COMPUTE_PGM_RSRC2:TGID_Z_EN: 0
; COMPUTE_PGM_RSRC2:TIDIG_COMP_CNT: 0
; COMPUTE_PGM_RSRC3_GFX90A:ACCUM_OFFSET: 8
; COMPUTE_PGM_RSRC3_GFX90A:TG_SPLIT: 0
	.section	.text._ZN9rocsparseL32bsr2csr_block_per_row_2_7_kernelILj256ELj5E21rocsparse_complex_numIfEilEEv20rocsparse_direction_T3_S4_21rocsparse_index_base_PKT1_PKT2_PKS4_S4_S5_PS6_PS9_PS4_,"axG",@progbits,_ZN9rocsparseL32bsr2csr_block_per_row_2_7_kernelILj256ELj5E21rocsparse_complex_numIfEilEEv20rocsparse_direction_T3_S4_21rocsparse_index_base_PKT1_PKT2_PKS4_S4_S5_PS6_PS9_PS4_,comdat
	.globl	_ZN9rocsparseL32bsr2csr_block_per_row_2_7_kernelILj256ELj5E21rocsparse_complex_numIfEilEEv20rocsparse_direction_T3_S4_21rocsparse_index_base_PKT1_PKT2_PKS4_S4_S5_PS6_PS9_PS4_ ; -- Begin function _ZN9rocsparseL32bsr2csr_block_per_row_2_7_kernelILj256ELj5E21rocsparse_complex_numIfEilEEv20rocsparse_direction_T3_S4_21rocsparse_index_base_PKT1_PKT2_PKS4_S4_S5_PS6_PS9_PS4_
	.p2align	8
	.type	_ZN9rocsparseL32bsr2csr_block_per_row_2_7_kernelILj256ELj5E21rocsparse_complex_numIfEilEEv20rocsparse_direction_T3_S4_21rocsparse_index_base_PKT1_PKT2_PKS4_S4_S5_PS6_PS9_PS4_,@function
_ZN9rocsparseL32bsr2csr_block_per_row_2_7_kernelILj256ELj5E21rocsparse_complex_numIfEilEEv20rocsparse_direction_T3_S4_21rocsparse_index_base_PKT1_PKT2_PKS4_S4_S5_PS6_PS9_PS4_: ; @_ZN9rocsparseL32bsr2csr_block_per_row_2_7_kernelILj256ELj5E21rocsparse_complex_numIfEilEEv20rocsparse_direction_T3_S4_21rocsparse_index_base_PKT1_PKT2_PKS4_S4_S5_PS6_PS9_PS4_
; %bb.0:
	s_load_dwordx2 s[2:3], s[4:5], 0x28
	s_load_dword s8, s[4:5], 0x40
	s_load_dwordx2 s[0:1], s[4:5], 0x50
	s_mov_b32 s7, 0
	s_lshl_b64 s[10:11], s[6:7], 2
	s_waitcnt lgkmcnt(0)
	s_add_u32 s10, s2, s10
	v_or_b32_e32 v1, s6, v0
	s_addc_u32 s11, s3, s11
	v_cmp_eq_u32_e32 vcc, 0, v1
	s_and_saveexec_b64 s[2:3], vcc
	s_cbranch_execz .LBB186_2
; %bb.1:
	v_mov_b32_e32 v1, 0
	v_mov_b32_e32 v2, s8
	global_store_dword v1, v2, s[0:1]
.LBB186_2:
	s_or_b64 exec, exec, s[2:3]
	v_and_b32_e32 v1, 7, v0
	v_cmp_gt_u32_e32 vcc, 5, v1
	s_and_saveexec_b64 s[2:3], vcc
	s_cbranch_execz .LBB186_6
; %bb.3:
	s_load_dwordx2 s[2:3], s[10:11], 0x0
	s_load_dword s18, s[4:5], 0x18
	v_lshrrev_b32_e32 v4, 3, v0
	v_lshlrev_b32_e32 v2, 2, v1
	s_waitcnt lgkmcnt(0)
	s_sub_i32 s7, s2, s18
	s_sub_i32 s19, s3, s18
	;; [unrolled: 1-line block ×3, first 2 shown]
	s_mul_i32 s9, s9, 5
	s_mul_i32 s3, s7, 25
	v_mul_lo_u32 v5, s9, v1
	s_add_i32 s9, s9, s8
	s_add_i32 s9, s9, s3
	s_mul_hi_u32 s3, s6, 20
	s_mul_i32 s6, s6, 20
	s_add_u32 s0, s0, s6
	v_add_u32_e32 v0, s9, v5
	s_addc_u32 s1, s1, s3
	global_store_dword v2, v0, s[0:1] offset:4
	v_add_u32_e32 v0, s7, v4
	v_cmp_gt_i32_e32 vcc, s19, v0
	s_and_b64 exec, exec, vcc
	s_cbranch_execz .LBB186_6
; %bb.4:
	s_load_dwordx2 s[10:11], s[4:5], 0x30
	s_load_dwordx2 s[12:13], s[4:5], 0x48
	;; [unrolled: 1-line block ×3, first 2 shown]
	s_load_dword s0, s[4:5], 0x0
	s_load_dwordx2 s[14:15], s[4:5], 0x58
	v_lshlrev_b32_e32 v2, 3, v1
	v_lshlrev_b32_e32 v1, 5, v1
	s_waitcnt lgkmcnt(0)
	v_mov_b32_e32 v7, s7
	v_add_co_u32_e32 v6, vcc, s6, v2
	v_addc_co_u32_e32 v7, vcc, 0, v7, vcc
	v_add_co_u32_e32 v8, vcc, v6, v1
	s_mul_i32 s2, s2, 25
	v_mul_u32_u24_e32 v1, 5, v4
	s_mov_b32 s3, 0
	s_cmp_eq_u32 s0, 0
	v_add3_u32 v1, v5, s2, v1
	s_mul_i32 s2, s18, 25
	v_mov_b32_e32 v3, 0
	s_mov_b32 s9, s3
	s_cselect_b64 s[0:1], -1, 0
	v_addc_co_u32_e32 v9, vcc, 0, v7, vcc
	v_mul_lo_u32 v2, v0, 25
	v_subrev_u32_e32 v4, s2, v1
	s_mov_b64 s[16:17], 0
	v_mov_b32_e32 v10, s11
	v_mov_b32_e32 v11, s3
	v_mov_b32_e32 v12, s15
	v_mov_b32_e32 v13, s13
	s_movk_i32 s11, 0x50
	s_movk_i32 s13, 0x78
	;; [unrolled: 1-line block ×3, first 2 shown]
.LBB186_5:                              ; =>This Inner Loop Header: Depth=1
	v_ashrrev_i32_e32 v1, 31, v0
	v_lshlrev_b64 v[14:15], 3, v[2:3]
	v_lshlrev_b64 v[16:17], 3, v[0:1]
	v_add_co_u32_e32 v1, vcc, v6, v14
	v_addc_co_u32_e32 v5, vcc, v7, v15, vcc
	v_add_co_u32_e32 v14, vcc, v8, v14
	v_addc_co_u32_e32 v15, vcc, v9, v15, vcc
	;; [unrolled: 2-line block ×9, first 2 shown]
	v_add_co_u32_e32 v34, vcc, 32, v14
	v_cndmask_b32_e64 v19, v5, v15, s[0:1]
	v_cndmask_b32_e64 v18, v1, v14, s[0:1]
	v_addc_co_u32_e32 v35, vcc, 0, v15, vcc
	global_load_dwordx2 v[22:23], v[16:17], off
	global_load_dwordx2 v[14:15], v[18:19], off
	v_cndmask_b32_e64 v25, v25, v21, s[0:1]
	v_cndmask_b32_e64 v24, v24, v20, s[0:1]
	v_add_co_u32_e32 v1, vcc, s15, v1
	v_cndmask_b32_e64 v27, v29, v27, s[0:1]
	v_cndmask_b32_e64 v26, v28, v26, s[0:1]
	;; [unrolled: 1-line block ×4, first 2 shown]
	global_load_dwordx2 v[16:17], v[24:25], off
	global_load_dwordx2 v[18:19], v[26:27], off
	;; [unrolled: 1-line block ×3, first 2 shown]
	v_addc_co_u32_e32 v5, vcc, 0, v5, vcc
	v_cndmask_b32_e64 v30, v1, v34, s[0:1]
	v_cndmask_b32_e64 v31, v5, v35, s[0:1]
	global_load_dwordx2 v[24:25], v[30:31], off
	v_ashrrev_i32_e32 v5, 31, v4
	v_lshlrev_b64 v[26:27], 3, v[4:5]
	v_add_co_u32_e32 v28, vcc, s14, v26
	v_addc_co_u32_e32 v29, vcc, v12, v27, vcc
	v_add_co_u32_e32 v26, vcc, s12, v26
	v_add_u32_e32 v0, 32, v0
	v_addc_co_u32_e32 v27, vcc, v13, v27, vcc
	v_cmp_le_i32_e32 vcc, s19, v0
	s_or_b64 s[16:17], vcc, s[16:17]
	v_add_u32_e32 v2, 0x320, v2
	v_add_u32_e32 v4, 0xa0, v4
	s_waitcnt vmcnt(3)
	global_store_dwordx4 v[26:27], v[14:17], off
	s_waitcnt vmcnt(2)
	global_store_dwordx4 v[26:27], v[18:21], off offset:16
	v_subrev_co_u32_e32 v1, vcc, s18, v22
	v_subb_co_u32_e32 v5, vcc, v23, v11, vcc
	v_mad_u64_u32 v[22:23], s[2:3], v1, 5, s[8:9]
	v_mov_b32_e32 v16, v23
	v_mad_u64_u32 v[16:17], s[2:3], v5, 5, v[16:17]
	v_mov_b32_e32 v1, v16
	v_mov_b32_e32 v15, v16
	v_add_co_u32_e64 v16, s[6:7], 1, v22
	v_mov_b32_e32 v14, v22
	s_waitcnt vmcnt(2)
	global_store_dwordx2 v[26:27], v[24:25], off offset:32
	v_add_co_u32_e32 v18, vcc, 2, v22
	v_add_co_u32_e64 v20, s[2:3], 3, v22
	v_add_co_u32_e64 v24, s[4:5], 4, v22
	v_addc_co_u32_e64 v17, s[6:7], 0, v1, s[6:7]
	v_addc_co_u32_e32 v19, vcc, 0, v1, vcc
	v_addc_co_u32_e64 v21, vcc, 0, v1, s[2:3]
	v_addc_co_u32_e64 v25, vcc, 0, v1, s[4:5]
	global_store_dwordx4 v[28:29], v[14:17], off
	global_store_dwordx4 v[28:29], v[18:21], off offset:16
	global_store_dwordx2 v[28:29], v[24:25], off offset:32
	s_andn2_b64 exec, exec, s[16:17]
	s_cbranch_execnz .LBB186_5
.LBB186_6:
	s_endpgm
	.section	.rodata,"a",@progbits
	.p2align	6, 0x0
	.amdhsa_kernel _ZN9rocsparseL32bsr2csr_block_per_row_2_7_kernelILj256ELj5E21rocsparse_complex_numIfEilEEv20rocsparse_direction_T3_S4_21rocsparse_index_base_PKT1_PKT2_PKS4_S4_S5_PS6_PS9_PS4_
		.amdhsa_group_segment_fixed_size 0
		.amdhsa_private_segment_fixed_size 0
		.amdhsa_kernarg_size 96
		.amdhsa_user_sgpr_count 6
		.amdhsa_user_sgpr_private_segment_buffer 1
		.amdhsa_user_sgpr_dispatch_ptr 0
		.amdhsa_user_sgpr_queue_ptr 0
		.amdhsa_user_sgpr_kernarg_segment_ptr 1
		.amdhsa_user_sgpr_dispatch_id 0
		.amdhsa_user_sgpr_flat_scratch_init 0
		.amdhsa_user_sgpr_kernarg_preload_length 0
		.amdhsa_user_sgpr_kernarg_preload_offset 0
		.amdhsa_user_sgpr_private_segment_size 0
		.amdhsa_uses_dynamic_stack 0
		.amdhsa_system_sgpr_private_segment_wavefront_offset 0
		.amdhsa_system_sgpr_workgroup_id_x 1
		.amdhsa_system_sgpr_workgroup_id_y 0
		.amdhsa_system_sgpr_workgroup_id_z 0
		.amdhsa_system_sgpr_workgroup_info 0
		.amdhsa_system_vgpr_workitem_id 0
		.amdhsa_next_free_vgpr 36
		.amdhsa_next_free_sgpr 20
		.amdhsa_accum_offset 36
		.amdhsa_reserve_vcc 1
		.amdhsa_reserve_flat_scratch 0
		.amdhsa_float_round_mode_32 0
		.amdhsa_float_round_mode_16_64 0
		.amdhsa_float_denorm_mode_32 3
		.amdhsa_float_denorm_mode_16_64 3
		.amdhsa_dx10_clamp 1
		.amdhsa_ieee_mode 1
		.amdhsa_fp16_overflow 0
		.amdhsa_tg_split 0
		.amdhsa_exception_fp_ieee_invalid_op 0
		.amdhsa_exception_fp_denorm_src 0
		.amdhsa_exception_fp_ieee_div_zero 0
		.amdhsa_exception_fp_ieee_overflow 0
		.amdhsa_exception_fp_ieee_underflow 0
		.amdhsa_exception_fp_ieee_inexact 0
		.amdhsa_exception_int_div_zero 0
	.end_amdhsa_kernel
	.section	.text._ZN9rocsparseL32bsr2csr_block_per_row_2_7_kernelILj256ELj5E21rocsparse_complex_numIfEilEEv20rocsparse_direction_T3_S4_21rocsparse_index_base_PKT1_PKT2_PKS4_S4_S5_PS6_PS9_PS4_,"axG",@progbits,_ZN9rocsparseL32bsr2csr_block_per_row_2_7_kernelILj256ELj5E21rocsparse_complex_numIfEilEEv20rocsparse_direction_T3_S4_21rocsparse_index_base_PKT1_PKT2_PKS4_S4_S5_PS6_PS9_PS4_,comdat
.Lfunc_end186:
	.size	_ZN9rocsparseL32bsr2csr_block_per_row_2_7_kernelILj256ELj5E21rocsparse_complex_numIfEilEEv20rocsparse_direction_T3_S4_21rocsparse_index_base_PKT1_PKT2_PKS4_S4_S5_PS6_PS9_PS4_, .Lfunc_end186-_ZN9rocsparseL32bsr2csr_block_per_row_2_7_kernelILj256ELj5E21rocsparse_complex_numIfEilEEv20rocsparse_direction_T3_S4_21rocsparse_index_base_PKT1_PKT2_PKS4_S4_S5_PS6_PS9_PS4_
                                        ; -- End function
	.section	.AMDGPU.csdata,"",@progbits
; Kernel info:
; codeLenInByte = 820
; NumSgprs: 24
; NumVgprs: 36
; NumAgprs: 0
; TotalNumVgprs: 36
; ScratchSize: 0
; MemoryBound: 0
; FloatMode: 240
; IeeeMode: 1
; LDSByteSize: 0 bytes/workgroup (compile time only)
; SGPRBlocks: 2
; VGPRBlocks: 4
; NumSGPRsForWavesPerEU: 24
; NumVGPRsForWavesPerEU: 36
; AccumOffset: 36
; Occupancy: 8
; WaveLimiterHint : 0
; COMPUTE_PGM_RSRC2:SCRATCH_EN: 0
; COMPUTE_PGM_RSRC2:USER_SGPR: 6
; COMPUTE_PGM_RSRC2:TRAP_HANDLER: 0
; COMPUTE_PGM_RSRC2:TGID_X_EN: 1
; COMPUTE_PGM_RSRC2:TGID_Y_EN: 0
; COMPUTE_PGM_RSRC2:TGID_Z_EN: 0
; COMPUTE_PGM_RSRC2:TIDIG_COMP_CNT: 0
; COMPUTE_PGM_RSRC3_GFX90A:ACCUM_OFFSET: 8
; COMPUTE_PGM_RSRC3_GFX90A:TG_SPLIT: 0
	.section	.text._ZN9rocsparseL32bsr2csr_block_per_row_2_7_kernelILj256ELj6E21rocsparse_complex_numIfEilEEv20rocsparse_direction_T3_S4_21rocsparse_index_base_PKT1_PKT2_PKS4_S4_S5_PS6_PS9_PS4_,"axG",@progbits,_ZN9rocsparseL32bsr2csr_block_per_row_2_7_kernelILj256ELj6E21rocsparse_complex_numIfEilEEv20rocsparse_direction_T3_S4_21rocsparse_index_base_PKT1_PKT2_PKS4_S4_S5_PS6_PS9_PS4_,comdat
	.globl	_ZN9rocsparseL32bsr2csr_block_per_row_2_7_kernelILj256ELj6E21rocsparse_complex_numIfEilEEv20rocsparse_direction_T3_S4_21rocsparse_index_base_PKT1_PKT2_PKS4_S4_S5_PS6_PS9_PS4_ ; -- Begin function _ZN9rocsparseL32bsr2csr_block_per_row_2_7_kernelILj256ELj6E21rocsparse_complex_numIfEilEEv20rocsparse_direction_T3_S4_21rocsparse_index_base_PKT1_PKT2_PKS4_S4_S5_PS6_PS9_PS4_
	.p2align	8
	.type	_ZN9rocsparseL32bsr2csr_block_per_row_2_7_kernelILj256ELj6E21rocsparse_complex_numIfEilEEv20rocsparse_direction_T3_S4_21rocsparse_index_base_PKT1_PKT2_PKS4_S4_S5_PS6_PS9_PS4_,@function
_ZN9rocsparseL32bsr2csr_block_per_row_2_7_kernelILj256ELj6E21rocsparse_complex_numIfEilEEv20rocsparse_direction_T3_S4_21rocsparse_index_base_PKT1_PKT2_PKS4_S4_S5_PS6_PS9_PS4_: ; @_ZN9rocsparseL32bsr2csr_block_per_row_2_7_kernelILj256ELj6E21rocsparse_complex_numIfEilEEv20rocsparse_direction_T3_S4_21rocsparse_index_base_PKT1_PKT2_PKS4_S4_S5_PS6_PS9_PS4_
; %bb.0:
	s_load_dwordx2 s[2:3], s[4:5], 0x28
	s_load_dword s10, s[4:5], 0x40
	s_load_dwordx2 s[0:1], s[4:5], 0x50
	s_mov_b32 s7, 0
	s_lshl_b64 s[8:9], s[6:7], 2
	s_waitcnt lgkmcnt(0)
	s_add_u32 s8, s2, s8
	v_or_b32_e32 v1, s6, v0
	s_addc_u32 s9, s3, s9
	v_cmp_eq_u32_e32 vcc, 0, v1
	s_and_saveexec_b64 s[2:3], vcc
	s_cbranch_execz .LBB187_2
; %bb.1:
	v_mov_b32_e32 v1, 0
	v_mov_b32_e32 v2, s10
	global_store_dword v1, v2, s[0:1]
.LBB187_2:
	s_or_b64 exec, exec, s[2:3]
	v_and_b32_e32 v1, 7, v0
	v_cmp_gt_u32_e32 vcc, 6, v1
	s_and_saveexec_b64 s[2:3], vcc
	s_cbranch_execz .LBB187_6
; %bb.3:
	s_load_dwordx2 s[2:3], s[8:9], 0x0
	s_load_dword s20, s[4:5], 0x18
	v_lshrrev_b32_e32 v8, 3, v0
	v_lshlrev_b32_e32 v2, 2, v1
	s_waitcnt lgkmcnt(0)
	s_sub_i32 s7, s2, s20
	s_sub_i32 s21, s3, s20
	;; [unrolled: 1-line block ×3, first 2 shown]
	s_mul_i32 s8, s8, 6
	s_mul_i32 s3, s7, 36
	v_mul_lo_u32 v9, s8, v1
	s_add_i32 s8, s8, s10
	s_add_i32 s8, s8, s3
	s_mul_hi_u32 s3, s6, 24
	s_mul_i32 s6, s6, 24
	s_add_u32 s0, s0, s6
	v_add_u32_e32 v0, s8, v9
	s_addc_u32 s1, s1, s3
	global_store_dword v2, v0, s[0:1] offset:4
	v_add_u32_e32 v0, s7, v8
	v_cmp_gt_i32_e32 vcc, s21, v0
	s_and_b64 exec, exec, vcc
	s_cbranch_execz .LBB187_6
; %bb.4:
	s_load_dwordx2 s[12:13], s[4:5], 0x30
	s_load_dwordx2 s[14:15], s[4:5], 0x48
	s_load_dwordx2 s[0:1], s[4:5], 0x20
	s_load_dword s3, s[4:5], 0x0
	s_load_dwordx2 s[16:17], s[4:5], 0x58
	v_lshlrev_b32_e32 v2, 3, v1
	s_mov_b32 s4, 0
	s_waitcnt lgkmcnt(0)
	v_mov_b32_e32 v5, s1
	v_add_co_u32_e64 v4, s[0:1], s0, v2
	v_addc_co_u32_e64 v5, s[0:1], 0, v5, s[0:1]
	v_mad_u64_u32 v[6:7], s[0:1], v1, 40, v[4:5]
	s_mul_i32 s0, s2, 36
	v_mul_u32_u24_e32 v1, 6, v8
	s_cmp_eq_u32 s3, 0
	v_add3_u32 v1, v9, s0, v1
	s_mul_i32 s0, s20, 36
	v_mov_b32_e32 v3, 0
	s_mov_b32 s11, s4
	s_cselect_b64 vcc, -1, 0
	v_mul_lo_u32 v2, v0, 36
	v_subrev_u32_e32 v8, s0, v1
	s_mov_b64 s[18:19], 0
	v_mov_b32_e32 v10, s13
	v_mov_b32_e32 v11, s4
	;; [unrolled: 1-line block ×4, first 2 shown]
	s_movk_i32 s13, 0x60
	s_movk_i32 s15, 0x90
	;; [unrolled: 1-line block ×4, first 2 shown]
.LBB187_5:                              ; =>This Inner Loop Header: Depth=1
	v_ashrrev_i32_e32 v1, 31, v0
	v_lshlrev_b64 v[14:15], 3, v[2:3]
	v_lshlrev_b64 v[16:17], 3, v[0:1]
	v_add_co_u32_e64 v1, s[0:1], v4, v14
	v_addc_co_u32_e64 v9, s[0:1], v5, v15, s[0:1]
	v_add_co_u32_e64 v14, s[0:1], v6, v14
	v_addc_co_u32_e64 v15, s[0:1], v7, v15, s[0:1]
	;; [unrolled: 2-line block ×12, first 2 shown]
	v_cndmask_b32_e32 v18, v1, v14, vcc
	v_add_co_u32_e64 v1, s[0:1], s22, v1
	v_cndmask_b32_e32 v19, v9, v15, vcc
	v_addc_co_u32_e64 v9, s[0:1], 0, v9, s[0:1]
	global_load_dwordx2 v[26:27], v[16:17], off
	global_load_dwordx2 v[14:15], v[18:19], off
	v_cndmask_b32_e32 v29, v23, v21, vcc
	v_cndmask_b32_e32 v28, v22, v20, vcc
	;; [unrolled: 1-line block ×10, first 2 shown]
	global_load_dwordx2 v[16:17], v[28:29], off
	global_load_dwordx2 v[18:19], v[30:31], off
	;; [unrolled: 1-line block ×5, first 2 shown]
	v_ashrrev_i32_e32 v9, 31, v8
	v_lshlrev_b64 v[28:29], 3, v[8:9]
	v_add_co_u32_e64 v30, s[0:1], s16, v28
	v_addc_co_u32_e64 v31, s[0:1], v12, v29, s[0:1]
	v_add_co_u32_e64 v28, s[0:1], s14, v28
	v_add_u32_e32 v0, 32, v0
	v_addc_co_u32_e64 v29, s[0:1], v13, v29, s[0:1]
	v_cmp_le_i32_e64 s[0:1], s21, v0
	s_or_b64 s[18:19], s[0:1], s[18:19]
	v_add_u32_e32 v2, 0x480, v2
	v_add_u32_e32 v8, 0xc0, v8
	s_waitcnt vmcnt(4)
	global_store_dwordx4 v[28:29], v[14:17], off
	s_waitcnt vmcnt(3)
	global_store_dwordx4 v[28:29], v[18:21], off offset:16
	s_waitcnt vmcnt(2)
	global_store_dwordx4 v[28:29], v[22:25], off offset:32
	v_subrev_co_u32_e64 v1, s[0:1], s20, v26
	v_subb_co_u32_e64 v9, s[0:1], v27, v11, s[0:1]
	v_mad_u64_u32 v[26:27], s[0:1], v1, 6, s[10:11]
	v_mov_b32_e32 v16, v27
	v_mad_u64_u32 v[16:17], s[0:1], v9, 6, v[16:17]
	v_mov_b32_e32 v1, v16
	v_mov_b32_e32 v15, v16
	v_add_co_u32_e64 v16, s[8:9], 1, v26
	v_mov_b32_e32 v14, v26
	v_add_co_u32_e64 v18, s[0:1], 2, v26
	v_add_co_u32_e64 v20, s[2:3], 3, v26
	;; [unrolled: 1-line block ×4, first 2 shown]
	v_addc_co_u32_e64 v17, s[8:9], 0, v1, s[8:9]
	v_addc_co_u32_e64 v19, s[0:1], 0, v1, s[0:1]
	;; [unrolled: 1-line block ×5, first 2 shown]
	global_store_dwordx4 v[30:31], v[14:17], off
	global_store_dwordx4 v[30:31], v[18:21], off offset:16
	global_store_dwordx4 v[30:31], v[22:25], off offset:32
	s_andn2_b64 exec, exec, s[18:19]
	s_cbranch_execnz .LBB187_5
.LBB187_6:
	s_endpgm
	.section	.rodata,"a",@progbits
	.p2align	6, 0x0
	.amdhsa_kernel _ZN9rocsparseL32bsr2csr_block_per_row_2_7_kernelILj256ELj6E21rocsparse_complex_numIfEilEEv20rocsparse_direction_T3_S4_21rocsparse_index_base_PKT1_PKT2_PKS4_S4_S5_PS6_PS9_PS4_
		.amdhsa_group_segment_fixed_size 0
		.amdhsa_private_segment_fixed_size 0
		.amdhsa_kernarg_size 96
		.amdhsa_user_sgpr_count 6
		.amdhsa_user_sgpr_private_segment_buffer 1
		.amdhsa_user_sgpr_dispatch_ptr 0
		.amdhsa_user_sgpr_queue_ptr 0
		.amdhsa_user_sgpr_kernarg_segment_ptr 1
		.amdhsa_user_sgpr_dispatch_id 0
		.amdhsa_user_sgpr_flat_scratch_init 0
		.amdhsa_user_sgpr_kernarg_preload_length 0
		.amdhsa_user_sgpr_kernarg_preload_offset 0
		.amdhsa_user_sgpr_private_segment_size 0
		.amdhsa_uses_dynamic_stack 0
		.amdhsa_system_sgpr_private_segment_wavefront_offset 0
		.amdhsa_system_sgpr_workgroup_id_x 1
		.amdhsa_system_sgpr_workgroup_id_y 0
		.amdhsa_system_sgpr_workgroup_id_z 0
		.amdhsa_system_sgpr_workgroup_info 0
		.amdhsa_system_vgpr_workitem_id 0
		.amdhsa_next_free_vgpr 42
		.amdhsa_next_free_sgpr 23
		.amdhsa_accum_offset 44
		.amdhsa_reserve_vcc 1
		.amdhsa_reserve_flat_scratch 0
		.amdhsa_float_round_mode_32 0
		.amdhsa_float_round_mode_16_64 0
		.amdhsa_float_denorm_mode_32 3
		.amdhsa_float_denorm_mode_16_64 3
		.amdhsa_dx10_clamp 1
		.amdhsa_ieee_mode 1
		.amdhsa_fp16_overflow 0
		.amdhsa_tg_split 0
		.amdhsa_exception_fp_ieee_invalid_op 0
		.amdhsa_exception_fp_denorm_src 0
		.amdhsa_exception_fp_ieee_div_zero 0
		.amdhsa_exception_fp_ieee_overflow 0
		.amdhsa_exception_fp_ieee_underflow 0
		.amdhsa_exception_fp_ieee_inexact 0
		.amdhsa_exception_int_div_zero 0
	.end_amdhsa_kernel
	.section	.text._ZN9rocsparseL32bsr2csr_block_per_row_2_7_kernelILj256ELj6E21rocsparse_complex_numIfEilEEv20rocsparse_direction_T3_S4_21rocsparse_index_base_PKT1_PKT2_PKS4_S4_S5_PS6_PS9_PS4_,"axG",@progbits,_ZN9rocsparseL32bsr2csr_block_per_row_2_7_kernelILj256ELj6E21rocsparse_complex_numIfEilEEv20rocsparse_direction_T3_S4_21rocsparse_index_base_PKT1_PKT2_PKS4_S4_S5_PS6_PS9_PS4_,comdat
.Lfunc_end187:
	.size	_ZN9rocsparseL32bsr2csr_block_per_row_2_7_kernelILj256ELj6E21rocsparse_complex_numIfEilEEv20rocsparse_direction_T3_S4_21rocsparse_index_base_PKT1_PKT2_PKS4_S4_S5_PS6_PS9_PS4_, .Lfunc_end187-_ZN9rocsparseL32bsr2csr_block_per_row_2_7_kernelILj256ELj6E21rocsparse_complex_numIfEilEEv20rocsparse_direction_T3_S4_21rocsparse_index_base_PKT1_PKT2_PKS4_S4_S5_PS6_PS9_PS4_
                                        ; -- End function
	.section	.AMDGPU.csdata,"",@progbits
; Kernel info:
; codeLenInByte = 976
; NumSgprs: 27
; NumVgprs: 42
; NumAgprs: 0
; TotalNumVgprs: 42
; ScratchSize: 0
; MemoryBound: 0
; FloatMode: 240
; IeeeMode: 1
; LDSByteSize: 0 bytes/workgroup (compile time only)
; SGPRBlocks: 3
; VGPRBlocks: 5
; NumSGPRsForWavesPerEU: 27
; NumVGPRsForWavesPerEU: 42
; AccumOffset: 44
; Occupancy: 8
; WaveLimiterHint : 0
; COMPUTE_PGM_RSRC2:SCRATCH_EN: 0
; COMPUTE_PGM_RSRC2:USER_SGPR: 6
; COMPUTE_PGM_RSRC2:TRAP_HANDLER: 0
; COMPUTE_PGM_RSRC2:TGID_X_EN: 1
; COMPUTE_PGM_RSRC2:TGID_Y_EN: 0
; COMPUTE_PGM_RSRC2:TGID_Z_EN: 0
; COMPUTE_PGM_RSRC2:TIDIG_COMP_CNT: 0
; COMPUTE_PGM_RSRC3_GFX90A:ACCUM_OFFSET: 10
; COMPUTE_PGM_RSRC3_GFX90A:TG_SPLIT: 0
	.section	.text._ZN9rocsparseL32bsr2csr_block_per_row_2_7_kernelILj256ELj7E21rocsparse_complex_numIfEilEEv20rocsparse_direction_T3_S4_21rocsparse_index_base_PKT1_PKT2_PKS4_S4_S5_PS6_PS9_PS4_,"axG",@progbits,_ZN9rocsparseL32bsr2csr_block_per_row_2_7_kernelILj256ELj7E21rocsparse_complex_numIfEilEEv20rocsparse_direction_T3_S4_21rocsparse_index_base_PKT1_PKT2_PKS4_S4_S5_PS6_PS9_PS4_,comdat
	.globl	_ZN9rocsparseL32bsr2csr_block_per_row_2_7_kernelILj256ELj7E21rocsparse_complex_numIfEilEEv20rocsparse_direction_T3_S4_21rocsparse_index_base_PKT1_PKT2_PKS4_S4_S5_PS6_PS9_PS4_ ; -- Begin function _ZN9rocsparseL32bsr2csr_block_per_row_2_7_kernelILj256ELj7E21rocsparse_complex_numIfEilEEv20rocsparse_direction_T3_S4_21rocsparse_index_base_PKT1_PKT2_PKS4_S4_S5_PS6_PS9_PS4_
	.p2align	8
	.type	_ZN9rocsparseL32bsr2csr_block_per_row_2_7_kernelILj256ELj7E21rocsparse_complex_numIfEilEEv20rocsparse_direction_T3_S4_21rocsparse_index_base_PKT1_PKT2_PKS4_S4_S5_PS6_PS9_PS4_,@function
_ZN9rocsparseL32bsr2csr_block_per_row_2_7_kernelILj256ELj7E21rocsparse_complex_numIfEilEEv20rocsparse_direction_T3_S4_21rocsparse_index_base_PKT1_PKT2_PKS4_S4_S5_PS6_PS9_PS4_: ; @_ZN9rocsparseL32bsr2csr_block_per_row_2_7_kernelILj256ELj7E21rocsparse_complex_numIfEilEEv20rocsparse_direction_T3_S4_21rocsparse_index_base_PKT1_PKT2_PKS4_S4_S5_PS6_PS9_PS4_
; %bb.0:
	s_load_dwordx2 s[2:3], s[4:5], 0x28
	s_load_dword s12, s[4:5], 0x40
	s_load_dwordx2 s[0:1], s[4:5], 0x50
	s_mov_b32 s7, 0
	s_lshl_b64 s[8:9], s[6:7], 2
	s_waitcnt lgkmcnt(0)
	s_add_u32 s8, s2, s8
	v_or_b32_e32 v1, s6, v0
	s_addc_u32 s9, s3, s9
	v_cmp_eq_u32_e32 vcc, 0, v1
	s_and_saveexec_b64 s[2:3], vcc
	s_cbranch_execz .LBB188_2
; %bb.1:
	v_mov_b32_e32 v1, 0
	v_mov_b32_e32 v2, s12
	global_store_dword v1, v2, s[0:1]
.LBB188_2:
	s_or_b64 exec, exec, s[2:3]
	v_and_b32_e32 v1, 7, v0
	v_cmp_ne_u32_e32 vcc, 7, v1
	s_and_saveexec_b64 s[2:3], vcc
	s_cbranch_execz .LBB188_6
; %bb.3:
	s_load_dwordx2 s[2:3], s[8:9], 0x0
	s_load_dword s22, s[4:5], 0x18
	v_lshrrev_b32_e32 v8, 3, v0
	v_lshlrev_b32_e32 v2, 2, v1
	s_waitcnt lgkmcnt(0)
	s_sub_i32 s7, s2, s22
	s_sub_i32 s23, s3, s22
	s_sub_i32 s8, s23, s7
	s_mul_i32 s8, s8, 7
	s_mul_i32 s3, s7, 49
	v_mul_lo_u32 v9, s8, v1
	s_add_i32 s8, s8, s12
	s_add_i32 s8, s8, s3
	s_mul_hi_u32 s3, s6, 28
	s_mul_i32 s6, s6, 28
	s_add_u32 s0, s0, s6
	v_add_u32_e32 v0, s8, v9
	s_addc_u32 s1, s1, s3
	global_store_dword v2, v0, s[0:1] offset:4
	v_add_u32_e32 v0, s7, v8
	v_cmp_gt_i32_e32 vcc, s23, v0
	s_and_b64 exec, exec, vcc
	s_cbranch_execz .LBB188_6
; %bb.4:
	s_load_dwordx2 s[14:15], s[4:5], 0x30
	s_load_dwordx2 s[16:17], s[4:5], 0x48
	;; [unrolled: 1-line block ×3, first 2 shown]
	s_load_dword s0, s[4:5], 0x0
	s_load_dwordx2 s[18:19], s[4:5], 0x58
	v_lshlrev_b32_e32 v2, 3, v1
	s_mul_i32 s2, s2, 49
	s_waitcnt lgkmcnt(0)
	v_mov_b32_e32 v5, s7
	v_add_co_u32_e32 v4, vcc, s6, v2
	v_addc_co_u32_e32 v5, vcc, 0, v5, vcc
	v_mad_u64_u32 v[6:7], s[4:5], v1, 48, v[4:5]
	v_mul_u32_u24_e32 v1, 7, v8
	s_mov_b32 s3, 0
	s_cmp_eq_u32 s0, 0
	v_add3_u32 v1, v9, s2, v1
	s_mul_i32 s2, s22, 49
	v_mov_b32_e32 v3, 0
	s_mov_b32 s13, s3
	s_cselect_b64 s[0:1], -1, 0
	v_mul_lo_u32 v2, v0, 49
	v_subrev_u32_e32 v8, s2, v1
	s_mov_b64 s[20:21], 0
	v_mov_b32_e32 v10, s15
	v_mov_b32_e32 v11, s3
	;; [unrolled: 1-line block ×4, first 2 shown]
	s_movk_i32 s15, 0x70
	s_movk_i32 s17, 0xa8
	;; [unrolled: 1-line block ×5, first 2 shown]
.LBB188_5:                              ; =>This Inner Loop Header: Depth=1
	v_ashrrev_i32_e32 v1, 31, v0
	v_lshlrev_b64 v[14:15], 3, v[2:3]
	v_lshlrev_b64 v[16:17], 3, v[0:1]
	v_add_co_u32_e32 v1, vcc, v4, v14
	v_addc_co_u32_e32 v9, vcc, v5, v15, vcc
	v_add_co_u32_e32 v14, vcc, v6, v14
	v_addc_co_u32_e32 v15, vcc, v7, v15, vcc
	v_add_co_u32_e32 v16, vcc, s14, v16
	v_addc_co_u32_e32 v17, vcc, v10, v17, vcc
	v_add_co_u32_e32 v20, vcc, 8, v14
	v_addc_co_u32_e32 v21, vcc, 0, v15, vcc
	v_add_co_u32_e32 v22, vcc, 56, v1
	v_addc_co_u32_e32 v23, vcc, 0, v9, vcc
	v_add_co_u32_e32 v24, vcc, 16, v14
	v_addc_co_u32_e32 v25, vcc, 0, v15, vcc
	v_add_co_u32_e32 v30, vcc, s15, v1
	v_addc_co_u32_e32 v31, vcc, 0, v9, vcc
	v_add_co_u32_e32 v32, vcc, 24, v14
	v_addc_co_u32_e32 v33, vcc, 0, v15, vcc
	v_add_co_u32_e32 v34, vcc, s17, v1
	v_addc_co_u32_e32 v35, vcc, 0, v9, vcc
	v_add_co_u32_e32 v36, vcc, 32, v14
	v_addc_co_u32_e32 v37, vcc, 0, v15, vcc
	v_add_co_u32_e32 v38, vcc, s19, v1
	v_addc_co_u32_e32 v39, vcc, 0, v9, vcc
	v_add_co_u32_e32 v40, vcc, 40, v14
	v_addc_co_u32_e32 v41, vcc, 0, v15, vcc
	v_add_co_u32_e32 v42, vcc, s24, v1
	v_addc_co_u32_e32 v43, vcc, 0, v9, vcc
	v_add_co_u32_e32 v44, vcc, 48, v14
	v_cndmask_b32_e64 v19, v9, v15, s[0:1]
	v_cndmask_b32_e64 v18, v1, v14, s[0:1]
	v_addc_co_u32_e32 v45, vcc, 0, v15, vcc
	global_load_dwordx2 v[26:27], v[16:17], off
	global_load_dwordx2 v[14:15], v[18:19], off
	v_cndmask_b32_e64 v29, v23, v21, s[0:1]
	v_cndmask_b32_e64 v28, v22, v20, s[0:1]
	v_add_co_u32_e32 v1, vcc, s25, v1
	v_cndmask_b32_e64 v31, v31, v25, s[0:1]
	v_cndmask_b32_e64 v30, v30, v24, s[0:1]
	v_cndmask_b32_e64 v33, v35, v33, s[0:1]
	v_cndmask_b32_e64 v32, v34, v32, s[0:1]
	v_cndmask_b32_e64 v35, v39, v37, s[0:1]
	v_cndmask_b32_e64 v34, v38, v36, s[0:1]
	v_cndmask_b32_e64 v37, v43, v41, s[0:1]
	v_cndmask_b32_e64 v36, v42, v40, s[0:1]
	global_load_dwordx2 v[16:17], v[28:29], off
	global_load_dwordx2 v[18:19], v[30:31], off
	;; [unrolled: 1-line block ×5, first 2 shown]
	v_addc_co_u32_e32 v9, vcc, 0, v9, vcc
	v_cndmask_b32_e64 v38, v1, v44, s[0:1]
	v_cndmask_b32_e64 v39, v9, v45, s[0:1]
	global_load_dwordx2 v[28:29], v[38:39], off
	v_ashrrev_i32_e32 v9, 31, v8
	v_lshlrev_b64 v[30:31], 3, v[8:9]
	v_add_co_u32_e32 v32, vcc, s18, v30
	v_addc_co_u32_e32 v33, vcc, v12, v31, vcc
	v_add_co_u32_e32 v30, vcc, s16, v30
	v_add_u32_e32 v0, 32, v0
	v_addc_co_u32_e32 v31, vcc, v13, v31, vcc
	v_cmp_le_i32_e32 vcc, s23, v0
	s_or_b64 s[20:21], vcc, s[20:21]
	v_add_u32_e32 v2, 0x620, v2
	v_add_u32_e32 v8, 0xe0, v8
	s_waitcnt vmcnt(5)
	global_store_dwordx4 v[30:31], v[14:17], off
	s_waitcnt vmcnt(4)
	global_store_dwordx4 v[30:31], v[18:21], off offset:16
	s_waitcnt vmcnt(3)
	global_store_dwordx4 v[30:31], v[22:25], off offset:32
	v_subrev_co_u32_e32 v1, vcc, s22, v26
	v_subb_co_u32_e32 v9, vcc, v27, v11, vcc
	v_mad_u64_u32 v[26:27], s[2:3], v1, 7, s[12:13]
	v_mov_b32_e32 v16, v27
	v_mad_u64_u32 v[16:17], s[2:3], v9, 7, v[16:17]
	v_mov_b32_e32 v1, v16
	v_mov_b32_e32 v15, v16
	v_add_co_u32_e64 v16, s[10:11], 1, v26
	v_mov_b32_e32 v14, v26
	s_waitcnt vmcnt(3)
	global_store_dwordx2 v[30:31], v[28:29], off offset:48
	v_add_co_u32_e32 v18, vcc, 2, v26
	v_add_co_u32_e64 v20, s[2:3], 3, v26
	v_add_co_u32_e64 v22, s[4:5], 4, v26
	v_add_co_u32_e64 v24, s[6:7], 5, v26
	v_add_co_u32_e64 v28, s[8:9], 6, v26
	v_addc_co_u32_e64 v17, s[10:11], 0, v1, s[10:11]
	v_addc_co_u32_e32 v19, vcc, 0, v1, vcc
	v_addc_co_u32_e64 v21, vcc, 0, v1, s[2:3]
	v_addc_co_u32_e64 v23, vcc, 0, v1, s[4:5]
	;; [unrolled: 1-line block ×4, first 2 shown]
	global_store_dwordx4 v[32:33], v[14:17], off
	global_store_dwordx4 v[32:33], v[18:21], off offset:16
	global_store_dwordx4 v[32:33], v[22:25], off offset:32
	global_store_dwordx2 v[32:33], v[28:29], off offset:48
	s_andn2_b64 exec, exec, s[20:21]
	s_cbranch_execnz .LBB188_5
.LBB188_6:
	s_endpgm
	.section	.rodata,"a",@progbits
	.p2align	6, 0x0
	.amdhsa_kernel _ZN9rocsparseL32bsr2csr_block_per_row_2_7_kernelILj256ELj7E21rocsparse_complex_numIfEilEEv20rocsparse_direction_T3_S4_21rocsparse_index_base_PKT1_PKT2_PKS4_S4_S5_PS6_PS9_PS4_
		.amdhsa_group_segment_fixed_size 0
		.amdhsa_private_segment_fixed_size 0
		.amdhsa_kernarg_size 96
		.amdhsa_user_sgpr_count 6
		.amdhsa_user_sgpr_private_segment_buffer 1
		.amdhsa_user_sgpr_dispatch_ptr 0
		.amdhsa_user_sgpr_queue_ptr 0
		.amdhsa_user_sgpr_kernarg_segment_ptr 1
		.amdhsa_user_sgpr_dispatch_id 0
		.amdhsa_user_sgpr_flat_scratch_init 0
		.amdhsa_user_sgpr_kernarg_preload_length 0
		.amdhsa_user_sgpr_kernarg_preload_offset 0
		.amdhsa_user_sgpr_private_segment_size 0
		.amdhsa_uses_dynamic_stack 0
		.amdhsa_system_sgpr_private_segment_wavefront_offset 0
		.amdhsa_system_sgpr_workgroup_id_x 1
		.amdhsa_system_sgpr_workgroup_id_y 0
		.amdhsa_system_sgpr_workgroup_id_z 0
		.amdhsa_system_sgpr_workgroup_info 0
		.amdhsa_system_vgpr_workitem_id 0
		.amdhsa_next_free_vgpr 46
		.amdhsa_next_free_sgpr 26
		.amdhsa_accum_offset 48
		.amdhsa_reserve_vcc 1
		.amdhsa_reserve_flat_scratch 0
		.amdhsa_float_round_mode_32 0
		.amdhsa_float_round_mode_16_64 0
		.amdhsa_float_denorm_mode_32 3
		.amdhsa_float_denorm_mode_16_64 3
		.amdhsa_dx10_clamp 1
		.amdhsa_ieee_mode 1
		.amdhsa_fp16_overflow 0
		.amdhsa_tg_split 0
		.amdhsa_exception_fp_ieee_invalid_op 0
		.amdhsa_exception_fp_denorm_src 0
		.amdhsa_exception_fp_ieee_div_zero 0
		.amdhsa_exception_fp_ieee_overflow 0
		.amdhsa_exception_fp_ieee_underflow 0
		.amdhsa_exception_fp_ieee_inexact 0
		.amdhsa_exception_int_div_zero 0
	.end_amdhsa_kernel
	.section	.text._ZN9rocsparseL32bsr2csr_block_per_row_2_7_kernelILj256ELj7E21rocsparse_complex_numIfEilEEv20rocsparse_direction_T3_S4_21rocsparse_index_base_PKT1_PKT2_PKS4_S4_S5_PS6_PS9_PS4_,"axG",@progbits,_ZN9rocsparseL32bsr2csr_block_per_row_2_7_kernelILj256ELj7E21rocsparse_complex_numIfEilEEv20rocsparse_direction_T3_S4_21rocsparse_index_base_PKT1_PKT2_PKS4_S4_S5_PS6_PS9_PS4_,comdat
.Lfunc_end188:
	.size	_ZN9rocsparseL32bsr2csr_block_per_row_2_7_kernelILj256ELj7E21rocsparse_complex_numIfEilEEv20rocsparse_direction_T3_S4_21rocsparse_index_base_PKT1_PKT2_PKS4_S4_S5_PS6_PS9_PS4_, .Lfunc_end188-_ZN9rocsparseL32bsr2csr_block_per_row_2_7_kernelILj256ELj7E21rocsparse_complex_numIfEilEEv20rocsparse_direction_T3_S4_21rocsparse_index_base_PKT1_PKT2_PKS4_S4_S5_PS6_PS9_PS4_
                                        ; -- End function
	.section	.AMDGPU.csdata,"",@progbits
; Kernel info:
; codeLenInByte = 956
; NumSgprs: 30
; NumVgprs: 46
; NumAgprs: 0
; TotalNumVgprs: 46
; ScratchSize: 0
; MemoryBound: 0
; FloatMode: 240
; IeeeMode: 1
; LDSByteSize: 0 bytes/workgroup (compile time only)
; SGPRBlocks: 3
; VGPRBlocks: 5
; NumSGPRsForWavesPerEU: 30
; NumVGPRsForWavesPerEU: 46
; AccumOffset: 48
; Occupancy: 8
; WaveLimiterHint : 0
; COMPUTE_PGM_RSRC2:SCRATCH_EN: 0
; COMPUTE_PGM_RSRC2:USER_SGPR: 6
; COMPUTE_PGM_RSRC2:TRAP_HANDLER: 0
; COMPUTE_PGM_RSRC2:TGID_X_EN: 1
; COMPUTE_PGM_RSRC2:TGID_Y_EN: 0
; COMPUTE_PGM_RSRC2:TGID_Z_EN: 0
; COMPUTE_PGM_RSRC2:TIDIG_COMP_CNT: 0
; COMPUTE_PGM_RSRC3_GFX90A:ACCUM_OFFSET: 11
; COMPUTE_PGM_RSRC3_GFX90A:TG_SPLIT: 0
	.section	.text._ZN9rocsparseL33bsr2csr_block_per_row_8_32_kernelILj1024ELj8E21rocsparse_complex_numIfEilEEv20rocsparse_direction_T3_S4_21rocsparse_index_base_PKT1_PKT2_PKS4_S4_S5_PS6_PS9_PS4_,"axG",@progbits,_ZN9rocsparseL33bsr2csr_block_per_row_8_32_kernelILj1024ELj8E21rocsparse_complex_numIfEilEEv20rocsparse_direction_T3_S4_21rocsparse_index_base_PKT1_PKT2_PKS4_S4_S5_PS6_PS9_PS4_,comdat
	.globl	_ZN9rocsparseL33bsr2csr_block_per_row_8_32_kernelILj1024ELj8E21rocsparse_complex_numIfEilEEv20rocsparse_direction_T3_S4_21rocsparse_index_base_PKT1_PKT2_PKS4_S4_S5_PS6_PS9_PS4_ ; -- Begin function _ZN9rocsparseL33bsr2csr_block_per_row_8_32_kernelILj1024ELj8E21rocsparse_complex_numIfEilEEv20rocsparse_direction_T3_S4_21rocsparse_index_base_PKT1_PKT2_PKS4_S4_S5_PS6_PS9_PS4_
	.p2align	8
	.type	_ZN9rocsparseL33bsr2csr_block_per_row_8_32_kernelILj1024ELj8E21rocsparse_complex_numIfEilEEv20rocsparse_direction_T3_S4_21rocsparse_index_base_PKT1_PKT2_PKS4_S4_S5_PS6_PS9_PS4_,@function
_ZN9rocsparseL33bsr2csr_block_per_row_8_32_kernelILj1024ELj8E21rocsparse_complex_numIfEilEEv20rocsparse_direction_T3_S4_21rocsparse_index_base_PKT1_PKT2_PKS4_S4_S5_PS6_PS9_PS4_: ; @_ZN9rocsparseL33bsr2csr_block_per_row_8_32_kernelILj1024ELj8E21rocsparse_complex_numIfEilEEv20rocsparse_direction_T3_S4_21rocsparse_index_base_PKT1_PKT2_PKS4_S4_S5_PS6_PS9_PS4_
; %bb.0:
	s_load_dwordx2 s[0:1], s[4:5], 0x28
	s_load_dword s14, s[4:5], 0x40
	s_load_dwordx2 s[8:9], s[4:5], 0x50
	s_mov_b32 s7, 0
	s_lshl_b64 s[2:3], s[6:7], 2
	s_waitcnt lgkmcnt(0)
	s_add_u32 s10, s0, s2
	v_or_b32_e32 v1, s6, v0
	s_addc_u32 s11, s1, s3
	v_cmp_eq_u32_e32 vcc, 0, v1
	s_and_saveexec_b64 s[0:1], vcc
	s_cbranch_execz .LBB189_2
; %bb.1:
	v_mov_b32_e32 v1, 0
	v_mov_b32_e32 v2, s14
	global_store_dword v1, v2, s[8:9]
.LBB189_2:
	s_or_b64 exec, exec, s[0:1]
	s_load_dwordx2 s[2:3], s[4:5], 0x38
	v_mov_b32_e32 v7, 0
	v_and_b32_e32 v6, 7, v0
	v_bfe_u32 v8, v0, 3, 3
	v_mov_b32_e32 v9, v7
	s_waitcnt lgkmcnt(0)
	v_cmp_gt_i64_e32 vcc, s[2:3], v[8:9]
	v_cmp_gt_i64_e64 s[0:1], s[2:3], v[6:7]
	s_and_b64 s[0:1], vcc, s[0:1]
	s_and_saveexec_b64 s[12:13], s[0:1]
	s_cbranch_execz .LBB189_6
; %bb.3:
	s_load_dwordx2 s[0:1], s[10:11], 0x0
	s_load_dword s12, s[4:5], 0x18
	s_mul_i32 s10, s2, s2
	v_lshrrev_b32_e32 v1, 6, v0
	v_lshlrev_b32_e32 v2, 2, v8
	s_waitcnt lgkmcnt(0)
	s_sub_i32 s15, s0, s12
	s_sub_i32 s11, s1, s12
	;; [unrolled: 1-line block ×3, first 2 shown]
	s_mul_i32 s1, s16, s2
	s_mul_i32 s0, s10, s15
	v_mul_lo_u32 v0, s1, v8
	s_add_i32 s1, s1, s14
	s_add_i32 s1, s1, s0
	v_add_u32_e32 v0, s1, v0
	s_mul_i32 s0, s6, s3
	s_mul_hi_u32 s1, s6, s2
	s_add_i32 s1, s1, s0
	s_mul_i32 s0, s6, s2
	s_lshl_b64 s[0:1], s[0:1], 2
	s_add_u32 s0, s8, s0
	s_addc_u32 s1, s9, s1
	global_store_dword v2, v0, s[0:1] offset:4
	v_add_u32_e32 v0, s15, v1
	v_cmp_gt_i32_e32 vcc, s11, v0
	s_and_b64 exec, exec, vcc
	s_cbranch_execz .LBB189_6
; %bb.4:
	s_mul_i32 s13, s2, s3
	s_mul_hi_u32 s17, s2, s2
	s_add_i32 s17, s17, s13
	s_load_dwordx2 s[0:1], s[4:5], 0x30
	s_load_dwordx2 s[6:7], s[4:5], 0x48
	;; [unrolled: 1-line block ×3, first 2 shown]
	s_add_i32 s13, s17, s13
	s_load_dwordx2 s[18:19], s[4:5], 0x20
	s_load_dword s17, s[4:5], 0x0
	v_mad_u64_u32 v[4:5], s[4:5], v6, s2, 0
	v_mov_b32_e32 v10, v5
	v_mad_u64_u32 v[10:11], s[4:5], v6, s3, v[10:11]
	v_mov_b32_e32 v5, v10
	v_add_co_u32_e32 v2, vcc, s14, v6
	v_lshlrev_b64 v[4:5], 3, v[4:5]
	v_addc_co_u32_e64 v3, s[4:5], 0, 0, vcc
	s_waitcnt lgkmcnt(0)
	v_mov_b32_e32 v7, s19
	v_add_co_u32_e32 v9, vcc, s18, v4
	v_addc_co_u32_e32 v5, vcc, v7, v5, vcc
	v_lshlrev_b32_e32 v10, 3, v8
	v_add_co_u32_e32 v9, vcc, v9, v10
	v_mad_u64_u32 v[10:11], s[4:5], v8, s2, 0
	v_mov_b32_e32 v12, v11
	v_mad_u64_u32 v[12:13], s[4:5], v8, s3, v[12:13]
	v_mov_b32_e32 v11, v12
	v_addc_co_u32_e32 v5, vcc, 0, v5, vcc
	v_lshlrev_b64 v[10:11], 3, v[10:11]
	v_add_co_u32_e32 v10, vcc, s18, v10
	v_addc_co_u32_e32 v7, vcc, v7, v11, vcc
	v_lshlrev_b32_e32 v11, 3, v6
	v_add_co_u32_e32 v10, vcc, v10, v11
	s_cmp_eq_u32 s17, 0
	v_addc_co_u32_e32 v7, vcc, 0, v7, vcc
	s_cselect_b64 vcc, -1, 0
	v_cndmask_b32_e32 v7, v5, v7, vcc
	s_mul_i32 s4, s2, s15
	v_mul_lo_u32 v5, s16, v8
	v_add3_u32 v1, v1, s4, v5
	s_mov_b32 s20, 0
	v_cndmask_b32_e32 v10, v9, v10, vcc
	v_mad_u64_u32 v[8:9], s[4:5], s2, v1, v[6:7]
	s_lshl_b32 s14, s2, 4
	v_mov_b32_e32 v4, 0
	v_mov_b32_e32 v5, v8
	s_mov_b64 s[4:5], 0
	v_mov_b32_e32 v6, s1
	v_mov_b32_e32 v8, s20
	;; [unrolled: 1-line block ×5, first 2 shown]
.LBB189_5:                              ; =>This Inner Loop Header: Depth=1
	v_ashrrev_i32_e32 v1, 31, v0
	v_lshlrev_b64 v[16:17], 3, v[0:1]
	v_mul_lo_u32 v13, s13, v0
	v_mad_u64_u32 v[14:15], s[14:15], s10, v0, 0
	v_mul_lo_u32 v1, s10, v1
	v_add_co_u32_e32 v16, vcc, s0, v16
	v_addc_co_u32_e32 v17, vcc, v6, v17, vcc
	v_add3_u32 v15, v15, v1, v13
	global_load_dwordx2 v[16:17], v[16:17], off
	v_lshlrev_b64 v[14:15], 3, v[14:15]
	v_add_co_u32_e32 v14, vcc, v10, v14
	v_addc_co_u32_e32 v15, vcc, v7, v15, vcc
	global_load_dwordx2 v[14:15], v[14:15], off
	v_ashrrev_i64 v[18:19], 29, v[4:5]
	v_add_co_u32_e32 v4, vcc, 0, v4
	v_addc_co_u32_e32 v5, vcc, v5, v12, vcc
	v_add_co_u32_e32 v20, vcc, s8, v18
	v_addc_co_u32_e32 v21, vcc, v9, v19, vcc
	;; [unrolled: 2-line block ×3, first 2 shown]
	v_add_u32_e32 v0, 16, v0
	v_cmp_le_i32_e32 vcc, s11, v0
	s_or_b64 s[4:5], vcc, s[4:5]
	s_waitcnt vmcnt(1)
	v_subrev_co_u32_e32 v1, vcc, s12, v16
	v_subb_co_u32_e32 v13, vcc, v17, v8, vcc
	v_mul_lo_u32 v22, v1, s3
	v_mul_lo_u32 v13, v13, s2
	v_mad_u64_u32 v[16:17], s[14:15], v1, s2, v[2:3]
	v_add3_u32 v17, v13, v17, v22
	s_waitcnt vmcnt(0)
	global_store_dwordx2 v[18:19], v[14:15], off
	global_store_dwordx2 v[20:21], v[16:17], off
	s_andn2_b64 exec, exec, s[4:5]
	s_cbranch_execnz .LBB189_5
.LBB189_6:
	s_endpgm
	.section	.rodata,"a",@progbits
	.p2align	6, 0x0
	.amdhsa_kernel _ZN9rocsparseL33bsr2csr_block_per_row_8_32_kernelILj1024ELj8E21rocsparse_complex_numIfEilEEv20rocsparse_direction_T3_S4_21rocsparse_index_base_PKT1_PKT2_PKS4_S4_S5_PS6_PS9_PS4_
		.amdhsa_group_segment_fixed_size 0
		.amdhsa_private_segment_fixed_size 0
		.amdhsa_kernarg_size 96
		.amdhsa_user_sgpr_count 6
		.amdhsa_user_sgpr_private_segment_buffer 1
		.amdhsa_user_sgpr_dispatch_ptr 0
		.amdhsa_user_sgpr_queue_ptr 0
		.amdhsa_user_sgpr_kernarg_segment_ptr 1
		.amdhsa_user_sgpr_dispatch_id 0
		.amdhsa_user_sgpr_flat_scratch_init 0
		.amdhsa_user_sgpr_kernarg_preload_length 0
		.amdhsa_user_sgpr_kernarg_preload_offset 0
		.amdhsa_user_sgpr_private_segment_size 0
		.amdhsa_uses_dynamic_stack 0
		.amdhsa_system_sgpr_private_segment_wavefront_offset 0
		.amdhsa_system_sgpr_workgroup_id_x 1
		.amdhsa_system_sgpr_workgroup_id_y 0
		.amdhsa_system_sgpr_workgroup_id_z 0
		.amdhsa_system_sgpr_workgroup_info 0
		.amdhsa_system_vgpr_workitem_id 0
		.amdhsa_next_free_vgpr 23
		.amdhsa_next_free_sgpr 21
		.amdhsa_accum_offset 24
		.amdhsa_reserve_vcc 1
		.amdhsa_reserve_flat_scratch 0
		.amdhsa_float_round_mode_32 0
		.amdhsa_float_round_mode_16_64 0
		.amdhsa_float_denorm_mode_32 3
		.amdhsa_float_denorm_mode_16_64 3
		.amdhsa_dx10_clamp 1
		.amdhsa_ieee_mode 1
		.amdhsa_fp16_overflow 0
		.amdhsa_tg_split 0
		.amdhsa_exception_fp_ieee_invalid_op 0
		.amdhsa_exception_fp_denorm_src 0
		.amdhsa_exception_fp_ieee_div_zero 0
		.amdhsa_exception_fp_ieee_overflow 0
		.amdhsa_exception_fp_ieee_underflow 0
		.amdhsa_exception_fp_ieee_inexact 0
		.amdhsa_exception_int_div_zero 0
	.end_amdhsa_kernel
	.section	.text._ZN9rocsparseL33bsr2csr_block_per_row_8_32_kernelILj1024ELj8E21rocsparse_complex_numIfEilEEv20rocsparse_direction_T3_S4_21rocsparse_index_base_PKT1_PKT2_PKS4_S4_S5_PS6_PS9_PS4_,"axG",@progbits,_ZN9rocsparseL33bsr2csr_block_per_row_8_32_kernelILj1024ELj8E21rocsparse_complex_numIfEilEEv20rocsparse_direction_T3_S4_21rocsparse_index_base_PKT1_PKT2_PKS4_S4_S5_PS6_PS9_PS4_,comdat
.Lfunc_end189:
	.size	_ZN9rocsparseL33bsr2csr_block_per_row_8_32_kernelILj1024ELj8E21rocsparse_complex_numIfEilEEv20rocsparse_direction_T3_S4_21rocsparse_index_base_PKT1_PKT2_PKS4_S4_S5_PS6_PS9_PS4_, .Lfunc_end189-_ZN9rocsparseL33bsr2csr_block_per_row_8_32_kernelILj1024ELj8E21rocsparse_complex_numIfEilEEv20rocsparse_direction_T3_S4_21rocsparse_index_base_PKT1_PKT2_PKS4_S4_S5_PS6_PS9_PS4_
                                        ; -- End function
	.section	.AMDGPU.csdata,"",@progbits
; Kernel info:
; codeLenInByte = 728
; NumSgprs: 25
; NumVgprs: 23
; NumAgprs: 0
; TotalNumVgprs: 23
; ScratchSize: 0
; MemoryBound: 0
; FloatMode: 240
; IeeeMode: 1
; LDSByteSize: 0 bytes/workgroup (compile time only)
; SGPRBlocks: 3
; VGPRBlocks: 2
; NumSGPRsForWavesPerEU: 25
; NumVGPRsForWavesPerEU: 23
; AccumOffset: 24
; Occupancy: 8
; WaveLimiterHint : 0
; COMPUTE_PGM_RSRC2:SCRATCH_EN: 0
; COMPUTE_PGM_RSRC2:USER_SGPR: 6
; COMPUTE_PGM_RSRC2:TRAP_HANDLER: 0
; COMPUTE_PGM_RSRC2:TGID_X_EN: 1
; COMPUTE_PGM_RSRC2:TGID_Y_EN: 0
; COMPUTE_PGM_RSRC2:TGID_Z_EN: 0
; COMPUTE_PGM_RSRC2:TIDIG_COMP_CNT: 0
; COMPUTE_PGM_RSRC3_GFX90A:ACCUM_OFFSET: 5
; COMPUTE_PGM_RSRC3_GFX90A:TG_SPLIT: 0
	.section	.text._ZN9rocsparseL33bsr2csr_block_per_row_8_32_kernelILj1024ELj16E21rocsparse_complex_numIfEilEEv20rocsparse_direction_T3_S4_21rocsparse_index_base_PKT1_PKT2_PKS4_S4_S5_PS6_PS9_PS4_,"axG",@progbits,_ZN9rocsparseL33bsr2csr_block_per_row_8_32_kernelILj1024ELj16E21rocsparse_complex_numIfEilEEv20rocsparse_direction_T3_S4_21rocsparse_index_base_PKT1_PKT2_PKS4_S4_S5_PS6_PS9_PS4_,comdat
	.globl	_ZN9rocsparseL33bsr2csr_block_per_row_8_32_kernelILj1024ELj16E21rocsparse_complex_numIfEilEEv20rocsparse_direction_T3_S4_21rocsparse_index_base_PKT1_PKT2_PKS4_S4_S5_PS6_PS9_PS4_ ; -- Begin function _ZN9rocsparseL33bsr2csr_block_per_row_8_32_kernelILj1024ELj16E21rocsparse_complex_numIfEilEEv20rocsparse_direction_T3_S4_21rocsparse_index_base_PKT1_PKT2_PKS4_S4_S5_PS6_PS9_PS4_
	.p2align	8
	.type	_ZN9rocsparseL33bsr2csr_block_per_row_8_32_kernelILj1024ELj16E21rocsparse_complex_numIfEilEEv20rocsparse_direction_T3_S4_21rocsparse_index_base_PKT1_PKT2_PKS4_S4_S5_PS6_PS9_PS4_,@function
_ZN9rocsparseL33bsr2csr_block_per_row_8_32_kernelILj1024ELj16E21rocsparse_complex_numIfEilEEv20rocsparse_direction_T3_S4_21rocsparse_index_base_PKT1_PKT2_PKS4_S4_S5_PS6_PS9_PS4_: ; @_ZN9rocsparseL33bsr2csr_block_per_row_8_32_kernelILj1024ELj16E21rocsparse_complex_numIfEilEEv20rocsparse_direction_T3_S4_21rocsparse_index_base_PKT1_PKT2_PKS4_S4_S5_PS6_PS9_PS4_
; %bb.0:
	s_load_dwordx2 s[0:1], s[4:5], 0x28
	s_load_dword s14, s[4:5], 0x40
	s_load_dwordx2 s[8:9], s[4:5], 0x50
	s_mov_b32 s7, 0
	s_lshl_b64 s[2:3], s[6:7], 2
	s_waitcnt lgkmcnt(0)
	s_add_u32 s10, s0, s2
	v_or_b32_e32 v1, s6, v0
	s_addc_u32 s11, s1, s3
	v_cmp_eq_u32_e32 vcc, 0, v1
	s_and_saveexec_b64 s[0:1], vcc
	s_cbranch_execz .LBB190_2
; %bb.1:
	v_mov_b32_e32 v1, 0
	v_mov_b32_e32 v2, s14
	global_store_dword v1, v2, s[8:9]
.LBB190_2:
	s_or_b64 exec, exec, s[0:1]
	s_load_dwordx2 s[2:3], s[4:5], 0x38
	v_mov_b32_e32 v7, 0
	v_and_b32_e32 v6, 15, v0
	v_bfe_u32 v8, v0, 4, 4
	v_mov_b32_e32 v9, v7
	s_waitcnt lgkmcnt(0)
	v_cmp_gt_i64_e32 vcc, s[2:3], v[8:9]
	v_cmp_gt_i64_e64 s[0:1], s[2:3], v[6:7]
	s_and_b64 s[0:1], vcc, s[0:1]
	s_and_saveexec_b64 s[12:13], s[0:1]
	s_cbranch_execz .LBB190_6
; %bb.3:
	s_load_dwordx2 s[0:1], s[10:11], 0x0
	s_load_dword s12, s[4:5], 0x18
	s_mul_i32 s10, s2, s2
	v_lshrrev_b32_e32 v1, 8, v0
	v_lshlrev_b32_e32 v2, 2, v8
	s_waitcnt lgkmcnt(0)
	s_sub_i32 s15, s0, s12
	s_sub_i32 s11, s1, s12
	;; [unrolled: 1-line block ×3, first 2 shown]
	s_mul_i32 s1, s16, s2
	s_mul_i32 s0, s10, s15
	v_mul_lo_u32 v0, s1, v8
	s_add_i32 s1, s1, s14
	s_add_i32 s1, s1, s0
	v_add_u32_e32 v0, s1, v0
	s_mul_i32 s0, s6, s3
	s_mul_hi_u32 s1, s6, s2
	s_add_i32 s1, s1, s0
	s_mul_i32 s0, s6, s2
	s_lshl_b64 s[0:1], s[0:1], 2
	s_add_u32 s0, s8, s0
	s_addc_u32 s1, s9, s1
	global_store_dword v2, v0, s[0:1] offset:4
	v_add_u32_e32 v0, s15, v1
	v_cmp_gt_i32_e32 vcc, s11, v0
	s_and_b64 exec, exec, vcc
	s_cbranch_execz .LBB190_6
; %bb.4:
	s_mul_i32 s13, s2, s3
	s_mul_hi_u32 s17, s2, s2
	s_add_i32 s17, s17, s13
	s_load_dwordx2 s[0:1], s[4:5], 0x30
	s_load_dwordx2 s[6:7], s[4:5], 0x48
	;; [unrolled: 1-line block ×3, first 2 shown]
	s_add_i32 s13, s17, s13
	s_load_dwordx2 s[18:19], s[4:5], 0x20
	s_load_dword s17, s[4:5], 0x0
	v_mad_u64_u32 v[4:5], s[4:5], v6, s2, 0
	v_mov_b32_e32 v10, v5
	v_mad_u64_u32 v[10:11], s[4:5], v6, s3, v[10:11]
	v_mov_b32_e32 v5, v10
	v_add_co_u32_e32 v2, vcc, s14, v6
	v_lshlrev_b64 v[4:5], 3, v[4:5]
	v_addc_co_u32_e64 v3, s[4:5], 0, 0, vcc
	s_waitcnt lgkmcnt(0)
	v_mov_b32_e32 v7, s19
	v_add_co_u32_e32 v9, vcc, s18, v4
	v_addc_co_u32_e32 v5, vcc, v7, v5, vcc
	v_lshlrev_b32_e32 v10, 3, v8
	v_add_co_u32_e32 v9, vcc, v9, v10
	v_mad_u64_u32 v[10:11], s[4:5], v8, s2, 0
	v_mov_b32_e32 v12, v11
	v_mad_u64_u32 v[12:13], s[4:5], v8, s3, v[12:13]
	v_mov_b32_e32 v11, v12
	v_addc_co_u32_e32 v5, vcc, 0, v5, vcc
	v_lshlrev_b64 v[10:11], 3, v[10:11]
	v_add_co_u32_e32 v10, vcc, s18, v10
	v_addc_co_u32_e32 v7, vcc, v7, v11, vcc
	v_lshlrev_b32_e32 v11, 3, v6
	v_add_co_u32_e32 v10, vcc, v10, v11
	s_cmp_eq_u32 s17, 0
	v_addc_co_u32_e32 v7, vcc, 0, v7, vcc
	s_cselect_b64 vcc, -1, 0
	v_cndmask_b32_e32 v7, v5, v7, vcc
	s_mul_i32 s4, s2, s15
	v_mul_lo_u32 v5, s16, v8
	v_add3_u32 v1, v1, s4, v5
	s_mov_b32 s20, 0
	v_cndmask_b32_e32 v10, v9, v10, vcc
	v_mad_u64_u32 v[8:9], s[4:5], s2, v1, v[6:7]
	s_lshl_b32 s14, s2, 2
	v_mov_b32_e32 v4, 0
	v_mov_b32_e32 v5, v8
	s_mov_b64 s[4:5], 0
	v_mov_b32_e32 v6, s1
	v_mov_b32_e32 v8, s20
	;; [unrolled: 1-line block ×5, first 2 shown]
.LBB190_5:                              ; =>This Inner Loop Header: Depth=1
	v_ashrrev_i32_e32 v1, 31, v0
	v_lshlrev_b64 v[16:17], 3, v[0:1]
	v_mul_lo_u32 v13, s13, v0
	v_mad_u64_u32 v[14:15], s[14:15], s10, v0, 0
	v_mul_lo_u32 v1, s10, v1
	v_add_co_u32_e32 v16, vcc, s0, v16
	v_addc_co_u32_e32 v17, vcc, v6, v17, vcc
	v_add3_u32 v15, v15, v1, v13
	global_load_dwordx2 v[16:17], v[16:17], off
	v_lshlrev_b64 v[14:15], 3, v[14:15]
	v_add_co_u32_e32 v14, vcc, v10, v14
	v_addc_co_u32_e32 v15, vcc, v7, v15, vcc
	global_load_dwordx2 v[14:15], v[14:15], off
	v_ashrrev_i64 v[18:19], 29, v[4:5]
	v_add_co_u32_e32 v4, vcc, 0, v4
	v_addc_co_u32_e32 v5, vcc, v5, v12, vcc
	v_add_co_u32_e32 v20, vcc, s8, v18
	v_addc_co_u32_e32 v21, vcc, v9, v19, vcc
	;; [unrolled: 2-line block ×3, first 2 shown]
	v_add_u32_e32 v0, 4, v0
	v_cmp_le_i32_e32 vcc, s11, v0
	s_or_b64 s[4:5], vcc, s[4:5]
	s_waitcnt vmcnt(1)
	v_subrev_co_u32_e32 v1, vcc, s12, v16
	v_subb_co_u32_e32 v13, vcc, v17, v8, vcc
	v_mul_lo_u32 v22, v1, s3
	v_mul_lo_u32 v13, v13, s2
	v_mad_u64_u32 v[16:17], s[14:15], v1, s2, v[2:3]
	v_add3_u32 v17, v13, v17, v22
	s_waitcnt vmcnt(0)
	global_store_dwordx2 v[18:19], v[14:15], off
	global_store_dwordx2 v[20:21], v[16:17], off
	s_andn2_b64 exec, exec, s[4:5]
	s_cbranch_execnz .LBB190_5
.LBB190_6:
	s_endpgm
	.section	.rodata,"a",@progbits
	.p2align	6, 0x0
	.amdhsa_kernel _ZN9rocsparseL33bsr2csr_block_per_row_8_32_kernelILj1024ELj16E21rocsparse_complex_numIfEilEEv20rocsparse_direction_T3_S4_21rocsparse_index_base_PKT1_PKT2_PKS4_S4_S5_PS6_PS9_PS4_
		.amdhsa_group_segment_fixed_size 0
		.amdhsa_private_segment_fixed_size 0
		.amdhsa_kernarg_size 96
		.amdhsa_user_sgpr_count 6
		.amdhsa_user_sgpr_private_segment_buffer 1
		.amdhsa_user_sgpr_dispatch_ptr 0
		.amdhsa_user_sgpr_queue_ptr 0
		.amdhsa_user_sgpr_kernarg_segment_ptr 1
		.amdhsa_user_sgpr_dispatch_id 0
		.amdhsa_user_sgpr_flat_scratch_init 0
		.amdhsa_user_sgpr_kernarg_preload_length 0
		.amdhsa_user_sgpr_kernarg_preload_offset 0
		.amdhsa_user_sgpr_private_segment_size 0
		.amdhsa_uses_dynamic_stack 0
		.amdhsa_system_sgpr_private_segment_wavefront_offset 0
		.amdhsa_system_sgpr_workgroup_id_x 1
		.amdhsa_system_sgpr_workgroup_id_y 0
		.amdhsa_system_sgpr_workgroup_id_z 0
		.amdhsa_system_sgpr_workgroup_info 0
		.amdhsa_system_vgpr_workitem_id 0
		.amdhsa_next_free_vgpr 23
		.amdhsa_next_free_sgpr 21
		.amdhsa_accum_offset 24
		.amdhsa_reserve_vcc 1
		.amdhsa_reserve_flat_scratch 0
		.amdhsa_float_round_mode_32 0
		.amdhsa_float_round_mode_16_64 0
		.amdhsa_float_denorm_mode_32 3
		.amdhsa_float_denorm_mode_16_64 3
		.amdhsa_dx10_clamp 1
		.amdhsa_ieee_mode 1
		.amdhsa_fp16_overflow 0
		.amdhsa_tg_split 0
		.amdhsa_exception_fp_ieee_invalid_op 0
		.amdhsa_exception_fp_denorm_src 0
		.amdhsa_exception_fp_ieee_div_zero 0
		.amdhsa_exception_fp_ieee_overflow 0
		.amdhsa_exception_fp_ieee_underflow 0
		.amdhsa_exception_fp_ieee_inexact 0
		.amdhsa_exception_int_div_zero 0
	.end_amdhsa_kernel
	.section	.text._ZN9rocsparseL33bsr2csr_block_per_row_8_32_kernelILj1024ELj16E21rocsparse_complex_numIfEilEEv20rocsparse_direction_T3_S4_21rocsparse_index_base_PKT1_PKT2_PKS4_S4_S5_PS6_PS9_PS4_,"axG",@progbits,_ZN9rocsparseL33bsr2csr_block_per_row_8_32_kernelILj1024ELj16E21rocsparse_complex_numIfEilEEv20rocsparse_direction_T3_S4_21rocsparse_index_base_PKT1_PKT2_PKS4_S4_S5_PS6_PS9_PS4_,comdat
.Lfunc_end190:
	.size	_ZN9rocsparseL33bsr2csr_block_per_row_8_32_kernelILj1024ELj16E21rocsparse_complex_numIfEilEEv20rocsparse_direction_T3_S4_21rocsparse_index_base_PKT1_PKT2_PKS4_S4_S5_PS6_PS9_PS4_, .Lfunc_end190-_ZN9rocsparseL33bsr2csr_block_per_row_8_32_kernelILj1024ELj16E21rocsparse_complex_numIfEilEEv20rocsparse_direction_T3_S4_21rocsparse_index_base_PKT1_PKT2_PKS4_S4_S5_PS6_PS9_PS4_
                                        ; -- End function
	.section	.AMDGPU.csdata,"",@progbits
; Kernel info:
; codeLenInByte = 728
; NumSgprs: 25
; NumVgprs: 23
; NumAgprs: 0
; TotalNumVgprs: 23
; ScratchSize: 0
; MemoryBound: 0
; FloatMode: 240
; IeeeMode: 1
; LDSByteSize: 0 bytes/workgroup (compile time only)
; SGPRBlocks: 3
; VGPRBlocks: 2
; NumSGPRsForWavesPerEU: 25
; NumVGPRsForWavesPerEU: 23
; AccumOffset: 24
; Occupancy: 8
; WaveLimiterHint : 0
; COMPUTE_PGM_RSRC2:SCRATCH_EN: 0
; COMPUTE_PGM_RSRC2:USER_SGPR: 6
; COMPUTE_PGM_RSRC2:TRAP_HANDLER: 0
; COMPUTE_PGM_RSRC2:TGID_X_EN: 1
; COMPUTE_PGM_RSRC2:TGID_Y_EN: 0
; COMPUTE_PGM_RSRC2:TGID_Z_EN: 0
; COMPUTE_PGM_RSRC2:TIDIG_COMP_CNT: 0
; COMPUTE_PGM_RSRC3_GFX90A:ACCUM_OFFSET: 5
; COMPUTE_PGM_RSRC3_GFX90A:TG_SPLIT: 0
	.section	.text._ZN9rocsparseL33bsr2csr_block_per_row_8_32_kernelILj1024ELj32E21rocsparse_complex_numIfEilEEv20rocsparse_direction_T3_S4_21rocsparse_index_base_PKT1_PKT2_PKS4_S4_S5_PS6_PS9_PS4_,"axG",@progbits,_ZN9rocsparseL33bsr2csr_block_per_row_8_32_kernelILj1024ELj32E21rocsparse_complex_numIfEilEEv20rocsparse_direction_T3_S4_21rocsparse_index_base_PKT1_PKT2_PKS4_S4_S5_PS6_PS9_PS4_,comdat
	.globl	_ZN9rocsparseL33bsr2csr_block_per_row_8_32_kernelILj1024ELj32E21rocsparse_complex_numIfEilEEv20rocsparse_direction_T3_S4_21rocsparse_index_base_PKT1_PKT2_PKS4_S4_S5_PS6_PS9_PS4_ ; -- Begin function _ZN9rocsparseL33bsr2csr_block_per_row_8_32_kernelILj1024ELj32E21rocsparse_complex_numIfEilEEv20rocsparse_direction_T3_S4_21rocsparse_index_base_PKT1_PKT2_PKS4_S4_S5_PS6_PS9_PS4_
	.p2align	8
	.type	_ZN9rocsparseL33bsr2csr_block_per_row_8_32_kernelILj1024ELj32E21rocsparse_complex_numIfEilEEv20rocsparse_direction_T3_S4_21rocsparse_index_base_PKT1_PKT2_PKS4_S4_S5_PS6_PS9_PS4_,@function
_ZN9rocsparseL33bsr2csr_block_per_row_8_32_kernelILj1024ELj32E21rocsparse_complex_numIfEilEEv20rocsparse_direction_T3_S4_21rocsparse_index_base_PKT1_PKT2_PKS4_S4_S5_PS6_PS9_PS4_: ; @_ZN9rocsparseL33bsr2csr_block_per_row_8_32_kernelILj1024ELj32E21rocsparse_complex_numIfEilEEv20rocsparse_direction_T3_S4_21rocsparse_index_base_PKT1_PKT2_PKS4_S4_S5_PS6_PS9_PS4_
; %bb.0:
	s_load_dwordx2 s[0:1], s[4:5], 0x28
	s_load_dword s14, s[4:5], 0x40
	s_load_dwordx2 s[8:9], s[4:5], 0x50
	s_mov_b32 s7, 0
	s_lshl_b64 s[2:3], s[6:7], 2
	s_waitcnt lgkmcnt(0)
	s_add_u32 s10, s0, s2
	v_or_b32_e32 v1, s6, v0
	s_addc_u32 s11, s1, s3
	v_cmp_eq_u32_e32 vcc, 0, v1
	s_and_saveexec_b64 s[0:1], vcc
	s_cbranch_execz .LBB191_2
; %bb.1:
	v_mov_b32_e32 v1, 0
	v_mov_b32_e32 v2, s14
	global_store_dword v1, v2, s[8:9]
.LBB191_2:
	s_or_b64 exec, exec, s[0:1]
	s_load_dwordx2 s[2:3], s[4:5], 0x38
	v_mov_b32_e32 v5, 0
	v_and_b32_e32 v4, 31, v0
	v_lshrrev_b32_e32 v6, 5, v0
	v_mov_b32_e32 v7, v5
	s_waitcnt lgkmcnt(0)
	v_cmp_gt_i64_e32 vcc, s[2:3], v[6:7]
	v_cmp_gt_i64_e64 s[0:1], s[2:3], v[4:5]
	s_and_b64 s[0:1], vcc, s[0:1]
	s_and_saveexec_b64 s[12:13], s[0:1]
	s_cbranch_execz .LBB191_6
; %bb.3:
	s_load_dwordx2 s[16:17], s[10:11], 0x0
	s_load_dword s12, s[4:5], 0x18
	s_mul_i32 s10, s2, s2
	v_lshlrev_b32_e32 v1, 2, v6
	s_waitcnt lgkmcnt(0)
	s_sub_i32 s0, s16, s12
	s_sub_i32 s13, s17, s12
	;; [unrolled: 1-line block ×3, first 2 shown]
	s_mul_i32 s11, s1, s2
	s_mul_i32 s7, s10, s0
	v_mul_lo_u32 v0, s11, v6
	s_add_i32 s11, s11, s14
	s_add_i32 s11, s11, s7
	v_add_u32_e32 v0, s11, v0
	s_mul_i32 s7, s6, s3
	s_mul_hi_u32 s11, s6, s2
	s_add_i32 s7, s11, s7
	s_mul_i32 s6, s6, s2
	s_lshl_b64 s[6:7], s[6:7], 2
	s_add_u32 s6, s8, s6
	s_addc_u32 s7, s9, s7
	s_cmp_ge_i32 s16, s17
	global_store_dword v1, v0, s[6:7] offset:4
	s_cbranch_scc1 .LBB191_6
; %bb.4:
	s_mul_i32 s11, s2, s3
	s_mul_hi_u32 s15, s2, s2
	s_add_i32 s15, s15, s11
	s_load_dwordx2 s[16:17], s[4:5], 0x30
	s_load_dwordx2 s[6:7], s[4:5], 0x48
	;; [unrolled: 1-line block ×3, first 2 shown]
	s_add_i32 s11, s15, s11
	s_load_dwordx2 s[18:19], s[4:5], 0x20
	s_load_dword s15, s[4:5], 0x0
	v_mad_u64_u32 v[2:3], s[4:5], v4, s2, 0
	v_mov_b32_e32 v8, v3
	v_mad_u64_u32 v[8:9], s[4:5], v4, s3, v[8:9]
	v_mov_b32_e32 v3, v8
	v_add_co_u32_e32 v0, vcc, s14, v4
	v_lshlrev_b64 v[2:3], 3, v[2:3]
	v_addc_co_u32_e64 v1, s[4:5], 0, 0, vcc
	s_waitcnt lgkmcnt(0)
	v_mov_b32_e32 v5, s19
	v_add_co_u32_e32 v7, vcc, s18, v2
	v_addc_co_u32_e32 v3, vcc, v5, v3, vcc
	v_lshlrev_b32_e32 v8, 3, v6
	v_add_co_u32_e32 v7, vcc, v7, v8
	v_mad_u64_u32 v[8:9], s[4:5], v6, s2, 0
	v_mov_b32_e32 v10, v9
	v_mad_u64_u32 v[10:11], s[4:5], v6, s3, v[10:11]
	v_mov_b32_e32 v9, v10
	v_addc_co_u32_e32 v3, vcc, 0, v3, vcc
	v_lshlrev_b64 v[8:9], 3, v[8:9]
	v_add_co_u32_e32 v8, vcc, s18, v8
	v_addc_co_u32_e32 v5, vcc, v5, v9, vcc
	v_lshlrev_b32_e32 v9, 3, v4
	v_add_co_u32_e32 v8, vcc, v8, v9
	s_cmp_eq_u32 s15, 0
	v_addc_co_u32_e32 v5, vcc, 0, v5, vcc
	s_cselect_b64 vcc, -1, 0
	v_cndmask_b32_e32 v9, v3, v5, vcc
	s_mul_i32 s4, s2, s0
	v_mul_lo_u32 v3, v6, s1
	v_add_u32_e32 v3, s4, v3
	v_mad_u64_u32 v[4:5], s[4:5], s2, v3, v[4:5]
	s_ashr_i32 s1, s0, 31
	s_lshl_b64 s[4:5], s[0:1], 3
	s_add_u32 s4, s16, s4
	s_mul_hi_u32 s14, s10, s0
	s_mul_i32 s1, s10, s1
	s_addc_u32 s5, s17, s5
	s_add_i32 s1, s14, s1
	s_mul_i32 s14, s11, s0
	s_add_i32 s15, s1, s14
	s_mul_i32 s14, s10, s0
	v_cndmask_b32_e32 v7, v7, v8, vcc
	s_lshl_b64 s[14:15], s[14:15], 3
	v_mov_b32_e32 v3, v4
	v_mov_b32_e32 v5, s15
	v_add_co_u32_e32 v4, vcc, s14, v7
	s_lshl_b64 s[10:11], s[10:11], 3
	v_mov_b32_e32 v2, 0
	v_addc_co_u32_e32 v5, vcc, v9, v5, vcc
	v_mov_b32_e32 v6, s2
	v_mov_b32_e32 v7, s9
	;; [unrolled: 1-line block ×5, first 2 shown]
.LBB191_5:                              ; =>This Inner Loop Header: Depth=1
	global_load_dwordx2 v[12:13], v[4:5], off
	s_load_dwordx2 s[14:15], s[4:5], 0x0
	v_ashrrev_i64 v[14:15], 29, v[2:3]
	v_add_co_u32_e32 v2, vcc, 0, v2
	v_addc_co_u32_e32 v3, vcc, v3, v9, vcc
	s_waitcnt lgkmcnt(0)
	s_sub_u32 s1, s14, s12
	v_add_co_u32_e32 v4, vcc, s10, v4
	s_subb_u32 s7, s15, 0
	v_addc_co_u32_e32 v5, vcc, v5, v10, vcc
	s_mul_i32 s9, s1, s3
	s_mul_i32 s7, s7, s2
	v_add_co_u32_e32 v16, vcc, s8, v14
	s_add_i32 s0, s0, 1
	s_add_i32 s9, s9, s7
	v_addc_co_u32_e32 v17, vcc, v7, v15, vcc
	s_add_u32 s4, s4, 8
	v_add_co_u32_e32 v14, vcc, s6, v14
	v_mad_u64_u32 v[18:19], s[14:15], s1, v6, v[0:1]
	s_addc_u32 s5, s5, 0
	v_addc_co_u32_e32 v15, vcc, v8, v15, vcc
	v_add_u32_e32 v19, s9, v19
	s_cmp_lt_i32 s0, s13
	global_store_dwordx2 v[16:17], v[18:19], off
	s_waitcnt vmcnt(1)
	global_store_dwordx2 v[14:15], v[12:13], off
	s_cbranch_scc1 .LBB191_5
.LBB191_6:
	s_endpgm
	.section	.rodata,"a",@progbits
	.p2align	6, 0x0
	.amdhsa_kernel _ZN9rocsparseL33bsr2csr_block_per_row_8_32_kernelILj1024ELj32E21rocsparse_complex_numIfEilEEv20rocsparse_direction_T3_S4_21rocsparse_index_base_PKT1_PKT2_PKS4_S4_S5_PS6_PS9_PS4_
		.amdhsa_group_segment_fixed_size 0
		.amdhsa_private_segment_fixed_size 0
		.amdhsa_kernarg_size 96
		.amdhsa_user_sgpr_count 6
		.amdhsa_user_sgpr_private_segment_buffer 1
		.amdhsa_user_sgpr_dispatch_ptr 0
		.amdhsa_user_sgpr_queue_ptr 0
		.amdhsa_user_sgpr_kernarg_segment_ptr 1
		.amdhsa_user_sgpr_dispatch_id 0
		.amdhsa_user_sgpr_flat_scratch_init 0
		.amdhsa_user_sgpr_kernarg_preload_length 0
		.amdhsa_user_sgpr_kernarg_preload_offset 0
		.amdhsa_user_sgpr_private_segment_size 0
		.amdhsa_uses_dynamic_stack 0
		.amdhsa_system_sgpr_private_segment_wavefront_offset 0
		.amdhsa_system_sgpr_workgroup_id_x 1
		.amdhsa_system_sgpr_workgroup_id_y 0
		.amdhsa_system_sgpr_workgroup_id_z 0
		.amdhsa_system_sgpr_workgroup_info 0
		.amdhsa_system_vgpr_workitem_id 0
		.amdhsa_next_free_vgpr 20
		.amdhsa_next_free_sgpr 20
		.amdhsa_accum_offset 20
		.amdhsa_reserve_vcc 1
		.amdhsa_reserve_flat_scratch 0
		.amdhsa_float_round_mode_32 0
		.amdhsa_float_round_mode_16_64 0
		.amdhsa_float_denorm_mode_32 3
		.amdhsa_float_denorm_mode_16_64 3
		.amdhsa_dx10_clamp 1
		.amdhsa_ieee_mode 1
		.amdhsa_fp16_overflow 0
		.amdhsa_tg_split 0
		.amdhsa_exception_fp_ieee_invalid_op 0
		.amdhsa_exception_fp_denorm_src 0
		.amdhsa_exception_fp_ieee_div_zero 0
		.amdhsa_exception_fp_ieee_overflow 0
		.amdhsa_exception_fp_ieee_underflow 0
		.amdhsa_exception_fp_ieee_inexact 0
		.amdhsa_exception_int_div_zero 0
	.end_amdhsa_kernel
	.section	.text._ZN9rocsparseL33bsr2csr_block_per_row_8_32_kernelILj1024ELj32E21rocsparse_complex_numIfEilEEv20rocsparse_direction_T3_S4_21rocsparse_index_base_PKT1_PKT2_PKS4_S4_S5_PS6_PS9_PS4_,"axG",@progbits,_ZN9rocsparseL33bsr2csr_block_per_row_8_32_kernelILj1024ELj32E21rocsparse_complex_numIfEilEEv20rocsparse_direction_T3_S4_21rocsparse_index_base_PKT1_PKT2_PKS4_S4_S5_PS6_PS9_PS4_,comdat
.Lfunc_end191:
	.size	_ZN9rocsparseL33bsr2csr_block_per_row_8_32_kernelILj1024ELj32E21rocsparse_complex_numIfEilEEv20rocsparse_direction_T3_S4_21rocsparse_index_base_PKT1_PKT2_PKS4_S4_S5_PS6_PS9_PS4_, .Lfunc_end191-_ZN9rocsparseL33bsr2csr_block_per_row_8_32_kernelILj1024ELj32E21rocsparse_complex_numIfEilEEv20rocsparse_direction_T3_S4_21rocsparse_index_base_PKT1_PKT2_PKS4_S4_S5_PS6_PS9_PS4_
                                        ; -- End function
	.section	.AMDGPU.csdata,"",@progbits
; Kernel info:
; codeLenInByte = 688
; NumSgprs: 24
; NumVgprs: 20
; NumAgprs: 0
; TotalNumVgprs: 20
; ScratchSize: 0
; MemoryBound: 0
; FloatMode: 240
; IeeeMode: 1
; LDSByteSize: 0 bytes/workgroup (compile time only)
; SGPRBlocks: 2
; VGPRBlocks: 2
; NumSGPRsForWavesPerEU: 24
; NumVGPRsForWavesPerEU: 20
; AccumOffset: 20
; Occupancy: 8
; WaveLimiterHint : 0
; COMPUTE_PGM_RSRC2:SCRATCH_EN: 0
; COMPUTE_PGM_RSRC2:USER_SGPR: 6
; COMPUTE_PGM_RSRC2:TRAP_HANDLER: 0
; COMPUTE_PGM_RSRC2:TGID_X_EN: 1
; COMPUTE_PGM_RSRC2:TGID_Y_EN: 0
; COMPUTE_PGM_RSRC2:TGID_Z_EN: 0
; COMPUTE_PGM_RSRC2:TIDIG_COMP_CNT: 0
; COMPUTE_PGM_RSRC3_GFX90A:ACCUM_OFFSET: 4
; COMPUTE_PGM_RSRC3_GFX90A:TG_SPLIT: 0
	.section	.text._ZN9rocsparseL35bsr2csr_block_per_row_33_256_kernelILj1024ELj64ELj32E21rocsparse_complex_numIfEilEEv20rocsparse_direction_T4_S4_21rocsparse_index_base_PKT2_PKT3_PKS4_S4_S5_PS6_PS9_PS4_,"axG",@progbits,_ZN9rocsparseL35bsr2csr_block_per_row_33_256_kernelILj1024ELj64ELj32E21rocsparse_complex_numIfEilEEv20rocsparse_direction_T4_S4_21rocsparse_index_base_PKT2_PKT3_PKS4_S4_S5_PS6_PS9_PS4_,comdat
	.globl	_ZN9rocsparseL35bsr2csr_block_per_row_33_256_kernelILj1024ELj64ELj32E21rocsparse_complex_numIfEilEEv20rocsparse_direction_T4_S4_21rocsparse_index_base_PKT2_PKT3_PKS4_S4_S5_PS6_PS9_PS4_ ; -- Begin function _ZN9rocsparseL35bsr2csr_block_per_row_33_256_kernelILj1024ELj64ELj32E21rocsparse_complex_numIfEilEEv20rocsparse_direction_T4_S4_21rocsparse_index_base_PKT2_PKT3_PKS4_S4_S5_PS6_PS9_PS4_
	.p2align	8
	.type	_ZN9rocsparseL35bsr2csr_block_per_row_33_256_kernelILj1024ELj64ELj32E21rocsparse_complex_numIfEilEEv20rocsparse_direction_T4_S4_21rocsparse_index_base_PKT2_PKT3_PKS4_S4_S5_PS6_PS9_PS4_,@function
_ZN9rocsparseL35bsr2csr_block_per_row_33_256_kernelILj1024ELj64ELj32E21rocsparse_complex_numIfEilEEv20rocsparse_direction_T4_S4_21rocsparse_index_base_PKT2_PKT3_PKS4_S4_S5_PS6_PS9_PS4_: ; @_ZN9rocsparseL35bsr2csr_block_per_row_33_256_kernelILj1024ELj64ELj32E21rocsparse_complex_numIfEilEEv20rocsparse_direction_T4_S4_21rocsparse_index_base_PKT2_PKT3_PKS4_S4_S5_PS6_PS9_PS4_
; %bb.0:
	s_load_dwordx2 s[0:1], s[4:5], 0x28
	s_load_dword s26, s[4:5], 0x40
	s_load_dwordx2 s[2:3], s[4:5], 0x50
	s_mov_b32 s7, 0
	s_lshl_b64 s[8:9], s[6:7], 2
	s_waitcnt lgkmcnt(0)
	s_add_u32 s0, s0, s8
	s_addc_u32 s1, s1, s9
	s_load_dwordx2 s[0:1], s[0:1], 0x0
	v_or_b32_e32 v1, s6, v0
	v_cmp_eq_u32_e32 vcc, 0, v1
	s_and_saveexec_b64 s[8:9], vcc
	s_cbranch_execz .LBB192_2
; %bb.1:
	v_mov_b32_e32 v1, 0
	v_mov_b32_e32 v2, s26
	global_store_dword v1, v2, s[2:3]
.LBB192_2:
	s_or_b64 exec, exec, s[8:9]
	s_load_dword s27, s[4:5], 0x18
	s_load_dwordx2 s[8:9], s[4:5], 0x38
	v_mov_b32_e32 v7, 0
	v_lshrrev_b32_e32 v6, 5, v0
	v_lshlrev_b32_e32 v1, 2, v6
	s_waitcnt lgkmcnt(0)
	s_sub_i32 s10, s0, s27
	s_mul_i32 s7, s8, s9
	s_mul_hi_u32 s11, s8, s8
	s_sub_i32 s28, s1, s27
	s_add_i32 s11, s11, s7
	s_add_i32 s23, s11, s7
	s_sub_i32 s11, s28, s10
	s_mul_i32 s7, s6, s9
	s_mul_hi_u32 s12, s6, s8
	s_mul_i32 s16, s11, s8
	s_add_i32 s7, s12, s7
	s_mul_i32 s6, s6, s8
	s_add_i32 s15, s16, s26
	s_lshl_b64 s[6:7], s[6:7], 2
	s_mul_i32 s22, s8, s8
	s_add_u32 s6, s2, s6
	s_mul_i32 s14, s22, s10
	s_addc_u32 s7, s3, s7
	v_cmp_gt_i64_e32 vcc, s[8:9], v[6:7]
	s_and_saveexec_b64 s[2:3], vcc
	s_cbranch_execz .LBB192_4
; %bb.3:
	v_mul_lo_u32 v2, v6, s16
	s_add_i32 s12, s15, s14
	v_add_u32_e32 v2, s12, v2
	global_store_dword v1, v2, s[6:7] offset:4
.LBB192_4:
	s_or_b64 exec, exec, s[2:3]
	v_or_b32_e32 v4, 32, v6
	v_mov_b32_e32 v5, v7
	v_cmp_gt_i64_e64 s[2:3], s[8:9], v[4:5]
	s_and_saveexec_b64 s[12:13], s[2:3]
	s_cbranch_execz .LBB192_6
; %bb.5:
	s_add_u32 s6, s6, 4
	s_addc_u32 s7, s7, 0
	v_mul_lo_u32 v2, v4, s16
	s_add_i32 s15, s15, s14
	v_add_u32_e32 v2, s15, v2
	global_store_dword v1, v2, s[6:7] offset:128
.LBB192_6:
	s_or_b64 exec, exec, s[12:13]
	s_cmp_lt_i32 s0, s1
	s_cbranch_scc0 .LBB192_17
; %bb.7:
	s_load_dwordx2 s[24:25], s[4:5], 0x30
	s_load_dwordx2 s[12:13], s[4:5], 0x48
	s_load_dword s0, s[4:5], 0x0
	s_load_dwordx2 s[14:15], s[4:5], 0x20
	s_load_dwordx2 s[16:17], s[4:5], 0x58
	v_and_b32_e32 v0, 31, v0
	v_mov_b32_e32 v1, 0
	s_waitcnt lgkmcnt(0)
	s_cmp_eq_u32 s0, 0
	v_or_b32_e32 v2, 32, v0
	v_mov_b32_e32 v3, v1
	s_cselect_b64 s[0:1], -1, 0
	v_mul_lo_u32 v7, v6, s11
	v_cmp_gt_i64_e64 s[4:5], s[8:9], v[0:1]
	v_cmp_gt_i64_e64 s[6:7], s[8:9], v[2:3]
	v_mul_lo_u32 v3, v4, s11
	s_ashr_i32 s11, s10, 31
	s_and_b64 s[18:19], vcc, s[4:5]
	s_and_b64 s[20:21], vcc, s[6:7]
	s_and_b64 s[4:5], s[2:3], s[4:5]
	s_and_b64 s[2:3], s[2:3], s[6:7]
	s_lshl_b64 s[6:7], s[10:11], 3
	s_add_u32 s6, s24, s6
	s_mul_hi_u32 s24, s8, s10
	s_mul_i32 s11, s8, s11
	s_addc_u32 s7, s25, s7
	s_add_i32 s11, s24, s11
	s_mul_i32 s24, s9, s10
	s_mul_i32 s30, s8, s10
	s_add_i32 s31, s11, s24
	s_lshl_b64 s[24:25], s[30:31], 3
	v_lshlrev_b32_e32 v14, 3, v6
	v_mov_b32_e32 v6, s25
	v_add_co_u32_e32 v10, vcc, s24, v14
	v_addc_co_u32_e32 v11, vcc, 0, v6, vcc
	s_movk_i32 s11, 0x100
	v_add_co_u32_e32 v8, vcc, s11, v10
	v_addc_co_u32_e32 v9, vcc, 0, v11, vcc
	v_lshlrev_b32_e32 v12, 3, v0
	v_mov_b32_e32 v13, v1
	v_add_u32_e32 v3, s30, v3
	v_mov_b32_e32 v4, v1
	v_add_u32_e32 v7, s30, v7
	v_mov_b32_e32 v15, v1
	v_mul_lo_u32 v1, s8, v9
	v_mul_lo_u32 v16, s9, v8
	v_mad_u64_u32 v[8:9], s[30:31], s8, v8, v[12:13]
	v_add3_u32 v9, v16, v9, v1
	v_mul_lo_u32 v1, s8, v11
	v_mul_lo_u32 v16, s9, v10
	v_mad_u64_u32 v[10:11], s[30:31], s8, v10, v[12:13]
	v_add3_u32 v11, v16, v11, v1
	v_add_co_u32_e32 v1, vcc, s24, v12
	v_addc_co_u32_e32 v6, vcc, 0, v6, vcc
	v_add_co_u32_e32 v12, vcc, s11, v1
	v_addc_co_u32_e32 v13, vcc, 0, v6, vcc
	v_mul_lo_u32 v16, s8, v13
	v_mul_lo_u32 v17, s9, v12
	v_mad_u64_u32 v[12:13], s[24:25], s8, v12, v[14:15]
	v_add3_u32 v13, v17, v13, v16
	v_mul_lo_u32 v6, s8, v6
	v_mul_lo_u32 v16, s9, v1
	v_mad_u64_u32 v[14:15], s[24:25], s8, v1, v[14:15]
	v_add3_u32 v15, v16, v15, v6
	v_mul_lo_u32 v3, s8, v3
	v_mov_b32_e32 v5, v0
	s_mov_b32 s29, s8
	v_mul_lo_u32 v7, s8, v7
	s_lshl_b64 s[22:23], s[22:23], 3
	v_cndmask_b32_e64 v1, v15, v11, s[0:1]
	v_cndmask_b32_e64 v6, v14, v10, s[0:1]
	s_branch .LBB192_9
.LBB192_8:                              ;   in Loop: Header=BB192_9 Depth=1
	s_or_b64 exec, exec, s[24:25]
	s_add_i32 s10, s10, 1
	s_add_u32 s6, s6, 8
	s_addc_u32 s7, s7, 0
	s_add_u32 s14, s14, s22
	v_mov_b32_e32 v16, s29
	s_addc_u32 s15, s15, s23
	v_add_co_u32_e32 v4, vcc, 0, v4
	s_cmp_ge_i32 s10, s28
	v_addc_co_u32_e32 v5, vcc, v5, v16, vcc
	s_cbranch_scc1 .LBB192_17
.LBB192_9:                              ; =>This Inner Loop Header: Depth=1
	s_load_dwordx2 s[24:25], s[6:7], 0x0
	s_waitcnt lgkmcnt(0)
	s_sub_u32 s24, s24, s27
	s_subb_u32 s25, s25, 0
	s_mul_i32 s30, s24, s9
	s_mul_hi_u32 s31, s24, s8
	s_add_i32 s30, s31, s30
	s_mul_i32 s25, s25, s8
	s_add_i32 s25, s30, s25
	s_mul_i32 s24, s24, s8
	s_add_u32 s30, s24, s26
	s_addc_u32 s31, s25, 0
	s_and_saveexec_b64 s[24:25], s[18:19]
	s_cbranch_execnz .LBB192_13
; %bb.10:                               ;   in Loop: Header=BB192_9 Depth=1
	s_or_b64 exec, exec, s[24:25]
	s_and_saveexec_b64 s[24:25], s[20:21]
	s_cbranch_execnz .LBB192_14
.LBB192_11:                             ;   in Loop: Header=BB192_9 Depth=1
	s_or_b64 exec, exec, s[24:25]
	s_and_saveexec_b64 s[24:25], s[4:5]
	s_cbranch_execnz .LBB192_15
.LBB192_12:                             ;   in Loop: Header=BB192_9 Depth=1
	s_or_b64 exec, exec, s[24:25]
	s_and_saveexec_b64 s[24:25], s[2:3]
	s_cbranch_execz .LBB192_8
	s_branch .LBB192_16
.LBB192_13:                             ;   in Loop: Header=BB192_9 Depth=1
	v_mov_b32_e32 v17, s15
	v_add_co_u32_e32 v16, vcc, s14, v6
	v_addc_co_u32_e32 v17, vcc, v17, v1, vcc
	global_load_dwordx2 v[16:17], v[16:17], off
	v_mov_b32_e32 v19, s31
	v_add_co_u32_e32 v18, vcc, s30, v0
	v_addc_co_u32_e32 v19, vcc, 0, v19, vcc
	v_add_co_u32_e32 v20, vcc, 0, v4
	v_addc_co_u32_e32 v21, vcc, v7, v5, vcc
	v_ashrrev_i64 v[20:21], 29, v[20:21]
	v_mov_b32_e32 v23, s17
	v_add_co_u32_e32 v22, vcc, s16, v20
	v_addc_co_u32_e32 v23, vcc, v23, v21, vcc
	global_store_dwordx2 v[22:23], v[18:19], off
	v_mov_b32_e32 v19, s13
	v_add_co_u32_e32 v18, vcc, s12, v20
	v_addc_co_u32_e32 v19, vcc, v19, v21, vcc
	s_waitcnt vmcnt(1)
	global_store_dwordx2 v[18:19], v[16:17], off
	s_or_b64 exec, exec, s[24:25]
	s_and_saveexec_b64 s[24:25], s[20:21]
	s_cbranch_execz .LBB192_11
.LBB192_14:                             ;   in Loop: Header=BB192_9 Depth=1
	v_mov_b32_e32 v16, s15
	v_add_co_u32_e32 v17, vcc, s14, v10
	v_addc_co_u32_e32 v18, vcc, v16, v11, vcc
	v_add_co_u32_e32 v19, vcc, s11, v17
	v_addc_co_u32_e32 v17, vcc, 0, v18, vcc
	;; [unrolled: 2-line block ×3, first 2 shown]
	v_cndmask_b32_e64 v17, v16, v17, s[0:1]
	v_cndmask_b32_e64 v16, v18, v19, s[0:1]
	global_load_dwordx2 v[16:17], v[16:17], off
	v_mov_b32_e32 v19, s31
	v_add_co_u32_e32 v18, vcc, s30, v2
	v_addc_co_u32_e32 v19, vcc, 0, v19, vcc
	v_add_co_u32_e32 v20, vcc, 0, v4
	v_addc_co_u32_e32 v21, vcc, v7, v5, vcc
	;; [unrolled: 2-line block ×3, first 2 shown]
	v_ashrrev_i64 v[20:21], 29, v[20:21]
	v_mov_b32_e32 v23, s17
	v_add_co_u32_e32 v22, vcc, s16, v20
	v_addc_co_u32_e32 v23, vcc, v23, v21, vcc
	global_store_dwordx2 v[22:23], v[18:19], off
	v_mov_b32_e32 v19, s13
	v_add_co_u32_e32 v18, vcc, s12, v20
	v_addc_co_u32_e32 v19, vcc, v19, v21, vcc
	s_waitcnt vmcnt(1)
	global_store_dwordx2 v[18:19], v[16:17], off
	s_or_b64 exec, exec, s[24:25]
	s_and_saveexec_b64 s[24:25], s[4:5]
	s_cbranch_execz .LBB192_12
.LBB192_15:                             ;   in Loop: Header=BB192_9 Depth=1
	v_mov_b32_e32 v16, s15
	v_add_co_u32_e32 v18, vcc, s14, v8
	v_addc_co_u32_e32 v17, vcc, v16, v9, vcc
	v_add_co_u32_e32 v19, vcc, s14, v14
	v_addc_co_u32_e32 v16, vcc, v16, v15, vcc
	;; [unrolled: 2-line block ×3, first 2 shown]
	v_cndmask_b32_e64 v17, v16, v17, s[0:1]
	v_cndmask_b32_e64 v16, v19, v18, s[0:1]
	global_load_dwordx2 v[16:17], v[16:17], off
	v_mov_b32_e32 v19, s31
	v_add_co_u32_e32 v18, vcc, s30, v0
	v_addc_co_u32_e32 v19, vcc, 0, v19, vcc
	v_add_co_u32_e32 v20, vcc, 0, v4
	v_addc_co_u32_e32 v21, vcc, v3, v5, vcc
	v_ashrrev_i64 v[20:21], 29, v[20:21]
	v_mov_b32_e32 v23, s17
	v_add_co_u32_e32 v22, vcc, s16, v20
	v_addc_co_u32_e32 v23, vcc, v23, v21, vcc
	global_store_dwordx2 v[22:23], v[18:19], off
	v_mov_b32_e32 v19, s13
	v_add_co_u32_e32 v18, vcc, s12, v20
	v_addc_co_u32_e32 v19, vcc, v19, v21, vcc
	s_waitcnt vmcnt(1)
	global_store_dwordx2 v[18:19], v[16:17], off
	s_or_b64 exec, exec, s[24:25]
	s_and_saveexec_b64 s[24:25], s[2:3]
	s_cbranch_execz .LBB192_8
.LBB192_16:                             ;   in Loop: Header=BB192_9 Depth=1
	v_cndmask_b32_e64 v16, v12, v8, s[0:1]
	v_cndmask_b32_e64 v17, v13, v9, s[0:1]
	v_mov_b32_e32 v18, s15
	v_add_co_u32_e32 v16, vcc, s14, v16
	v_addc_co_u32_e32 v17, vcc, v18, v17, vcc
	global_load_dwordx2 v[16:17], v[16:17], off offset:256
	v_mov_b32_e32 v19, s31
	v_add_co_u32_e32 v18, vcc, s30, v2
	v_addc_co_u32_e32 v19, vcc, 0, v19, vcc
	v_add_co_u32_e32 v20, vcc, 0, v4
	v_addc_co_u32_e32 v21, vcc, v3, v5, vcc
	v_add_co_u32_e32 v20, vcc, 0, v20
	v_addc_co_u32_e32 v21, vcc, 32, v21, vcc
	v_ashrrev_i64 v[20:21], 29, v[20:21]
	v_mov_b32_e32 v23, s17
	v_add_co_u32_e32 v22, vcc, s16, v20
	v_addc_co_u32_e32 v23, vcc, v23, v21, vcc
	global_store_dwordx2 v[22:23], v[18:19], off
	v_mov_b32_e32 v19, s13
	v_add_co_u32_e32 v18, vcc, s12, v20
	v_addc_co_u32_e32 v19, vcc, v19, v21, vcc
	s_waitcnt vmcnt(1)
	global_store_dwordx2 v[18:19], v[16:17], off
	s_branch .LBB192_8
.LBB192_17:
	s_endpgm
	.section	.rodata,"a",@progbits
	.p2align	6, 0x0
	.amdhsa_kernel _ZN9rocsparseL35bsr2csr_block_per_row_33_256_kernelILj1024ELj64ELj32E21rocsparse_complex_numIfEilEEv20rocsparse_direction_T4_S4_21rocsparse_index_base_PKT2_PKT3_PKS4_S4_S5_PS6_PS9_PS4_
		.amdhsa_group_segment_fixed_size 0
		.amdhsa_private_segment_fixed_size 0
		.amdhsa_kernarg_size 96
		.amdhsa_user_sgpr_count 6
		.amdhsa_user_sgpr_private_segment_buffer 1
		.amdhsa_user_sgpr_dispatch_ptr 0
		.amdhsa_user_sgpr_queue_ptr 0
		.amdhsa_user_sgpr_kernarg_segment_ptr 1
		.amdhsa_user_sgpr_dispatch_id 0
		.amdhsa_user_sgpr_flat_scratch_init 0
		.amdhsa_user_sgpr_kernarg_preload_length 0
		.amdhsa_user_sgpr_kernarg_preload_offset 0
		.amdhsa_user_sgpr_private_segment_size 0
		.amdhsa_uses_dynamic_stack 0
		.amdhsa_system_sgpr_private_segment_wavefront_offset 0
		.amdhsa_system_sgpr_workgroup_id_x 1
		.amdhsa_system_sgpr_workgroup_id_y 0
		.amdhsa_system_sgpr_workgroup_id_z 0
		.amdhsa_system_sgpr_workgroup_info 0
		.amdhsa_system_vgpr_workitem_id 0
		.amdhsa_next_free_vgpr 24
		.amdhsa_next_free_sgpr 32
		.amdhsa_accum_offset 24
		.amdhsa_reserve_vcc 1
		.amdhsa_reserve_flat_scratch 0
		.amdhsa_float_round_mode_32 0
		.amdhsa_float_round_mode_16_64 0
		.amdhsa_float_denorm_mode_32 3
		.amdhsa_float_denorm_mode_16_64 3
		.amdhsa_dx10_clamp 1
		.amdhsa_ieee_mode 1
		.amdhsa_fp16_overflow 0
		.amdhsa_tg_split 0
		.amdhsa_exception_fp_ieee_invalid_op 0
		.amdhsa_exception_fp_denorm_src 0
		.amdhsa_exception_fp_ieee_div_zero 0
		.amdhsa_exception_fp_ieee_overflow 0
		.amdhsa_exception_fp_ieee_underflow 0
		.amdhsa_exception_fp_ieee_inexact 0
		.amdhsa_exception_int_div_zero 0
	.end_amdhsa_kernel
	.section	.text._ZN9rocsparseL35bsr2csr_block_per_row_33_256_kernelILj1024ELj64ELj32E21rocsparse_complex_numIfEilEEv20rocsparse_direction_T4_S4_21rocsparse_index_base_PKT2_PKT3_PKS4_S4_S5_PS6_PS9_PS4_,"axG",@progbits,_ZN9rocsparseL35bsr2csr_block_per_row_33_256_kernelILj1024ELj64ELj32E21rocsparse_complex_numIfEilEEv20rocsparse_direction_T4_S4_21rocsparse_index_base_PKT2_PKT3_PKS4_S4_S5_PS6_PS9_PS4_,comdat
.Lfunc_end192:
	.size	_ZN9rocsparseL35bsr2csr_block_per_row_33_256_kernelILj1024ELj64ELj32E21rocsparse_complex_numIfEilEEv20rocsparse_direction_T4_S4_21rocsparse_index_base_PKT2_PKT3_PKS4_S4_S5_PS6_PS9_PS4_, .Lfunc_end192-_ZN9rocsparseL35bsr2csr_block_per_row_33_256_kernelILj1024ELj64ELj32E21rocsparse_complex_numIfEilEEv20rocsparse_direction_T4_S4_21rocsparse_index_base_PKT2_PKT3_PKS4_S4_S5_PS6_PS9_PS4_
                                        ; -- End function
	.section	.AMDGPU.csdata,"",@progbits
; Kernel info:
; codeLenInByte = 1360
; NumSgprs: 36
; NumVgprs: 24
; NumAgprs: 0
; TotalNumVgprs: 24
; ScratchSize: 0
; MemoryBound: 0
; FloatMode: 240
; IeeeMode: 1
; LDSByteSize: 0 bytes/workgroup (compile time only)
; SGPRBlocks: 4
; VGPRBlocks: 2
; NumSGPRsForWavesPerEU: 36
; NumVGPRsForWavesPerEU: 24
; AccumOffset: 24
; Occupancy: 8
; WaveLimiterHint : 1
; COMPUTE_PGM_RSRC2:SCRATCH_EN: 0
; COMPUTE_PGM_RSRC2:USER_SGPR: 6
; COMPUTE_PGM_RSRC2:TRAP_HANDLER: 0
; COMPUTE_PGM_RSRC2:TGID_X_EN: 1
; COMPUTE_PGM_RSRC2:TGID_Y_EN: 0
; COMPUTE_PGM_RSRC2:TGID_Z_EN: 0
; COMPUTE_PGM_RSRC2:TIDIG_COMP_CNT: 0
; COMPUTE_PGM_RSRC3_GFX90A:ACCUM_OFFSET: 5
; COMPUTE_PGM_RSRC3_GFX90A:TG_SPLIT: 0
	.section	.text._ZN9rocsparseL35bsr2csr_block_per_row_33_256_kernelILj1024ELj128ELj32E21rocsparse_complex_numIfEilEEv20rocsparse_direction_T4_S4_21rocsparse_index_base_PKT2_PKT3_PKS4_S4_S5_PS6_PS9_PS4_,"axG",@progbits,_ZN9rocsparseL35bsr2csr_block_per_row_33_256_kernelILj1024ELj128ELj32E21rocsparse_complex_numIfEilEEv20rocsparse_direction_T4_S4_21rocsparse_index_base_PKT2_PKT3_PKS4_S4_S5_PS6_PS9_PS4_,comdat
	.globl	_ZN9rocsparseL35bsr2csr_block_per_row_33_256_kernelILj1024ELj128ELj32E21rocsparse_complex_numIfEilEEv20rocsparse_direction_T4_S4_21rocsparse_index_base_PKT2_PKT3_PKS4_S4_S5_PS6_PS9_PS4_ ; -- Begin function _ZN9rocsparseL35bsr2csr_block_per_row_33_256_kernelILj1024ELj128ELj32E21rocsparse_complex_numIfEilEEv20rocsparse_direction_T4_S4_21rocsparse_index_base_PKT2_PKT3_PKS4_S4_S5_PS6_PS9_PS4_
	.p2align	8
	.type	_ZN9rocsparseL35bsr2csr_block_per_row_33_256_kernelILj1024ELj128ELj32E21rocsparse_complex_numIfEilEEv20rocsparse_direction_T4_S4_21rocsparse_index_base_PKT2_PKT3_PKS4_S4_S5_PS6_PS9_PS4_,@function
_ZN9rocsparseL35bsr2csr_block_per_row_33_256_kernelILj1024ELj128ELj32E21rocsparse_complex_numIfEilEEv20rocsparse_direction_T4_S4_21rocsparse_index_base_PKT2_PKT3_PKS4_S4_S5_PS6_PS9_PS4_: ; @_ZN9rocsparseL35bsr2csr_block_per_row_33_256_kernelILj1024ELj128ELj32E21rocsparse_complex_numIfEilEEv20rocsparse_direction_T4_S4_21rocsparse_index_base_PKT2_PKT3_PKS4_S4_S5_PS6_PS9_PS4_
; %bb.0:
	s_load_dwordx2 s[0:1], s[4:5], 0x28
	s_load_dword s33, s[4:5], 0x40
	s_load_dwordx2 s[2:3], s[4:5], 0x50
	s_mov_b32 s7, 0
	s_lshl_b64 s[8:9], s[6:7], 2
	s_waitcnt lgkmcnt(0)
	s_add_u32 s0, s0, s8
	s_addc_u32 s1, s1, s9
	s_load_dwordx2 s[0:1], s[0:1], 0x0
	v_or_b32_e32 v1, s6, v0
	v_cmp_eq_u32_e32 vcc, 0, v1
	s_and_saveexec_b64 s[8:9], vcc
	s_cbranch_execz .LBB193_2
; %bb.1:
	v_mov_b32_e32 v1, 0
	v_mov_b32_e32 v2, s33
	global_store_dword v1, v2, s[2:3]
.LBB193_2:
	s_or_b64 exec, exec, s[8:9]
	s_load_dword s52, s[4:5], 0x18
	s_load_dwordx2 s[16:17], s[4:5], 0x38
	v_mov_b32_e32 v17, 0
	v_lshrrev_b32_e32 v16, 5, v0
	v_lshlrev_b32_e32 v1, 2, v16
	s_waitcnt lgkmcnt(0)
	s_sub_i32 s18, s0, s52
	s_mul_i32 s7, s16, s17
	s_mul_hi_u32 s8, s16, s16
	s_sub_i32 s53, s1, s52
	s_add_i32 s8, s8, s7
	s_add_i32 s49, s8, s7
	s_sub_i32 s19, s53, s18
	s_mul_i32 s7, s6, s17
	s_mul_hi_u32 s8, s6, s16
	s_mul_i32 s20, s19, s16
	s_add_i32 s7, s8, s7
	s_mul_i32 s6, s6, s16
	s_add_i32 s15, s20, s33
	s_lshl_b64 s[6:7], s[6:7], 2
	s_mul_i32 s48, s16, s16
	s_add_u32 s2, s2, s6
	s_mul_i32 s14, s48, s18
	s_addc_u32 s3, s3, s7
	v_cmp_gt_i64_e32 vcc, s[16:17], v[16:17]
	s_and_saveexec_b64 s[6:7], vcc
	s_cbranch_execz .LBB193_4
; %bb.3:
	v_mul_lo_u32 v2, v16, s20
	s_add_i32 s8, s15, s14
	v_add_u32_e32 v2, s8, v2
	global_store_dword v1, v2, s[2:3] offset:4
.LBB193_4:
	s_or_b64 exec, exec, s[6:7]
	s_add_u32 s10, s2, 4
	v_or_b32_e32 v12, 32, v16
	v_mov_b32_e32 v13, v17
	s_addc_u32 s11, s3, 0
	v_cmp_gt_i64_e64 s[2:3], s[16:17], v[12:13]
	s_and_saveexec_b64 s[6:7], s[2:3]
	s_cbranch_execz .LBB193_6
; %bb.5:
	v_mul_lo_u32 v2, v12, s20
	s_add_i32 s8, s15, s14
	v_add_u32_e32 v2, s8, v2
	global_store_dword v1, v2, s[10:11] offset:128
.LBB193_6:
	s_or_b64 exec, exec, s[6:7]
	v_or_b32_e32 v10, 64, v16
	v_mov_b32_e32 v11, v17
	v_cmp_gt_i64_e64 s[6:7], s[16:17], v[10:11]
	s_and_saveexec_b64 s[8:9], s[6:7]
	s_cbranch_execz .LBB193_8
; %bb.7:
	v_mul_lo_u32 v2, v10, s20
	s_add_i32 s12, s15, s14
	v_add_u32_e32 v2, s12, v2
	global_store_dword v1, v2, s[10:11] offset:256
.LBB193_8:
	s_or_b64 exec, exec, s[8:9]
	v_or_b32_e32 v2, 0x60, v16
	v_mov_b32_e32 v3, v17
	v_cmp_gt_i64_e64 s[8:9], s[16:17], v[2:3]
	s_and_saveexec_b64 s[12:13], s[8:9]
	s_cbranch_execz .LBB193_10
; %bb.9:
	v_mul_lo_u32 v2, v2, s20
	s_add_i32 s15, s15, s14
	v_add_u32_e32 v2, s15, v2
	global_store_dword v1, v2, s[10:11] offset:384
.LBB193_10:
	s_or_b64 exec, exec, s[12:13]
	s_cmp_lt_i32 s0, s1
	s_cbranch_scc0 .LBB193_45
; %bb.11:
	s_load_dwordx2 s[50:51], s[4:5], 0x30
	s_load_dwordx2 s[20:21], s[4:5], 0x48
	s_load_dword s0, s[4:5], 0x0
	s_load_dwordx2 s[22:23], s[4:5], 0x20
	s_load_dwordx2 s[24:25], s[4:5], 0x58
	v_and_b32_e32 v0, 31, v0
	v_mov_b32_e32 v1, 0
	v_or_b32_e32 v4, 64, v0
	v_mov_b32_e32 v5, v1
	s_waitcnt lgkmcnt(0)
	s_cmp_eq_u32 s0, 0
	v_or_b32_e32 v2, 32, v0
	v_mov_b32_e32 v3, v1
	v_cmp_gt_i64_e64 s[12:13], s[16:17], v[4:5]
	v_or_b32_e32 v6, 0x60, v0
	v_mov_b32_e32 v7, v1
	v_or_b32_e32 v5, 0x60, v16
	s_cselect_b64 s[0:1], -1, 0
	v_mul_lo_u32 v11, v16, s19
	v_cmp_gt_i64_e64 s[4:5], s[16:17], v[0:1]
	v_cmp_gt_i64_e64 s[10:11], s[16:17], v[2:3]
	;; [unrolled: 1-line block ×3, first 2 shown]
	v_mul_lo_u32 v5, v5, s19
	v_mul_lo_u32 v7, v10, s19
	;; [unrolled: 1-line block ×3, first 2 shown]
	s_ashr_i32 s19, s18, 31
	s_and_b64 s[26:27], vcc, s[4:5]
	s_and_b64 s[28:29], vcc, s[10:11]
	;; [unrolled: 1-line block ×4, first 2 shown]
	s_and_b64 s[36:37], s[2:3], s[4:5]
	s_and_b64 s[38:39], s[2:3], s[10:11]
	;; [unrolled: 1-line block ×12, first 2 shown]
	s_lshl_b64 s[14:15], s[18:19], 3
	s_mul_i32 s56, s16, s18
	s_add_u32 s14, s50, s14
	s_mul_hi_u32 s50, s16, s18
	s_mul_i32 s19, s16, s19
	v_add_u32_e32 v5, s56, v5
	s_addc_u32 s15, s51, s15
	s_add_i32 s19, s50, s19
	s_mul_i32 s50, s17, s18
	v_mul_lo_u32 v5, s16, v5
	v_mov_b32_e32 v13, 0x60
	v_add_co_u32_e64 v8, vcc, 0, 0
	s_add_i32 s57, s19, s50
	v_addc_co_u32_e32 v5, vcc, v5, v13, vcc
	s_lshl_b64 s[50:51], s[56:57], 3
	v_lshlrev_b32_e32 v30, 3, v16
	v_mov_b32_e32 v15, s51
	v_add_co_u32_e32 v22, vcc, s50, v30
	v_addc_co_u32_e32 v23, vcc, 0, v15, vcc
	s_movk_i32 s19, 0x300
	v_add_co_u32_e32 v16, vcc, s19, v22
	v_addc_co_u32_e32 v17, vcc, 0, v23, vcc
	v_lshlrev_b32_e32 v24, 3, v0
	v_mov_b32_e32 v25, v1
	v_add_u32_e32 v7, s56, v7
	v_mov_b32_e32 v10, v1
	v_add_u32_e32 v9, s56, v9
	;; [unrolled: 2-line block ×3, first 2 shown]
	v_mov_b32_e32 v14, v1
	v_mov_b32_e32 v31, v1
	v_mul_lo_u32 v1, s16, v17
	v_mul_lo_u32 v18, s17, v16
	v_mad_u64_u32 v[16:17], s[56:57], s16, v16, v[24:25]
	s_movk_i32 s55, 0x200
	v_add3_u32 v17, v18, v17, v1
	v_add_co_u32_e32 v1, vcc, s55, v22
	v_addc_co_u32_e32 v18, vcc, 0, v23, vcc
	v_mul_lo_u32 v20, s16, v18
	v_mad_u64_u32 v[18:19], s[56:57], s16, v1, v[24:25]
	s_movk_i32 s56, 0x100
	v_mul_lo_u32 v21, s17, v1
	v_add_co_u32_e32 v1, vcc, s56, v22
	v_add3_u32 v19, v21, v19, v20
	v_addc_co_u32_e32 v20, vcc, 0, v23, vcc
	v_mul_lo_u32 v26, s16, v20
	v_mul_lo_u32 v27, s17, v1
	v_mad_u64_u32 v[20:21], s[58:59], s16, v1, v[24:25]
	v_add3_u32 v21, v27, v21, v26
	v_mul_lo_u32 v1, s16, v23
	v_mul_lo_u32 v26, s17, v22
	v_mad_u64_u32 v[22:23], s[58:59], s16, v22, v[24:25]
	v_add3_u32 v23, v26, v23, v1
	v_add_co_u32_e32 v1, vcc, s50, v24
	v_addc_co_u32_e32 v15, vcc, 0, v15, vcc
	v_add_co_u32_e32 v24, vcc, s19, v1
	v_addc_co_u32_e32 v25, vcc, 0, v15, vcc
	v_mul_lo_u32 v26, s16, v25
	v_mul_lo_u32 v27, s17, v24
	v_mad_u64_u32 v[24:25], s[50:51], s16, v24, v[30:31]
	v_add3_u32 v25, v27, v25, v26
	v_add_co_u32_e32 v26, vcc, s55, v1
	v_addc_co_u32_e32 v27, vcc, 0, v15, vcc
	v_mul_lo_u32 v28, s16, v27
	v_mul_lo_u32 v29, s17, v26
	v_mad_u64_u32 v[26:27], s[50:51], s16, v26, v[30:31]
	v_add3_u32 v27, v29, v27, v28
	;; [unrolled: 6-line block ×3, first 2 shown]
	v_mul_lo_u32 v15, s16, v15
	v_mul_lo_u32 v32, s17, v1
	v_mad_u64_u32 v[30:31], s[50:51], s16, v1, v[30:31]
	v_mov_b32_e32 v3, v0
	s_mov_b32 s54, s16
	v_mul_lo_u32 v7, s16, v7
	v_mul_lo_u32 v9, s16, v9
	v_mul_lo_u32 v11, s16, v11
	s_lshl_b64 s[48:49], s[48:49], 3
	v_add3_u32 v31, v32, v31, v15
	v_mov_b32_e32 v1, 0xffffffa0
	v_not_b32_e32 v15, 63
	v_not_b32_e32 v32, 31
	s_branch .LBB193_13
.LBB193_12:                             ;   in Loop: Header=BB193_13 Depth=1
	s_or_b64 exec, exec, s[50:51]
	v_mov_b32_e32 v33, s54
	v_add_co_u32_e32 v8, vcc, 0, v8
	v_addc_co_u32_e32 v5, vcc, v5, v33, vcc
	s_add_i32 s18, s18, 1
	v_add_co_u32_e32 v10, vcc, 0, v10
	v_addc_co_u32_e32 v7, vcc, v7, v33, vcc
	s_add_u32 s14, s14, 8
	v_add_co_u32_e32 v12, vcc, 0, v12
	s_addc_u32 s15, s15, 0
	v_addc_co_u32_e32 v9, vcc, v9, v33, vcc
	s_add_u32 s22, s22, s48
	s_addc_u32 s23, s23, s49
	v_add_co_u32_e32 v14, vcc, 0, v14
	s_cmp_ge_i32 s18, s53
	v_addc_co_u32_e32 v11, vcc, v11, v33, vcc
	s_cbranch_scc1 .LBB193_45
.LBB193_13:                             ; =>This Inner Loop Header: Depth=1
	s_load_dwordx2 s[50:51], s[14:15], 0x0
	s_waitcnt lgkmcnt(0)
	s_sub_u32 s50, s50, s52
	s_subb_u32 s51, s51, 0
	s_mul_i32 s57, s50, s17
	s_mul_hi_u32 s58, s50, s16
	s_add_i32 s57, s58, s57
	s_mul_i32 s51, s51, s16
	s_add_i32 s51, s57, s51
	s_mul_i32 s50, s50, s16
	s_add_u32 s57, s50, s33
	s_addc_u32 s58, s51, 0
	s_and_saveexec_b64 s[50:51], s[26:27]
	s_cbranch_execnz .LBB193_29
; %bb.14:                               ;   in Loop: Header=BB193_13 Depth=1
	s_or_b64 exec, exec, s[50:51]
	s_and_saveexec_b64 s[50:51], s[28:29]
	s_cbranch_execnz .LBB193_30
.LBB193_15:                             ;   in Loop: Header=BB193_13 Depth=1
	s_or_b64 exec, exec, s[50:51]
	s_and_saveexec_b64 s[50:51], s[30:31]
	s_cbranch_execnz .LBB193_31
.LBB193_16:                             ;   in Loop: Header=BB193_13 Depth=1
	s_or_b64 exec, exec, s[50:51]
	s_and_saveexec_b64 s[50:51], s[34:35]
	s_cbranch_execnz .LBB193_32
.LBB193_17:                             ;   in Loop: Header=BB193_13 Depth=1
	s_or_b64 exec, exec, s[50:51]
	s_and_saveexec_b64 s[50:51], s[36:37]
	s_cbranch_execnz .LBB193_33
.LBB193_18:                             ;   in Loop: Header=BB193_13 Depth=1
	s_or_b64 exec, exec, s[50:51]
	s_and_saveexec_b64 s[50:51], s[38:39]
	s_cbranch_execnz .LBB193_34
.LBB193_19:                             ;   in Loop: Header=BB193_13 Depth=1
	s_or_b64 exec, exec, s[50:51]
	s_and_saveexec_b64 s[50:51], s[40:41]
	s_cbranch_execnz .LBB193_35
.LBB193_20:                             ;   in Loop: Header=BB193_13 Depth=1
	s_or_b64 exec, exec, s[50:51]
	s_and_saveexec_b64 s[50:51], s[2:3]
	s_cbranch_execnz .LBB193_36
.LBB193_21:                             ;   in Loop: Header=BB193_13 Depth=1
	s_or_b64 exec, exec, s[50:51]
	s_and_saveexec_b64 s[50:51], s[42:43]
	s_cbranch_execnz .LBB193_37
.LBB193_22:                             ;   in Loop: Header=BB193_13 Depth=1
	s_or_b64 exec, exec, s[50:51]
	s_and_saveexec_b64 s[50:51], s[44:45]
	s_cbranch_execnz .LBB193_38
.LBB193_23:                             ;   in Loop: Header=BB193_13 Depth=1
	s_or_b64 exec, exec, s[50:51]
	s_and_saveexec_b64 s[50:51], s[46:47]
	s_cbranch_execnz .LBB193_39
.LBB193_24:                             ;   in Loop: Header=BB193_13 Depth=1
	s_or_b64 exec, exec, s[50:51]
	s_and_saveexec_b64 s[50:51], s[6:7]
	s_cbranch_execnz .LBB193_40
.LBB193_25:                             ;   in Loop: Header=BB193_13 Depth=1
	s_or_b64 exec, exec, s[50:51]
	s_and_saveexec_b64 s[50:51], s[4:5]
	s_cbranch_execnz .LBB193_41
.LBB193_26:                             ;   in Loop: Header=BB193_13 Depth=1
	s_or_b64 exec, exec, s[50:51]
	s_and_saveexec_b64 s[50:51], s[10:11]
	s_cbranch_execnz .LBB193_42
.LBB193_27:                             ;   in Loop: Header=BB193_13 Depth=1
	s_or_b64 exec, exec, s[50:51]
	s_and_saveexec_b64 s[50:51], s[12:13]
	s_cbranch_execnz .LBB193_43
.LBB193_28:                             ;   in Loop: Header=BB193_13 Depth=1
	s_or_b64 exec, exec, s[50:51]
	s_and_saveexec_b64 s[50:51], s[8:9]
	s_cbranch_execz .LBB193_12
	s_branch .LBB193_44
.LBB193_29:                             ;   in Loop: Header=BB193_13 Depth=1
	v_cndmask_b32_e64 v34, v30, v22, s[0:1]
	v_cndmask_b32_e64 v33, v31, v23, s[0:1]
	v_mov_b32_e32 v35, s23
	v_add_co_u32_e32 v34, vcc, s22, v34
	v_addc_co_u32_e32 v35, vcc, v35, v33, vcc
	global_load_dwordx2 v[34:35], v[34:35], off
	v_mov_b32_e32 v33, s58
	v_add_co_u32_e32 v36, vcc, s57, v0
	v_addc_co_u32_e32 v37, vcc, 0, v33, vcc
	v_add_co_u32_e32 v38, vcc, 0, v14
	v_addc_co_u32_e32 v39, vcc, v3, v11, vcc
	v_ashrrev_i64 v[38:39], 29, v[38:39]
	v_mov_b32_e32 v33, s25
	v_add_co_u32_e32 v40, vcc, s24, v38
	v_addc_co_u32_e32 v41, vcc, v33, v39, vcc
	global_store_dwordx2 v[40:41], v[36:37], off
	v_mov_b32_e32 v33, s21
	v_add_co_u32_e32 v36, vcc, s20, v38
	v_addc_co_u32_e32 v37, vcc, v33, v39, vcc
	s_waitcnt vmcnt(1)
	global_store_dwordx2 v[36:37], v[34:35], off
	s_or_b64 exec, exec, s[50:51]
	s_and_saveexec_b64 s[50:51], s[28:29]
	s_cbranch_execz .LBB193_15
.LBB193_30:                             ;   in Loop: Header=BB193_13 Depth=1
	v_mov_b32_e32 v33, s23
	v_add_co_u32_e32 v34, vcc, s22, v22
	v_addc_co_u32_e32 v35, vcc, v33, v23, vcc
	v_add_co_u32_e32 v34, vcc, s56, v34
	v_addc_co_u32_e32 v35, vcc, 0, v35, vcc
	;; [unrolled: 2-line block ×3, first 2 shown]
	v_cndmask_b32_e64 v35, v33, v35, s[0:1]
	v_cndmask_b32_e64 v34, v36, v34, s[0:1]
	global_load_dwordx2 v[34:35], v[34:35], off
	v_mov_b32_e32 v33, s58
	v_add_co_u32_e32 v36, vcc, s57, v2
	v_addc_co_u32_e32 v37, vcc, 0, v33, vcc
	v_add_co_u32_e32 v33, vcc, 0, v14
	v_addc_co_u32_e32 v39, vcc, v3, v11, vcc
	;; [unrolled: 2-line block ×3, first 2 shown]
	v_ashrrev_i64 v[38:39], 29, v[38:39]
	v_mov_b32_e32 v33, s25
	v_add_co_u32_e32 v40, vcc, s24, v38
	v_addc_co_u32_e32 v41, vcc, v33, v39, vcc
	global_store_dwordx2 v[40:41], v[36:37], off
	v_mov_b32_e32 v33, s21
	v_add_co_u32_e32 v36, vcc, s20, v38
	v_addc_co_u32_e32 v37, vcc, v33, v39, vcc
	s_waitcnt vmcnt(1)
	global_store_dwordx2 v[36:37], v[34:35], off
	s_or_b64 exec, exec, s[50:51]
	s_and_saveexec_b64 s[50:51], s[30:31]
	s_cbranch_execz .LBB193_16
.LBB193_31:                             ;   in Loop: Header=BB193_13 Depth=1
	v_mov_b32_e32 v33, s23
	v_add_co_u32_e32 v34, vcc, s22, v22
	v_addc_co_u32_e32 v35, vcc, v33, v23, vcc
	v_add_co_u32_e32 v34, vcc, s55, v34
	v_addc_co_u32_e32 v35, vcc, 0, v35, vcc
	;; [unrolled: 2-line block ×3, first 2 shown]
	v_cndmask_b32_e64 v35, v33, v35, s[0:1]
	v_cndmask_b32_e64 v34, v36, v34, s[0:1]
	global_load_dwordx2 v[34:35], v[34:35], off
	v_mov_b32_e32 v33, s58
	v_add_co_u32_e32 v36, vcc, s57, v4
	v_addc_co_u32_e32 v37, vcc, 0, v33, vcc
	v_add_co_u32_e32 v33, vcc, 0, v14
	v_addc_co_u32_e32 v39, vcc, v3, v11, vcc
	;; [unrolled: 2-line block ×3, first 2 shown]
	v_ashrrev_i64 v[38:39], 29, v[38:39]
	v_mov_b32_e32 v33, s25
	v_add_co_u32_e32 v40, vcc, s24, v38
	v_addc_co_u32_e32 v41, vcc, v33, v39, vcc
	global_store_dwordx2 v[40:41], v[36:37], off
	v_mov_b32_e32 v33, s21
	v_add_co_u32_e32 v36, vcc, s20, v38
	v_addc_co_u32_e32 v37, vcc, v33, v39, vcc
	s_waitcnt vmcnt(1)
	global_store_dwordx2 v[36:37], v[34:35], off
	s_or_b64 exec, exec, s[50:51]
	s_and_saveexec_b64 s[50:51], s[34:35]
	s_cbranch_execz .LBB193_17
.LBB193_32:                             ;   in Loop: Header=BB193_13 Depth=1
	v_mov_b32_e32 v33, s23
	v_add_co_u32_e32 v34, vcc, s22, v22
	v_addc_co_u32_e32 v35, vcc, v33, v23, vcc
	v_add_co_u32_e32 v34, vcc, s19, v34
	v_addc_co_u32_e32 v35, vcc, 0, v35, vcc
	;; [unrolled: 2-line block ×3, first 2 shown]
	v_cndmask_b32_e64 v35, v33, v35, s[0:1]
	v_cndmask_b32_e64 v34, v36, v34, s[0:1]
	global_load_dwordx2 v[34:35], v[34:35], off
	v_mov_b32_e32 v33, s58
	v_add_co_u32_e32 v36, vcc, s57, v6
	v_addc_co_u32_e32 v37, vcc, 0, v33, vcc
	v_add_co_u32_e32 v33, vcc, 0, v14
	v_addc_co_u32_e32 v39, vcc, v3, v11, vcc
	v_add_co_u32_e32 v38, vcc, 0, v33
	v_addc_co_u32_e32 v39, vcc, v39, v13, vcc
	v_ashrrev_i64 v[38:39], 29, v[38:39]
	v_mov_b32_e32 v33, s25
	v_add_co_u32_e32 v40, vcc, s24, v38
	v_addc_co_u32_e32 v41, vcc, v33, v39, vcc
	global_store_dwordx2 v[40:41], v[36:37], off
	v_mov_b32_e32 v33, s21
	v_add_co_u32_e32 v36, vcc, s20, v38
	v_addc_co_u32_e32 v37, vcc, v33, v39, vcc
	s_waitcnt vmcnt(1)
	global_store_dwordx2 v[36:37], v[34:35], off
	s_or_b64 exec, exec, s[50:51]
	s_and_saveexec_b64 s[50:51], s[36:37]
	s_cbranch_execz .LBB193_18
.LBB193_33:                             ;   in Loop: Header=BB193_13 Depth=1
	v_mov_b32_e32 v33, s23
	v_add_co_u32_e32 v34, vcc, s22, v20
	v_addc_co_u32_e32 v35, vcc, v33, v21, vcc
	v_add_co_u32_e32 v36, vcc, s22, v30
	v_addc_co_u32_e32 v33, vcc, v33, v31, vcc
	;; [unrolled: 2-line block ×3, first 2 shown]
	v_cndmask_b32_e64 v35, v33, v35, s[0:1]
	v_cndmask_b32_e64 v34, v36, v34, s[0:1]
	global_load_dwordx2 v[34:35], v[34:35], off
	v_mov_b32_e32 v33, s58
	v_add_co_u32_e32 v36, vcc, s57, v0
	v_addc_co_u32_e32 v37, vcc, 0, v33, vcc
	v_add_co_u32_e32 v38, vcc, 0, v12
	v_addc_co_u32_e32 v39, vcc, v3, v9, vcc
	v_ashrrev_i64 v[38:39], 29, v[38:39]
	v_mov_b32_e32 v33, s25
	v_add_co_u32_e32 v40, vcc, s24, v38
	v_addc_co_u32_e32 v41, vcc, v33, v39, vcc
	global_store_dwordx2 v[40:41], v[36:37], off
	v_mov_b32_e32 v33, s21
	v_add_co_u32_e32 v36, vcc, s20, v38
	v_addc_co_u32_e32 v37, vcc, v33, v39, vcc
	s_waitcnt vmcnt(1)
	global_store_dwordx2 v[36:37], v[34:35], off
	s_or_b64 exec, exec, s[50:51]
	s_and_saveexec_b64 s[50:51], s[38:39]
	s_cbranch_execz .LBB193_19
.LBB193_34:                             ;   in Loop: Header=BB193_13 Depth=1
	v_cndmask_b32_e64 v34, v28, v20, s[0:1]
	v_cndmask_b32_e64 v33, v29, v21, s[0:1]
	v_mov_b32_e32 v35, s23
	v_add_co_u32_e32 v34, vcc, s22, v34
	v_addc_co_u32_e32 v35, vcc, v35, v33, vcc
	global_load_dwordx2 v[34:35], v[34:35], off offset:256
	v_mov_b32_e32 v33, s58
	v_add_co_u32_e32 v36, vcc, s57, v2
	v_addc_co_u32_e32 v37, vcc, 0, v33, vcc
	v_add_co_u32_e32 v33, vcc, 0, v12
	v_addc_co_u32_e32 v39, vcc, v3, v9, vcc
	;; [unrolled: 2-line block ×3, first 2 shown]
	v_ashrrev_i64 v[38:39], 29, v[38:39]
	v_mov_b32_e32 v33, s25
	v_add_co_u32_e32 v40, vcc, s24, v38
	v_addc_co_u32_e32 v41, vcc, v33, v39, vcc
	global_store_dwordx2 v[40:41], v[36:37], off
	v_mov_b32_e32 v33, s21
	v_add_co_u32_e32 v36, vcc, s20, v38
	v_addc_co_u32_e32 v37, vcc, v33, v39, vcc
	s_waitcnt vmcnt(1)
	global_store_dwordx2 v[36:37], v[34:35], off
	s_or_b64 exec, exec, s[50:51]
	s_and_saveexec_b64 s[50:51], s[40:41]
	s_cbranch_execz .LBB193_20
.LBB193_35:                             ;   in Loop: Header=BB193_13 Depth=1
	v_mov_b32_e32 v33, s23
	v_add_co_u32_e32 v34, vcc, s22, v20
	v_addc_co_u32_e32 v35, vcc, v33, v21, vcc
	v_add_co_u32_e32 v34, vcc, s55, v34
	v_addc_co_u32_e32 v35, vcc, 0, v35, vcc
	;; [unrolled: 2-line block ×4, first 2 shown]
	v_cndmask_b32_e64 v35, v33, v35, s[0:1]
	v_cndmask_b32_e64 v34, v36, v34, s[0:1]
	global_load_dwordx2 v[34:35], v[34:35], off
	v_mov_b32_e32 v33, s58
	v_add_co_u32_e32 v36, vcc, s57, v4
	v_addc_co_u32_e32 v37, vcc, 0, v33, vcc
	v_add_co_u32_e32 v33, vcc, 0, v12
	v_addc_co_u32_e32 v39, vcc, v3, v9, vcc
	;; [unrolled: 2-line block ×3, first 2 shown]
	v_ashrrev_i64 v[38:39], 29, v[38:39]
	v_mov_b32_e32 v33, s25
	v_add_co_u32_e32 v40, vcc, s24, v38
	v_addc_co_u32_e32 v41, vcc, v33, v39, vcc
	global_store_dwordx2 v[40:41], v[36:37], off
	v_mov_b32_e32 v33, s21
	v_add_co_u32_e32 v36, vcc, s20, v38
	v_addc_co_u32_e32 v37, vcc, v33, v39, vcc
	s_waitcnt vmcnt(1)
	global_store_dwordx2 v[36:37], v[34:35], off
	s_or_b64 exec, exec, s[50:51]
	s_and_saveexec_b64 s[50:51], s[2:3]
	s_cbranch_execz .LBB193_21
.LBB193_36:                             ;   in Loop: Header=BB193_13 Depth=1
	v_mov_b32_e32 v33, s23
	v_add_co_u32_e32 v34, vcc, s22, v20
	v_addc_co_u32_e32 v35, vcc, v33, v21, vcc
	v_add_co_u32_e32 v34, vcc, s19, v34
	v_addc_co_u32_e32 v35, vcc, 0, v35, vcc
	;; [unrolled: 2-line block ×4, first 2 shown]
	v_cndmask_b32_e64 v35, v33, v35, s[0:1]
	v_cndmask_b32_e64 v34, v36, v34, s[0:1]
	global_load_dwordx2 v[34:35], v[34:35], off
	v_mov_b32_e32 v33, s58
	v_add_co_u32_e32 v36, vcc, s57, v6
	v_addc_co_u32_e32 v37, vcc, 0, v33, vcc
	v_add_co_u32_e32 v33, vcc, 0, v12
	v_addc_co_u32_e32 v39, vcc, v3, v9, vcc
	;; [unrolled: 2-line block ×3, first 2 shown]
	v_ashrrev_i64 v[38:39], 29, v[38:39]
	v_mov_b32_e32 v33, s25
	v_add_co_u32_e32 v40, vcc, s24, v38
	v_addc_co_u32_e32 v41, vcc, v33, v39, vcc
	global_store_dwordx2 v[40:41], v[36:37], off
	v_mov_b32_e32 v33, s21
	v_add_co_u32_e32 v36, vcc, s20, v38
	v_addc_co_u32_e32 v37, vcc, v33, v39, vcc
	s_waitcnt vmcnt(1)
	global_store_dwordx2 v[36:37], v[34:35], off
	s_or_b64 exec, exec, s[50:51]
	s_and_saveexec_b64 s[50:51], s[42:43]
	s_cbranch_execz .LBB193_22
.LBB193_37:                             ;   in Loop: Header=BB193_13 Depth=1
	v_mov_b32_e32 v33, s23
	v_add_co_u32_e32 v34, vcc, s22, v18
	v_addc_co_u32_e32 v35, vcc, v33, v19, vcc
	v_add_co_u32_e32 v36, vcc, s22, v30
	v_addc_co_u32_e32 v33, vcc, v33, v31, vcc
	v_add_co_u32_e32 v36, vcc, 0x200, v36
	v_addc_co_u32_e32 v33, vcc, 0, v33, vcc
	v_cndmask_b32_e64 v35, v33, v35, s[0:1]
	v_cndmask_b32_e64 v34, v36, v34, s[0:1]
	global_load_dwordx2 v[34:35], v[34:35], off
	v_mov_b32_e32 v33, s58
	v_add_co_u32_e32 v36, vcc, s57, v0
	v_addc_co_u32_e32 v37, vcc, 0, v33, vcc
	v_add_co_u32_e32 v38, vcc, 0, v10
	v_addc_co_u32_e32 v39, vcc, v3, v7, vcc
	v_ashrrev_i64 v[38:39], 29, v[38:39]
	v_mov_b32_e32 v33, s25
	v_add_co_u32_e32 v40, vcc, s24, v38
	v_addc_co_u32_e32 v41, vcc, v33, v39, vcc
	global_store_dwordx2 v[40:41], v[36:37], off
	v_mov_b32_e32 v33, s21
	v_add_co_u32_e32 v36, vcc, s20, v38
	v_addc_co_u32_e32 v37, vcc, v33, v39, vcc
	s_waitcnt vmcnt(1)
	global_store_dwordx2 v[36:37], v[34:35], off
	s_or_b64 exec, exec, s[50:51]
	s_and_saveexec_b64 s[50:51], s[44:45]
	s_cbranch_execz .LBB193_23
.LBB193_38:                             ;   in Loop: Header=BB193_13 Depth=1
	v_mov_b32_e32 v33, s23
	v_add_co_u32_e32 v34, vcc, s22, v18
	v_addc_co_u32_e32 v35, vcc, v33, v19, vcc
	v_add_co_u32_e32 v34, vcc, s56, v34
	v_addc_co_u32_e32 v35, vcc, 0, v35, vcc
	;; [unrolled: 2-line block ×4, first 2 shown]
	v_cndmask_b32_e64 v35, v33, v35, s[0:1]
	v_cndmask_b32_e64 v34, v36, v34, s[0:1]
	global_load_dwordx2 v[34:35], v[34:35], off
	v_mov_b32_e32 v33, s58
	v_add_co_u32_e32 v36, vcc, s57, v2
	v_addc_co_u32_e32 v37, vcc, 0, v33, vcc
	v_add_co_u32_e32 v33, vcc, 0, v10
	v_addc_co_u32_e32 v39, vcc, v3, v7, vcc
	;; [unrolled: 2-line block ×3, first 2 shown]
	v_ashrrev_i64 v[38:39], 29, v[38:39]
	v_mov_b32_e32 v33, s25
	v_add_co_u32_e32 v40, vcc, s24, v38
	v_addc_co_u32_e32 v41, vcc, v33, v39, vcc
	global_store_dwordx2 v[40:41], v[36:37], off
	v_mov_b32_e32 v33, s21
	v_add_co_u32_e32 v36, vcc, s20, v38
	v_addc_co_u32_e32 v37, vcc, v33, v39, vcc
	s_waitcnt vmcnt(1)
	global_store_dwordx2 v[36:37], v[34:35], off
	s_or_b64 exec, exec, s[50:51]
	s_and_saveexec_b64 s[50:51], s[46:47]
	s_cbranch_execz .LBB193_24
.LBB193_39:                             ;   in Loop: Header=BB193_13 Depth=1
	v_cndmask_b32_e64 v34, v26, v18, s[0:1]
	v_cndmask_b32_e64 v33, v27, v19, s[0:1]
	v_mov_b32_e32 v35, s23
	v_add_co_u32_e32 v34, vcc, s22, v34
	v_addc_co_u32_e32 v35, vcc, v35, v33, vcc
	global_load_dwordx2 v[34:35], v[34:35], off offset:512
	v_mov_b32_e32 v33, s58
	v_add_co_u32_e32 v36, vcc, s57, v4
	v_addc_co_u32_e32 v37, vcc, 0, v33, vcc
	v_add_co_u32_e32 v33, vcc, 0, v10
	v_addc_co_u32_e32 v39, vcc, v3, v7, vcc
	;; [unrolled: 2-line block ×3, first 2 shown]
	v_ashrrev_i64 v[38:39], 29, v[38:39]
	v_mov_b32_e32 v33, s25
	v_add_co_u32_e32 v40, vcc, s24, v38
	v_addc_co_u32_e32 v41, vcc, v33, v39, vcc
	global_store_dwordx2 v[40:41], v[36:37], off
	v_mov_b32_e32 v33, s21
	v_add_co_u32_e32 v36, vcc, s20, v38
	v_addc_co_u32_e32 v37, vcc, v33, v39, vcc
	s_waitcnt vmcnt(1)
	global_store_dwordx2 v[36:37], v[34:35], off
	s_or_b64 exec, exec, s[50:51]
	s_and_saveexec_b64 s[50:51], s[6:7]
	s_cbranch_execz .LBB193_25
.LBB193_40:                             ;   in Loop: Header=BB193_13 Depth=1
	v_mov_b32_e32 v33, s23
	v_add_co_u32_e32 v34, vcc, s22, v18
	v_addc_co_u32_e32 v35, vcc, v33, v19, vcc
	v_add_co_u32_e32 v34, vcc, s19, v34
	v_addc_co_u32_e32 v35, vcc, 0, v35, vcc
	;; [unrolled: 2-line block ×4, first 2 shown]
	v_cndmask_b32_e64 v35, v33, v35, s[0:1]
	v_cndmask_b32_e64 v34, v36, v34, s[0:1]
	global_load_dwordx2 v[34:35], v[34:35], off
	v_mov_b32_e32 v33, s58
	v_add_co_u32_e32 v36, vcc, s57, v6
	v_addc_co_u32_e32 v37, vcc, 0, v33, vcc
	v_add_co_u32_e32 v33, vcc, 0, v10
	v_addc_co_u32_e32 v39, vcc, v3, v7, vcc
	;; [unrolled: 2-line block ×3, first 2 shown]
	v_ashrrev_i64 v[38:39], 29, v[38:39]
	v_mov_b32_e32 v33, s25
	v_add_co_u32_e32 v40, vcc, s24, v38
	v_addc_co_u32_e32 v41, vcc, v33, v39, vcc
	global_store_dwordx2 v[40:41], v[36:37], off
	v_mov_b32_e32 v33, s21
	v_add_co_u32_e32 v36, vcc, s20, v38
	v_addc_co_u32_e32 v37, vcc, v33, v39, vcc
	s_waitcnt vmcnt(1)
	global_store_dwordx2 v[36:37], v[34:35], off
	s_or_b64 exec, exec, s[50:51]
	s_and_saveexec_b64 s[50:51], s[4:5]
	s_cbranch_execz .LBB193_26
.LBB193_41:                             ;   in Loop: Header=BB193_13 Depth=1
	v_mov_b32_e32 v33, s23
	v_add_co_u32_e32 v34, vcc, s22, v16
	v_addc_co_u32_e32 v35, vcc, v33, v17, vcc
	v_add_co_u32_e32 v36, vcc, s22, v30
	v_addc_co_u32_e32 v33, vcc, v33, v31, vcc
	;; [unrolled: 2-line block ×3, first 2 shown]
	v_cndmask_b32_e64 v35, v33, v35, s[0:1]
	v_cndmask_b32_e64 v34, v36, v34, s[0:1]
	global_load_dwordx2 v[34:35], v[34:35], off
	v_mov_b32_e32 v33, s58
	v_add_co_u32_e32 v36, vcc, s57, v0
	v_addc_co_u32_e32 v37, vcc, 0, v33, vcc
	v_add_co_u32_e32 v33, vcc, 0, v8
	v_addc_co_u32_e32 v39, vcc, v3, v5, vcc
	;; [unrolled: 2-line block ×3, first 2 shown]
	v_ashrrev_i64 v[38:39], 29, v[38:39]
	v_mov_b32_e32 v33, s25
	v_add_co_u32_e32 v40, vcc, s24, v38
	v_addc_co_u32_e32 v41, vcc, v33, v39, vcc
	global_store_dwordx2 v[40:41], v[36:37], off
	v_mov_b32_e32 v33, s21
	v_add_co_u32_e32 v36, vcc, s20, v38
	v_addc_co_u32_e32 v37, vcc, v33, v39, vcc
	s_waitcnt vmcnt(1)
	global_store_dwordx2 v[36:37], v[34:35], off
	s_or_b64 exec, exec, s[50:51]
	s_and_saveexec_b64 s[50:51], s[10:11]
	s_cbranch_execz .LBB193_27
.LBB193_42:                             ;   in Loop: Header=BB193_13 Depth=1
	v_mov_b32_e32 v33, s23
	v_add_co_u32_e32 v34, vcc, s22, v16
	v_addc_co_u32_e32 v35, vcc, v33, v17, vcc
	v_add_co_u32_e32 v34, vcc, s56, v34
	v_addc_co_u32_e32 v35, vcc, 0, v35, vcc
	;; [unrolled: 2-line block ×4, first 2 shown]
	v_cndmask_b32_e64 v35, v33, v35, s[0:1]
	v_cndmask_b32_e64 v34, v36, v34, s[0:1]
	global_load_dwordx2 v[34:35], v[34:35], off
	v_mov_b32_e32 v33, s58
	v_add_co_u32_e32 v36, vcc, s57, v2
	v_addc_co_u32_e32 v37, vcc, 0, v33, vcc
	v_add_co_u32_e32 v33, vcc, 0, v8
	v_addc_co_u32_e32 v39, vcc, v3, v5, vcc
	;; [unrolled: 2-line block ×3, first 2 shown]
	v_ashrrev_i64 v[38:39], 29, v[38:39]
	v_mov_b32_e32 v33, s25
	v_add_co_u32_e32 v40, vcc, s24, v38
	v_addc_co_u32_e32 v41, vcc, v33, v39, vcc
	global_store_dwordx2 v[40:41], v[36:37], off
	v_mov_b32_e32 v33, s21
	v_add_co_u32_e32 v36, vcc, s20, v38
	v_addc_co_u32_e32 v37, vcc, v33, v39, vcc
	s_waitcnt vmcnt(1)
	global_store_dwordx2 v[36:37], v[34:35], off
	s_or_b64 exec, exec, s[50:51]
	s_and_saveexec_b64 s[50:51], s[12:13]
	s_cbranch_execz .LBB193_28
.LBB193_43:                             ;   in Loop: Header=BB193_13 Depth=1
	v_mov_b32_e32 v33, s23
	v_add_co_u32_e32 v34, vcc, s22, v16
	v_addc_co_u32_e32 v35, vcc, v33, v17, vcc
	v_add_co_u32_e32 v34, vcc, s55, v34
	v_addc_co_u32_e32 v35, vcc, 0, v35, vcc
	;; [unrolled: 2-line block ×4, first 2 shown]
	v_cndmask_b32_e64 v35, v33, v35, s[0:1]
	v_cndmask_b32_e64 v34, v36, v34, s[0:1]
	global_load_dwordx2 v[34:35], v[34:35], off
	v_mov_b32_e32 v33, s58
	v_add_co_u32_e32 v36, vcc, s57, v4
	v_addc_co_u32_e32 v37, vcc, 0, v33, vcc
	v_add_co_u32_e32 v33, vcc, 0, v8
	v_addc_co_u32_e32 v39, vcc, v3, v5, vcc
	v_add_co_u32_e32 v38, vcc, 0, v33
	v_addc_co_u32_e32 v39, vcc, v39, v32, vcc
	v_ashrrev_i64 v[38:39], 29, v[38:39]
	v_mov_b32_e32 v33, s25
	v_add_co_u32_e32 v40, vcc, s24, v38
	v_addc_co_u32_e32 v41, vcc, v33, v39, vcc
	global_store_dwordx2 v[40:41], v[36:37], off
	v_mov_b32_e32 v33, s21
	v_add_co_u32_e32 v36, vcc, s20, v38
	v_addc_co_u32_e32 v37, vcc, v33, v39, vcc
	s_waitcnt vmcnt(1)
	global_store_dwordx2 v[36:37], v[34:35], off
	s_or_b64 exec, exec, s[50:51]
	s_and_saveexec_b64 s[50:51], s[8:9]
	s_cbranch_execz .LBB193_12
.LBB193_44:                             ;   in Loop: Header=BB193_13 Depth=1
	v_cndmask_b32_e64 v34, v24, v16, s[0:1]
	v_cndmask_b32_e64 v33, v25, v17, s[0:1]
	v_mov_b32_e32 v35, s23
	v_add_co_u32_e32 v34, vcc, s22, v34
	v_addc_co_u32_e32 v35, vcc, v35, v33, vcc
	global_load_dwordx2 v[34:35], v[34:35], off offset:768
	v_mov_b32_e32 v33, s58
	v_add_co_u32_e32 v36, vcc, s57, v6
	v_addc_co_u32_e32 v37, vcc, 0, v33, vcc
	v_add_co_u32_e32 v38, vcc, 0, v8
	v_addc_co_u32_e32 v39, vcc, v3, v5, vcc
	v_ashrrev_i64 v[38:39], 29, v[38:39]
	v_mov_b32_e32 v33, s25
	v_add_co_u32_e32 v40, vcc, s24, v38
	v_addc_co_u32_e32 v41, vcc, v33, v39, vcc
	global_store_dwordx2 v[40:41], v[36:37], off
	v_mov_b32_e32 v33, s21
	v_add_co_u32_e32 v36, vcc, s20, v38
	v_addc_co_u32_e32 v37, vcc, v33, v39, vcc
	s_waitcnt vmcnt(1)
	global_store_dwordx2 v[36:37], v[34:35], off
	s_branch .LBB193_12
.LBB193_45:
	s_endpgm
	.section	.rodata,"a",@progbits
	.p2align	6, 0x0
	.amdhsa_kernel _ZN9rocsparseL35bsr2csr_block_per_row_33_256_kernelILj1024ELj128ELj32E21rocsparse_complex_numIfEilEEv20rocsparse_direction_T4_S4_21rocsparse_index_base_PKT2_PKT3_PKS4_S4_S5_PS6_PS9_PS4_
		.amdhsa_group_segment_fixed_size 0
		.amdhsa_private_segment_fixed_size 0
		.amdhsa_kernarg_size 96
		.amdhsa_user_sgpr_count 6
		.amdhsa_user_sgpr_private_segment_buffer 1
		.amdhsa_user_sgpr_dispatch_ptr 0
		.amdhsa_user_sgpr_queue_ptr 0
		.amdhsa_user_sgpr_kernarg_segment_ptr 1
		.amdhsa_user_sgpr_dispatch_id 0
		.amdhsa_user_sgpr_flat_scratch_init 0
		.amdhsa_user_sgpr_kernarg_preload_length 0
		.amdhsa_user_sgpr_kernarg_preload_offset 0
		.amdhsa_user_sgpr_private_segment_size 0
		.amdhsa_uses_dynamic_stack 0
		.amdhsa_system_sgpr_private_segment_wavefront_offset 0
		.amdhsa_system_sgpr_workgroup_id_x 1
		.amdhsa_system_sgpr_workgroup_id_y 0
		.amdhsa_system_sgpr_workgroup_id_z 0
		.amdhsa_system_sgpr_workgroup_info 0
		.amdhsa_system_vgpr_workitem_id 0
		.amdhsa_next_free_vgpr 42
		.amdhsa_next_free_sgpr 60
		.amdhsa_accum_offset 44
		.amdhsa_reserve_vcc 1
		.amdhsa_reserve_flat_scratch 0
		.amdhsa_float_round_mode_32 0
		.amdhsa_float_round_mode_16_64 0
		.amdhsa_float_denorm_mode_32 3
		.amdhsa_float_denorm_mode_16_64 3
		.amdhsa_dx10_clamp 1
		.amdhsa_ieee_mode 1
		.amdhsa_fp16_overflow 0
		.amdhsa_tg_split 0
		.amdhsa_exception_fp_ieee_invalid_op 0
		.amdhsa_exception_fp_denorm_src 0
		.amdhsa_exception_fp_ieee_div_zero 0
		.amdhsa_exception_fp_ieee_overflow 0
		.amdhsa_exception_fp_ieee_underflow 0
		.amdhsa_exception_fp_ieee_inexact 0
		.amdhsa_exception_int_div_zero 0
	.end_amdhsa_kernel
	.section	.text._ZN9rocsparseL35bsr2csr_block_per_row_33_256_kernelILj1024ELj128ELj32E21rocsparse_complex_numIfEilEEv20rocsparse_direction_T4_S4_21rocsparse_index_base_PKT2_PKT3_PKS4_S4_S5_PS6_PS9_PS4_,"axG",@progbits,_ZN9rocsparseL35bsr2csr_block_per_row_33_256_kernelILj1024ELj128ELj32E21rocsparse_complex_numIfEilEEv20rocsparse_direction_T4_S4_21rocsparse_index_base_PKT2_PKT3_PKS4_S4_S5_PS6_PS9_PS4_,comdat
.Lfunc_end193:
	.size	_ZN9rocsparseL35bsr2csr_block_per_row_33_256_kernelILj1024ELj128ELj32E21rocsparse_complex_numIfEilEEv20rocsparse_direction_T4_S4_21rocsparse_index_base_PKT2_PKT3_PKS4_S4_S5_PS6_PS9_PS4_, .Lfunc_end193-_ZN9rocsparseL35bsr2csr_block_per_row_33_256_kernelILj1024ELj128ELj32E21rocsparse_complex_numIfEilEEv20rocsparse_direction_T4_S4_21rocsparse_index_base_PKT2_PKT3_PKS4_S4_S5_PS6_PS9_PS4_
                                        ; -- End function
	.section	.AMDGPU.csdata,"",@progbits
; Kernel info:
; codeLenInByte = 3740
; NumSgprs: 64
; NumVgprs: 42
; NumAgprs: 0
; TotalNumVgprs: 42
; ScratchSize: 0
; MemoryBound: 0
; FloatMode: 240
; IeeeMode: 1
; LDSByteSize: 0 bytes/workgroup (compile time only)
; SGPRBlocks: 7
; VGPRBlocks: 5
; NumSGPRsForWavesPerEU: 64
; NumVGPRsForWavesPerEU: 42
; AccumOffset: 44
; Occupancy: 8
; WaveLimiterHint : 1
; COMPUTE_PGM_RSRC2:SCRATCH_EN: 0
; COMPUTE_PGM_RSRC2:USER_SGPR: 6
; COMPUTE_PGM_RSRC2:TRAP_HANDLER: 0
; COMPUTE_PGM_RSRC2:TGID_X_EN: 1
; COMPUTE_PGM_RSRC2:TGID_Y_EN: 0
; COMPUTE_PGM_RSRC2:TGID_Z_EN: 0
; COMPUTE_PGM_RSRC2:TIDIG_COMP_CNT: 0
; COMPUTE_PGM_RSRC3_GFX90A:ACCUM_OFFSET: 10
; COMPUTE_PGM_RSRC3_GFX90A:TG_SPLIT: 0
	.section	.text._ZN9rocsparseL35bsr2csr_block_per_row_33_256_kernelILj1024ELj256ELj32E21rocsparse_complex_numIfEilEEv20rocsparse_direction_T4_S4_21rocsparse_index_base_PKT2_PKT3_PKS4_S4_S5_PS6_PS9_PS4_,"axG",@progbits,_ZN9rocsparseL35bsr2csr_block_per_row_33_256_kernelILj1024ELj256ELj32E21rocsparse_complex_numIfEilEEv20rocsparse_direction_T4_S4_21rocsparse_index_base_PKT2_PKT3_PKS4_S4_S5_PS6_PS9_PS4_,comdat
	.globl	_ZN9rocsparseL35bsr2csr_block_per_row_33_256_kernelILj1024ELj256ELj32E21rocsparse_complex_numIfEilEEv20rocsparse_direction_T4_S4_21rocsparse_index_base_PKT2_PKT3_PKS4_S4_S5_PS6_PS9_PS4_ ; -- Begin function _ZN9rocsparseL35bsr2csr_block_per_row_33_256_kernelILj1024ELj256ELj32E21rocsparse_complex_numIfEilEEv20rocsparse_direction_T4_S4_21rocsparse_index_base_PKT2_PKT3_PKS4_S4_S5_PS6_PS9_PS4_
	.p2align	8
	.type	_ZN9rocsparseL35bsr2csr_block_per_row_33_256_kernelILj1024ELj256ELj32E21rocsparse_complex_numIfEilEEv20rocsparse_direction_T4_S4_21rocsparse_index_base_PKT2_PKT3_PKS4_S4_S5_PS6_PS9_PS4_,@function
_ZN9rocsparseL35bsr2csr_block_per_row_33_256_kernelILj1024ELj256ELj32E21rocsparse_complex_numIfEilEEv20rocsparse_direction_T4_S4_21rocsparse_index_base_PKT2_PKT3_PKS4_S4_S5_PS6_PS9_PS4_: ; @_ZN9rocsparseL35bsr2csr_block_per_row_33_256_kernelILj1024ELj256ELj32E21rocsparse_complex_numIfEilEEv20rocsparse_direction_T4_S4_21rocsparse_index_base_PKT2_PKT3_PKS4_S4_S5_PS6_PS9_PS4_
; %bb.0:
	s_load_dwordx2 s[0:1], s[4:5], 0x28
	s_load_dword s12, s[4:5], 0x40
	s_load_dwordx2 s[2:3], s[4:5], 0x50
	s_mov_b32 s7, 0
	s_lshl_b64 s[8:9], s[6:7], 2
	s_waitcnt lgkmcnt(0)
	s_add_u32 s0, s0, s8
	s_addc_u32 s1, s1, s9
	s_load_dwordx2 s[0:1], s[0:1], 0x0
	v_or_b32_e32 v1, s6, v0
	v_cmp_eq_u32_e32 vcc, 0, v1
	s_and_saveexec_b64 s[8:9], vcc
	s_cbranch_execz .LBB194_2
; %bb.1:
	v_mov_b32_e32 v1, 0
	v_mov_b32_e32 v2, s12
	global_store_dword v1, v2, s[2:3]
.LBB194_2:
	s_or_b64 exec, exec, s[8:9]
	s_load_dword s7, s[4:5], 0x18
	s_load_dwordx2 s[36:37], s[4:5], 0x38
                                        ; implicit-def: $vgpr86 : SGPR spill to VGPR lane
	v_mov_b32_e32 v17, 0
	v_lshrrev_b32_e32 v16, 5, v0
	v_lshlrev_b32_e32 v1, 2, v16
	s_waitcnt lgkmcnt(0)
	s_sub_i32 s38, s0, s7
	v_writelane_b32 v86, s7, 0
	s_sub_i32 s9, s1, s7
	s_mul_i32 s7, s36, s37
	s_mul_hi_u32 s8, s36, s36
	s_add_i32 s8, s8, s7
	s_add_i32 s89, s8, s7
	s_sub_i32 s33, s9, s38
	s_mul_i32 s7, s6, s37
	s_mul_hi_u32 s8, s6, s36
	s_mul_i32 s24, s33, s36
	s_add_i32 s7, s8, s7
	s_mul_i32 s6, s6, s36
	s_add_i32 s23, s24, s12
	s_lshl_b64 s[6:7], s[6:7], 2
	s_mul_i32 s88, s36, s36
	s_add_u32 s2, s2, s6
	s_mul_i32 s22, s88, s38
	v_writelane_b32 v86, s9, 1
	s_addc_u32 s3, s3, s7
	v_cmp_gt_i64_e32 vcc, s[36:37], v[16:17]
	v_writelane_b32 v86, s12, 2
	s_and_saveexec_b64 s[6:7], vcc
	s_cbranch_execz .LBB194_4
; %bb.3:
	v_mul_lo_u32 v2, v16, s24
	s_add_i32 s8, s23, s22
	v_add_u32_e32 v2, s8, v2
	global_store_dword v1, v2, s[2:3] offset:4
.LBB194_4:
	s_or_b64 exec, exec, s[6:7]
	s_add_u32 s18, s2, 4
	v_or_b32_e32 v18, 32, v16
	v_mov_b32_e32 v19, v17
	s_addc_u32 s19, s3, 0
	v_cmp_gt_i64_e64 s[2:3], s[36:37], v[18:19]
	s_and_saveexec_b64 s[6:7], s[2:3]
	s_cbranch_execz .LBB194_6
; %bb.5:
	v_mul_lo_u32 v2, v18, s24
	s_add_i32 s8, s23, s22
	v_add_u32_e32 v2, s8, v2
	global_store_dword v1, v2, s[18:19] offset:128
.LBB194_6:
	s_or_b64 exec, exec, s[6:7]
	v_or_b32_e32 v20, 64, v16
	v_mov_b32_e32 v21, v17
	v_cmp_gt_i64_e64 s[6:7], s[36:37], v[20:21]
	s_and_saveexec_b64 s[8:9], s[6:7]
	s_cbranch_execz .LBB194_8
; %bb.7:
	v_mul_lo_u32 v2, v20, s24
	s_add_i32 s10, s23, s22
	v_add_u32_e32 v2, s10, v2
	global_store_dword v1, v2, s[18:19] offset:256
.LBB194_8:
	s_or_b64 exec, exec, s[8:9]
	v_or_b32_e32 v2, 0x60, v16
	v_mov_b32_e32 v3, v17
	;; [unrolled: 12-line block ×6, first 2 shown]
	v_cmp_gt_i64_e64 s[16:17], s[36:37], v[2:3]
	s_and_saveexec_b64 s[20:21], s[16:17]
	s_cbranch_execz .LBB194_18
; %bb.17:
	v_mul_lo_u32 v2, v2, s24
	s_add_i32 s23, s23, s22
	v_add_u32_e32 v2, s23, v2
	global_store_dword v1, v2, s[18:19] offset:896
.LBB194_18:
	s_or_b64 exec, exec, s[20:21]
	s_cmp_lt_i32 s0, s1
	s_cbranch_scc0 .LBB194_149
; %bb.19:
	s_load_dword s0, s[4:5], 0x0
	v_and_b32_e32 v0, 31, v0
	v_mov_b32_e32 v1, 0
	v_cmp_gt_i64_e64 s[18:19], s[36:37], v[0:1]
	v_or_b32_e32 v2, 32, v0
	s_waitcnt lgkmcnt(0)
	s_cmp_eq_u32 s0, 0
	s_cselect_b64 s[0:1], -1, 0
	v_mov_b32_e32 v3, v1
	s_and_b64 s[44:45], vcc, s[18:19]
	v_cmp_gt_i64_e64 s[20:21], s[36:37], v[2:3]
	v_writelane_b32 v86, s44, 3
	v_or_b32_e32 v4, 64, v0
	v_mov_b32_e32 v5, v1
	v_writelane_b32 v86, s45, 4
	s_and_b64 s[44:45], vcc, s[20:21]
	v_cmp_gt_i64_e64 s[22:23], s[36:37], v[4:5]
	v_writelane_b32 v86, s44, 5
	v_or_b32_e32 v6, 0x60, v0
	v_mov_b32_e32 v7, v1
	v_writelane_b32 v86, s45, 6
	;; [unrolled: 6-line block ×6, first 2 shown]
	s_and_b64 s[44:45], vcc, s[30:31]
	v_cmp_gt_i64_e64 s[34:35], s[36:37], v[14:15]
	v_writelane_b32 v86, s44, 15
	v_writelane_b32 v86, s45, 16
	s_and_b64 s[44:45], vcc, s[34:35]
	v_writelane_b32 v86, s44, 17
	v_writelane_b32 v86, s45, 18
	s_and_b64 s[44:45], s[2:3], s[18:19]
	v_writelane_b32 v86, s44, 19
	v_writelane_b32 v86, s45, 20
	s_and_b64 s[44:45], s[2:3], s[20:21]
	v_writelane_b32 v86, s44, 21
	v_writelane_b32 v86, s45, 22
	s_and_b64 s[44:45], s[2:3], s[22:23]
	v_writelane_b32 v86, s44, 23
	v_writelane_b32 v86, s45, 24
	s_and_b64 s[44:45], s[2:3], s[24:25]
	v_writelane_b32 v86, s44, 25
	v_writelane_b32 v86, s45, 26
	s_and_b64 s[44:45], s[2:3], s[26:27]
	v_writelane_b32 v86, s44, 27
	v_writelane_b32 v86, s45, 28
	s_and_b64 s[44:45], s[2:3], s[28:29]
	v_writelane_b32 v86, s44, 29
	v_writelane_b32 v86, s45, 30
	s_and_b64 s[44:45], s[2:3], s[30:31]
	v_writelane_b32 v86, s44, 31
	v_writelane_b32 v86, s45, 32
	s_and_b64 s[2:3], s[2:3], s[34:35]
	v_writelane_b32 v86, s2, 33
	v_writelane_b32 v86, s3, 34
	s_and_b64 s[2:3], s[6:7], s[18:19]
	v_writelane_b32 v86, s2, 35
	v_writelane_b32 v86, s3, 36
	s_and_b64 s[2:3], s[6:7], s[20:21]
	v_writelane_b32 v86, s2, 37
	v_writelane_b32 v86, s3, 38
	s_and_b64 s[2:3], s[6:7], s[22:23]
	v_writelane_b32 v86, s2, 39
	v_writelane_b32 v86, s3, 40
	s_and_b64 s[2:3], s[6:7], s[24:25]
	v_writelane_b32 v86, s2, 41
	v_writelane_b32 v86, s3, 42
	s_and_b64 s[2:3], s[6:7], s[26:27]
	v_writelane_b32 v86, s2, 43
	v_writelane_b32 v86, s3, 44
	s_and_b64 s[2:3], s[6:7], s[28:29]
	v_writelane_b32 v86, s2, 45
	v_writelane_b32 v86, s3, 46
	s_and_b64 s[2:3], s[6:7], s[30:31]
	v_writelane_b32 v86, s2, 47
	v_writelane_b32 v86, s3, 48
	s_and_b64 s[2:3], s[6:7], s[34:35]
	v_writelane_b32 v86, s2, 49
	v_writelane_b32 v86, s3, 50
	s_and_b64 s[2:3], s[8:9], s[18:19]
	v_writelane_b32 v86, s2, 51
	v_writelane_b32 v86, s3, 52
	s_and_b64 s[2:3], s[8:9], s[20:21]
	v_writelane_b32 v86, s2, 53
	v_writelane_b32 v86, s3, 54
	s_and_b64 s[2:3], s[8:9], s[22:23]
	v_writelane_b32 v86, s2, 55
	v_writelane_b32 v86, s3, 56
	s_and_b64 s[2:3], s[8:9], s[24:25]
	v_writelane_b32 v86, s2, 57
	v_writelane_b32 v86, s3, 58
	s_and_b64 s[2:3], s[8:9], s[26:27]
	v_writelane_b32 v86, s2, 59
	v_writelane_b32 v86, s3, 60
	s_and_b64 s[2:3], s[8:9], s[28:29]
	v_writelane_b32 v86, s2, 61
	v_writelane_b32 v86, s3, 62
	s_and_b64 s[48:49], s[8:9], s[30:31]
	s_and_b64 s[8:9], s[8:9], s[34:35]
	s_and_b64 s[50:51], s[10:11], s[18:19]
	;; [unrolled: 1-line block ×33, first 2 shown]
	s_load_dwordx2 s[34:35], s[4:5], 0x30
	s_ashr_i32 s39, s38, 31
	s_lshl_b64 s[44:45], s[38:39], 3
	v_or_b32_e32 v5, 0xe0, v16
	v_or_b32_e32 v7, 0xc0, v16
	;; [unrolled: 1-line block ×5, first 2 shown]
	s_waitcnt lgkmcnt(0)
	s_add_u32 s34, s34, s44
	v_mul_lo_u32 v3, v16, s33
	v_mul_lo_u32 v5, v5, s33
	;; [unrolled: 1-line block ×8, first 2 shown]
	s_mul_hi_u32 s33, s36, s38
	s_mul_i32 s39, s36, s39
	s_addc_u32 s35, s35, s45
	s_add_i32 s33, s33, s39
	s_mul_i32 s39, s37, s38
	s_add_i32 s45, s33, s39
	s_mul_i32 s44, s36, s38
	s_lshl_b64 s[46:47], s[44:45], 3
	v_lshlrev_b32_e32 v62, 3, v16
	v_add_u32_e32 v19, s44, v3
	v_mov_b32_e32 v3, s47
	v_add_co_u32_e32 v21, vcc, s46, v62
	v_addc_co_u32_e32 v23, vcc, 0, v3, vcc
	s_movk_i32 s39, 0x700
	v_add_co_u32_e32 v25, vcc, s39, v21
	v_addc_co_u32_e32 v27, vcc, 0, v23, vcc
	s_movk_i32 s33, 0x600
	;; [unrolled: 3-line block ×6, first 2 shown]
	v_add_co_u32_e32 v42, vcc, s95, v21
	v_add_u32_e32 v5, s44, v5
	v_add_u32_e32 v7, s44, v7
	;; [unrolled: 1-line block ×7, first 2 shown]
	v_addc_co_u32_e32 v43, vcc, 0, v23, vcc
	s_movk_i32 s44, 0x100
	v_add_co_u32_e32 v44, vcc, s44, v21
	v_addc_co_u32_e32 v45, vcc, 0, v23, vcc
	v_lshlrev_b32_e32 v46, 3, v0
	v_add_co_u32_e32 v48, vcc, s46, v46
	v_addc_co_u32_e32 v49, vcc, 0, v3, vcc
	v_add_co_u32_e32 v50, vcc, s44, v48
	v_addc_co_u32_e32 v51, vcc, 0, v49, vcc
	;; [unrolled: 2-line block ×3, first 2 shown]
	v_add_co_u32_e32 v54, vcc, s94, v48
	v_mov_b32_e32 v47, v1
	v_addc_co_u32_e32 v55, vcc, 0, v49, vcc
	v_mov_b32_e32 v16, v1
	v_mov_b32_e32 v18, v1
	;; [unrolled: 1-line block ×9, first 2 shown]
	v_mul_lo_u32 v1, s36, v27
	v_mul_lo_u32 v27, s37, v25
	v_mad_u64_u32 v[32:33], s[46:47], s36, v25, v[46:47]
	v_add_co_u32_e32 v56, vcc, s93, v48
	v_add3_u32 v33, v27, v33, v1
	v_mul_lo_u32 v1, s36, v31
	v_mul_lo_u32 v25, s37, v29
	v_mad_u64_u32 v[34:35], s[46:47], s36, v29, v[46:47]
	v_addc_co_u32_e32 v57, vcc, 0, v49, vcc
	v_add3_u32 v35, v25, v35, v1
	v_mul_lo_u32 v1, s36, v37
	v_mul_lo_u32 v25, s37, v36
	v_mad_u64_u32 v[36:37], s[46:47], s36, v36, v[46:47]
	v_add_co_u32_e32 v58, vcc, s92, v48
	v_add3_u32 v37, v25, v37, v1
	v_mul_lo_u32 v1, s36, v39
	v_mul_lo_u32 v25, s37, v38
	v_mad_u64_u32 v[38:39], s[46:47], s36, v38, v[46:47]
	v_addc_co_u32_e32 v59, vcc, 0, v49, vcc
	v_add3_u32 v39, v25, v39, v1
	;; [unrolled: 10-line block ×4, first 2 shown]
	v_mul_lo_u32 v1, s36, v49
	v_mul_lo_u32 v21, s37, v48
	v_mad_u64_u32 v[48:49], s[46:47], s36, v48, v[62:63]
	v_add3_u32 v49, v21, v49, v1
	v_mul_lo_u32 v1, s36, v51
	v_mul_lo_u32 v21, s37, v50
	v_mad_u64_u32 v[50:51], s[46:47], s36, v50, v[62:63]
	v_add3_u32 v51, v21, v51, v1
	;; [unrolled: 4-line block ×3, first 2 shown]
	v_mul_lo_u32 v1, s36, v55
	v_mul_lo_u32 v21, s37, v54
	v_mad_u64_u32 v[54:55], s[46:47], s36, v54, v[62:63]
	s_load_dwordx2 s[40:41], s[4:5], 0x48
	s_load_dwordx2 s[42:43], s[4:5], 0x20
	v_add3_u32 v55, v21, v55, v1
	s_load_dwordx2 s[4:5], s[4:5], 0x58
	v_mul_lo_u32 v1, s36, v57
	v_mul_lo_u32 v21, s37, v56
	v_mad_u64_u32 v[56:57], s[46:47], s36, v56, v[62:63]
	v_add3_u32 v57, v21, v57, v1
	v_mul_lo_u32 v1, s36, v59
	v_mul_lo_u32 v21, s37, v58
	v_mad_u64_u32 v[58:59], s[46:47], s36, v58, v[62:63]
	v_add3_u32 v59, v21, v59, v1
	;; [unrolled: 4-line block ×3, first 2 shown]
	v_mul_lo_u32 v1, s36, v65
	v_mul_lo_u32 v21, s37, v64
	v_mad_u64_u32 v[62:63], s[46:47], s36, v64, v[62:63]
	v_mov_b32_e32 v3, v0
	v_mul_lo_u32 v5, s36, v5
	v_mul_lo_u32 v7, s36, v7
	;; [unrolled: 1-line block ×8, first 2 shown]
	s_lshl_b64 s[88:89], s[88:89], 3
	v_add3_u32 v63, v21, v63, v1
	v_mov_b32_e32 v1, 0x60
	v_mov_b32_e32 v21, 0x80
	;; [unrolled: 1-line block ×5, first 2 shown]
	s_mov_b32 s45, s36
	s_branch .LBB194_21
.LBB194_20:                             ;   in Loop: Header=BB194_21 Depth=1
	s_or_b64 exec, exec, s[90:91]
	v_mov_b32_e32 v29, s45
	v_add_co_u32_e32 v16, vcc, 0, v16
	v_addc_co_u32_e32 v5, vcc, v5, v29, vcc
	v_add_co_u32_e32 v18, vcc, 0, v18
	v_addc_co_u32_e32 v7, vcc, v7, v29, vcc
	;; [unrolled: 2-line block ×5, first 2 shown]
	s_add_i32 s38, s38, 1
	v_add_co_u32_e32 v26, vcc, 0, v26
	v_addc_co_u32_e32 v15, vcc, v15, v29, vcc
	s_add_u32 s34, s34, 8
	v_add_co_u32_e32 v28, vcc, 0, v28
	s_addc_u32 s35, s35, 0
	v_addc_co_u32_e32 v17, vcc, v17, v29, vcc
	s_add_u32 s42, s42, s88
	s_addc_u32 s43, s43, s89
	v_readlane_b32 s46, v86, 1
	v_add_co_u32_e32 v30, vcc, 0, v30
	s_cmp_ge_i32 s38, s46
	v_addc_co_u32_e32 v19, vcc, v19, v29, vcc
	s_cbranch_scc1 .LBB194_149
.LBB194_21:                             ; =>This Inner Loop Header: Depth=1
	s_load_dwordx2 s[46:47], s[34:35], 0x0
	v_readlane_b32 s90, v86, 0
	s_waitcnt lgkmcnt(0)
	s_sub_u32 s46, s46, s90
	s_subb_u32 s47, s47, 0
	s_mul_i32 s90, s46, s37
	s_mul_hi_u32 s91, s46, s36
	s_add_i32 s90, s91, s90
	s_mul_i32 s47, s47, s36
	s_mul_i32 s46, s46, s36
	s_add_i32 s90, s90, s47
	v_readlane_b32 s47, v86, 2
	s_add_u32 s46, s46, s47
	s_addc_u32 s47, s90, 0
	v_mov_b32_e32 v29, s47
	v_add_co_u32_e32 v68, vcc, s46, v0
	v_addc_co_u32_e32 v69, vcc, 0, v29, vcc
	s_mov_b64 s[90:91], exec
	v_readlane_b32 vcc_lo, v86, 3
	v_readlane_b32 vcc_hi, v86, 4
	s_and_b64 vcc, s[90:91], vcc
	s_mov_b64 exec, vcc
	s_cbranch_execz .LBB194_23
; %bb.22:                               ;   in Loop: Header=BB194_21 Depth=1
	v_cndmask_b32_e64 v31, v48, v46, s[0:1]
	v_cndmask_b32_e64 v29, v49, v47, s[0:1]
	v_mov_b32_e32 v65, s43
	v_add_co_u32_e32 v64, vcc, s42, v31
	v_addc_co_u32_e32 v65, vcc, v65, v29, vcc
	global_load_dwordx2 v[64:65], v[64:65], off
	v_add_co_u32_e32 v66, vcc, 0, v30
	v_addc_co_u32_e32 v67, vcc, v3, v19, vcc
	v_ashrrev_i64 v[66:67], 29, v[66:67]
	v_mov_b32_e32 v29, s5
	v_add_co_u32_e32 v70, vcc, s4, v66
	v_addc_co_u32_e32 v71, vcc, v29, v67, vcc
	v_mov_b32_e32 v29, s41
	v_add_co_u32_e32 v66, vcc, s40, v66
	v_addc_co_u32_e32 v67, vcc, v29, v67, vcc
	global_store_dwordx2 v[70:71], v[68:69], off
	s_waitcnt vmcnt(1)
	global_store_dwordx2 v[66:67], v[64:65], off
.LBB194_23:                             ;   in Loop: Header=BB194_21 Depth=1
	s_or_b64 exec, exec, s[90:91]
	v_mov_b32_e32 v29, s47
	v_add_co_u32_e32 v64, vcc, s46, v2
	v_addc_co_u32_e32 v65, vcc, 0, v29, vcc
	s_mov_b64 s[90:91], exec
	v_readlane_b32 vcc_lo, v86, 5
	v_readlane_b32 vcc_hi, v86, 6
	s_and_b64 vcc, s[90:91], vcc
	s_mov_b64 exec, vcc
	s_cbranch_execz .LBB194_25
; %bb.24:                               ;   in Loop: Header=BB194_21 Depth=1
	v_mov_b32_e32 v29, s43
	v_add_co_u32_e32 v31, vcc, s42, v46
	v_addc_co_u32_e32 v66, vcc, v29, v47, vcc
	v_add_co_u32_e32 v31, vcc, s44, v31
	v_addc_co_u32_e32 v66, vcc, 0, v66, vcc
	v_add_co_u32_e32 v70, vcc, s42, v50
	v_addc_co_u32_e32 v29, vcc, v29, v51, vcc
	v_cndmask_b32_e64 v67, v29, v66, s[0:1]
	v_cndmask_b32_e64 v66, v70, v31, s[0:1]
	global_load_dwordx2 v[66:67], v[66:67], off
	v_add_co_u32_e32 v29, vcc, 0, v30
	v_addc_co_u32_e32 v31, vcc, v3, v19, vcc
	v_add_co_u32_e32 v70, vcc, 0, v29
	v_addc_co_u32_e32 v71, vcc, 32, v31, vcc
	v_ashrrev_i64 v[70:71], 29, v[70:71]
	v_mov_b32_e32 v29, s5
	v_add_co_u32_e32 v72, vcc, s4, v70
	v_addc_co_u32_e32 v73, vcc, v29, v71, vcc
	v_mov_b32_e32 v29, s41
	v_add_co_u32_e32 v70, vcc, s40, v70
	v_addc_co_u32_e32 v71, vcc, v29, v71, vcc
	global_store_dwordx2 v[72:73], v[64:65], off
	s_waitcnt vmcnt(1)
	global_store_dwordx2 v[70:71], v[66:67], off
.LBB194_25:                             ;   in Loop: Header=BB194_21 Depth=1
	s_or_b64 exec, exec, s[90:91]
	v_mov_b32_e32 v29, s47
	v_add_co_u32_e32 v66, vcc, s46, v4
	v_addc_co_u32_e32 v67, vcc, 0, v29, vcc
	s_mov_b64 s[90:91], exec
	v_readlane_b32 vcc_lo, v86, 7
	v_readlane_b32 vcc_hi, v86, 8
	s_and_b64 vcc, s[90:91], vcc
	s_mov_b64 exec, vcc
	s_cbranch_execz .LBB194_27
; %bb.26:                               ;   in Loop: Header=BB194_21 Depth=1
	v_mov_b32_e32 v29, s43
	v_add_co_u32_e32 v31, vcc, s42, v46
	v_addc_co_u32_e32 v70, vcc, v29, v47, vcc
	v_add_co_u32_e32 v31, vcc, s95, v31
	v_addc_co_u32_e32 v70, vcc, 0, v70, vcc
	v_add_co_u32_e32 v72, vcc, s42, v52
	v_addc_co_u32_e32 v29, vcc, v29, v53, vcc
	v_cndmask_b32_e64 v71, v29, v70, s[0:1]
	v_cndmask_b32_e64 v70, v72, v31, s[0:1]
	global_load_dwordx2 v[70:71], v[70:71], off
	v_add_co_u32_e32 v29, vcc, 0, v30
	v_addc_co_u32_e32 v31, vcc, v3, v19, vcc
	v_add_co_u32_e32 v72, vcc, 0, v29
	v_addc_co_u32_e32 v73, vcc, 64, v31, vcc
	v_ashrrev_i64 v[72:73], 29, v[72:73]
	v_mov_b32_e32 v29, s5
	v_add_co_u32_e32 v74, vcc, s4, v72
	v_addc_co_u32_e32 v75, vcc, v29, v73, vcc
	v_mov_b32_e32 v29, s41
	v_add_co_u32_e32 v72, vcc, s40, v72
	v_addc_co_u32_e32 v73, vcc, v29, v73, vcc
	global_store_dwordx2 v[74:75], v[66:67], off
	s_waitcnt vmcnt(1)
	global_store_dwordx2 v[72:73], v[70:71], off
.LBB194_27:                             ;   in Loop: Header=BB194_21 Depth=1
	;; [unrolled: 36-line block ×6, first 2 shown]
	s_or_b64 exec, exec, s[90:91]
	v_mov_b32_e32 v29, s47
	v_add_co_u32_e32 v78, vcc, s46, v14
	v_addc_co_u32_e32 v79, vcc, 0, v29, vcc
	s_mov_b64 s[90:91], exec
	v_readlane_b32 s46, v86, 17
	v_readlane_b32 s47, v86, 18
	s_and_b64 s[46:47], s[90:91], s[46:47]
	s_mov_b64 exec, s[46:47]
	s_cbranch_execz .LBB194_37
; %bb.36:                               ;   in Loop: Header=BB194_21 Depth=1
	v_mov_b32_e32 v29, s43
	v_add_co_u32_e32 v31, vcc, s42, v46
	v_addc_co_u32_e32 v80, vcc, v29, v47, vcc
	v_add_co_u32_e32 v31, vcc, s39, v31
	v_addc_co_u32_e32 v80, vcc, 0, v80, vcc
	v_add_co_u32_e32 v82, vcc, s42, v62
	v_addc_co_u32_e32 v29, vcc, v29, v63, vcc
	v_cndmask_b32_e64 v81, v29, v80, s[0:1]
	v_cndmask_b32_e64 v80, v82, v31, s[0:1]
	global_load_dwordx2 v[80:81], v[80:81], off
	v_add_co_u32_e32 v29, vcc, 0, v30
	v_addc_co_u32_e32 v31, vcc, v3, v19, vcc
	v_add_co_u32_e32 v82, vcc, 0, v29
	v_addc_co_u32_e32 v83, vcc, v31, v27, vcc
	v_ashrrev_i64 v[82:83], 29, v[82:83]
	v_mov_b32_e32 v29, s5
	v_add_co_u32_e32 v84, vcc, s4, v82
	v_addc_co_u32_e32 v85, vcc, v29, v83, vcc
	v_mov_b32_e32 v29, s41
	v_add_co_u32_e32 v82, vcc, s40, v82
	v_addc_co_u32_e32 v83, vcc, v29, v83, vcc
	global_store_dwordx2 v[84:85], v[78:79], off
	s_waitcnt vmcnt(1)
	global_store_dwordx2 v[82:83], v[80:81], off
.LBB194_37:                             ;   in Loop: Header=BB194_21 Depth=1
	s_or_b64 exec, exec, s[90:91]
	s_mov_b64 s[90:91], exec
	v_readlane_b32 s46, v86, 19
	v_readlane_b32 s47, v86, 20
	s_and_b64 s[46:47], s[90:91], s[46:47]
	s_mov_b64 exec, s[46:47]
	s_cbranch_execz .LBB194_39
; %bb.38:                               ;   in Loop: Header=BB194_21 Depth=1
	v_mov_b32_e32 v29, s43
	v_add_co_u32_e32 v31, vcc, s42, v44
	v_addc_co_u32_e32 v80, vcc, v29, v45, vcc
	v_add_co_u32_e32 v81, vcc, s42, v48
	v_addc_co_u32_e32 v29, vcc, v29, v49, vcc
	;; [unrolled: 2-line block ×3, first 2 shown]
	v_cndmask_b32_e64 v81, v29, v80, s[0:1]
	v_cndmask_b32_e64 v80, v82, v31, s[0:1]
	global_load_dwordx2 v[80:81], v[80:81], off
	v_add_co_u32_e32 v82, vcc, 0, v28
	v_addc_co_u32_e32 v83, vcc, v3, v17, vcc
	v_ashrrev_i64 v[82:83], 29, v[82:83]
	v_mov_b32_e32 v29, s5
	v_add_co_u32_e32 v84, vcc, s4, v82
	v_addc_co_u32_e32 v85, vcc, v29, v83, vcc
	v_mov_b32_e32 v29, s41
	v_add_co_u32_e32 v82, vcc, s40, v82
	v_addc_co_u32_e32 v83, vcc, v29, v83, vcc
	global_store_dwordx2 v[84:85], v[68:69], off
	s_waitcnt vmcnt(1)
	global_store_dwordx2 v[82:83], v[80:81], off
.LBB194_39:                             ;   in Loop: Header=BB194_21 Depth=1
	s_or_b64 exec, exec, s[90:91]
	s_mov_b64 s[90:91], exec
	v_readlane_b32 s46, v86, 21
	v_readlane_b32 s47, v86, 22
	s_and_b64 s[46:47], s[90:91], s[46:47]
	s_mov_b64 exec, s[46:47]
	s_cbranch_execz .LBB194_41
; %bb.40:                               ;   in Loop: Header=BB194_21 Depth=1
	v_cndmask_b32_e64 v31, v50, v44, s[0:1]
	v_cndmask_b32_e64 v29, v51, v45, s[0:1]
	v_mov_b32_e32 v81, s43
	v_add_co_u32_e32 v80, vcc, s42, v31
	v_addc_co_u32_e32 v81, vcc, v81, v29, vcc
	global_load_dwordx2 v[80:81], v[80:81], off offset:256
	v_add_co_u32_e32 v29, vcc, 0, v28
	v_addc_co_u32_e32 v31, vcc, v3, v17, vcc
	v_add_co_u32_e32 v82, vcc, 0, v29
	v_addc_co_u32_e32 v83, vcc, 32, v31, vcc
	v_ashrrev_i64 v[82:83], 29, v[82:83]
	v_mov_b32_e32 v29, s5
	v_add_co_u32_e32 v84, vcc, s4, v82
	v_addc_co_u32_e32 v85, vcc, v29, v83, vcc
	v_mov_b32_e32 v29, s41
	v_add_co_u32_e32 v82, vcc, s40, v82
	v_addc_co_u32_e32 v83, vcc, v29, v83, vcc
	global_store_dwordx2 v[84:85], v[64:65], off
	s_waitcnt vmcnt(1)
	global_store_dwordx2 v[82:83], v[80:81], off
.LBB194_41:                             ;   in Loop: Header=BB194_21 Depth=1
	s_or_b64 exec, exec, s[90:91]
	s_mov_b64 s[90:91], exec
	v_readlane_b32 s46, v86, 23
	v_readlane_b32 s47, v86, 24
	s_and_b64 s[46:47], s[90:91], s[46:47]
	s_mov_b64 exec, s[46:47]
	s_cbranch_execz .LBB194_43
; %bb.42:                               ;   in Loop: Header=BB194_21 Depth=1
	v_mov_b32_e32 v29, s43
	v_add_co_u32_e32 v31, vcc, s42, v44
	v_addc_co_u32_e32 v80, vcc, v29, v45, vcc
	v_add_co_u32_e32 v31, vcc, s95, v31
	v_addc_co_u32_e32 v80, vcc, 0, v80, vcc
	v_add_co_u32_e32 v81, vcc, s42, v52
	v_addc_co_u32_e32 v29, vcc, v29, v53, vcc
	v_add_co_u32_e32 v82, vcc, 0x100, v81
	v_addc_co_u32_e32 v29, vcc, 0, v29, vcc
	v_cndmask_b32_e64 v81, v29, v80, s[0:1]
	v_cndmask_b32_e64 v80, v82, v31, s[0:1]
	global_load_dwordx2 v[80:81], v[80:81], off
	v_add_co_u32_e32 v29, vcc, 0, v28
	v_addc_co_u32_e32 v31, vcc, v3, v17, vcc
	v_add_co_u32_e32 v82, vcc, 0, v29
	v_addc_co_u32_e32 v83, vcc, 64, v31, vcc
	v_ashrrev_i64 v[82:83], 29, v[82:83]
	v_mov_b32_e32 v29, s5
	v_add_co_u32_e32 v84, vcc, s4, v82
	v_addc_co_u32_e32 v85, vcc, v29, v83, vcc
	v_mov_b32_e32 v29, s41
	v_add_co_u32_e32 v82, vcc, s40, v82
	v_addc_co_u32_e32 v83, vcc, v29, v83, vcc
	global_store_dwordx2 v[84:85], v[66:67], off
	s_waitcnt vmcnt(1)
	global_store_dwordx2 v[82:83], v[80:81], off
.LBB194_43:                             ;   in Loop: Header=BB194_21 Depth=1
	s_or_b64 exec, exec, s[90:91]
	s_mov_b64 s[90:91], exec
	v_readlane_b32 s46, v86, 25
	v_readlane_b32 s47, v86, 26
	s_and_b64 s[46:47], s[90:91], s[46:47]
	s_mov_b64 exec, s[46:47]
	s_cbranch_execz .LBB194_45
; %bb.44:                               ;   in Loop: Header=BB194_21 Depth=1
	v_mov_b32_e32 v29, s43
	v_add_co_u32_e32 v31, vcc, s42, v44
	v_addc_co_u32_e32 v80, vcc, v29, v45, vcc
	v_add_co_u32_e32 v31, vcc, s94, v31
	v_addc_co_u32_e32 v80, vcc, 0, v80, vcc
	v_add_co_u32_e32 v81, vcc, s42, v54
	v_addc_co_u32_e32 v29, vcc, v29, v55, vcc
	v_add_co_u32_e32 v82, vcc, 0x100, v81
	v_addc_co_u32_e32 v29, vcc, 0, v29, vcc
	v_cndmask_b32_e64 v81, v29, v80, s[0:1]
	v_cndmask_b32_e64 v80, v82, v31, s[0:1]
	global_load_dwordx2 v[80:81], v[80:81], off
	v_add_co_u32_e32 v29, vcc, 0, v28
	v_addc_co_u32_e32 v31, vcc, v3, v17, vcc
	v_add_co_u32_e32 v82, vcc, 0, v29
	v_addc_co_u32_e32 v83, vcc, v31, v1, vcc
	v_ashrrev_i64 v[82:83], 29, v[82:83]
	v_mov_b32_e32 v29, s5
	v_add_co_u32_e32 v84, vcc, s4, v82
	v_addc_co_u32_e32 v85, vcc, v29, v83, vcc
	v_mov_b32_e32 v29, s41
	v_add_co_u32_e32 v82, vcc, s40, v82
	v_addc_co_u32_e32 v83, vcc, v29, v83, vcc
	global_store_dwordx2 v[84:85], v[70:71], off
	s_waitcnt vmcnt(1)
	global_store_dwordx2 v[82:83], v[80:81], off
.LBB194_45:                             ;   in Loop: Header=BB194_21 Depth=1
	;; [unrolled: 35-line block ×6, first 2 shown]
	s_or_b64 exec, exec, s[90:91]
	s_mov_b64 s[90:91], exec
	v_readlane_b32 s46, v86, 35
	v_readlane_b32 s47, v86, 36
	s_and_b64 s[46:47], s[90:91], s[46:47]
	s_mov_b64 exec, s[46:47]
	s_cbranch_execz .LBB194_55
; %bb.54:                               ;   in Loop: Header=BB194_21 Depth=1
	v_mov_b32_e32 v29, s43
	v_add_co_u32_e32 v31, vcc, s42, v42
	v_addc_co_u32_e32 v80, vcc, v29, v43, vcc
	v_add_co_u32_e32 v81, vcc, s42, v48
	v_addc_co_u32_e32 v29, vcc, v29, v49, vcc
	;; [unrolled: 2-line block ×3, first 2 shown]
	v_cndmask_b32_e64 v81, v29, v80, s[0:1]
	v_cndmask_b32_e64 v80, v82, v31, s[0:1]
	global_load_dwordx2 v[80:81], v[80:81], off
	v_add_co_u32_e32 v82, vcc, 0, v26
	v_addc_co_u32_e32 v83, vcc, v3, v15, vcc
	v_ashrrev_i64 v[82:83], 29, v[82:83]
	v_mov_b32_e32 v29, s5
	v_add_co_u32_e32 v84, vcc, s4, v82
	v_addc_co_u32_e32 v85, vcc, v29, v83, vcc
	v_mov_b32_e32 v29, s41
	v_add_co_u32_e32 v82, vcc, s40, v82
	v_addc_co_u32_e32 v83, vcc, v29, v83, vcc
	global_store_dwordx2 v[84:85], v[68:69], off
	s_waitcnt vmcnt(1)
	global_store_dwordx2 v[82:83], v[80:81], off
.LBB194_55:                             ;   in Loop: Header=BB194_21 Depth=1
	s_or_b64 exec, exec, s[90:91]
	s_mov_b64 s[90:91], exec
	v_readlane_b32 s46, v86, 37
	v_readlane_b32 s47, v86, 38
	s_and_b64 s[46:47], s[90:91], s[46:47]
	s_mov_b64 exec, s[46:47]
	s_cbranch_execz .LBB194_57
; %bb.56:                               ;   in Loop: Header=BB194_21 Depth=1
	v_mov_b32_e32 v29, s43
	v_add_co_u32_e32 v31, vcc, s42, v42
	v_addc_co_u32_e32 v80, vcc, v29, v43, vcc
	v_add_co_u32_e32 v31, vcc, s44, v31
	v_addc_co_u32_e32 v80, vcc, 0, v80, vcc
	;; [unrolled: 2-line block ×4, first 2 shown]
	v_cndmask_b32_e64 v81, v29, v80, s[0:1]
	v_cndmask_b32_e64 v80, v82, v31, s[0:1]
	global_load_dwordx2 v[80:81], v[80:81], off
	v_add_co_u32_e32 v29, vcc, 0, v26
	v_addc_co_u32_e32 v31, vcc, v3, v15, vcc
	v_add_co_u32_e32 v82, vcc, 0, v29
	v_addc_co_u32_e32 v83, vcc, 32, v31, vcc
	v_ashrrev_i64 v[82:83], 29, v[82:83]
	v_mov_b32_e32 v29, s5
	v_add_co_u32_e32 v84, vcc, s4, v82
	v_addc_co_u32_e32 v85, vcc, v29, v83, vcc
	v_mov_b32_e32 v29, s41
	v_add_co_u32_e32 v82, vcc, s40, v82
	v_addc_co_u32_e32 v83, vcc, v29, v83, vcc
	global_store_dwordx2 v[84:85], v[64:65], off
	s_waitcnt vmcnt(1)
	global_store_dwordx2 v[82:83], v[80:81], off
.LBB194_57:                             ;   in Loop: Header=BB194_21 Depth=1
	s_or_b64 exec, exec, s[90:91]
	s_mov_b64 s[90:91], exec
	v_readlane_b32 s46, v86, 39
	v_readlane_b32 s47, v86, 40
	s_and_b64 s[46:47], s[90:91], s[46:47]
	s_mov_b64 exec, s[46:47]
	s_cbranch_execz .LBB194_59
; %bb.58:                               ;   in Loop: Header=BB194_21 Depth=1
	v_cndmask_b32_e64 v31, v52, v42, s[0:1]
	v_cndmask_b32_e64 v29, v53, v43, s[0:1]
	v_mov_b32_e32 v81, s43
	v_add_co_u32_e32 v80, vcc, s42, v31
	v_addc_co_u32_e32 v81, vcc, v81, v29, vcc
	global_load_dwordx2 v[80:81], v[80:81], off offset:512
	v_add_co_u32_e32 v29, vcc, 0, v26
	v_addc_co_u32_e32 v31, vcc, v3, v15, vcc
	v_add_co_u32_e32 v82, vcc, 0, v29
	v_addc_co_u32_e32 v83, vcc, 64, v31, vcc
	v_ashrrev_i64 v[82:83], 29, v[82:83]
	v_mov_b32_e32 v29, s5
	v_add_co_u32_e32 v84, vcc, s4, v82
	v_addc_co_u32_e32 v85, vcc, v29, v83, vcc
	v_mov_b32_e32 v29, s41
	v_add_co_u32_e32 v82, vcc, s40, v82
	v_addc_co_u32_e32 v83, vcc, v29, v83, vcc
	global_store_dwordx2 v[84:85], v[66:67], off
	s_waitcnt vmcnt(1)
	global_store_dwordx2 v[82:83], v[80:81], off
.LBB194_59:                             ;   in Loop: Header=BB194_21 Depth=1
	s_or_b64 exec, exec, s[90:91]
	s_mov_b64 s[90:91], exec
	v_readlane_b32 s46, v86, 41
	v_readlane_b32 s47, v86, 42
	s_and_b64 s[46:47], s[90:91], s[46:47]
	s_mov_b64 exec, s[46:47]
	s_cbranch_execz .LBB194_61
; %bb.60:                               ;   in Loop: Header=BB194_21 Depth=1
	v_mov_b32_e32 v29, s43
	v_add_co_u32_e32 v31, vcc, s42, v42
	v_addc_co_u32_e32 v80, vcc, v29, v43, vcc
	v_add_co_u32_e32 v31, vcc, s94, v31
	v_addc_co_u32_e32 v80, vcc, 0, v80, vcc
	v_add_co_u32_e32 v81, vcc, s42, v54
	v_addc_co_u32_e32 v29, vcc, v29, v55, vcc
	v_add_co_u32_e32 v82, vcc, 0x200, v81
	v_addc_co_u32_e32 v29, vcc, 0, v29, vcc
	v_cndmask_b32_e64 v81, v29, v80, s[0:1]
	v_cndmask_b32_e64 v80, v82, v31, s[0:1]
	global_load_dwordx2 v[80:81], v[80:81], off
	v_add_co_u32_e32 v29, vcc, 0, v26
	v_addc_co_u32_e32 v31, vcc, v3, v15, vcc
	v_add_co_u32_e32 v82, vcc, 0, v29
	v_addc_co_u32_e32 v83, vcc, v31, v1, vcc
	v_ashrrev_i64 v[82:83], 29, v[82:83]
	v_mov_b32_e32 v29, s5
	v_add_co_u32_e32 v84, vcc, s4, v82
	v_addc_co_u32_e32 v85, vcc, v29, v83, vcc
	v_mov_b32_e32 v29, s41
	v_add_co_u32_e32 v82, vcc, s40, v82
	v_addc_co_u32_e32 v83, vcc, v29, v83, vcc
	global_store_dwordx2 v[84:85], v[70:71], off
	s_waitcnt vmcnt(1)
	global_store_dwordx2 v[82:83], v[80:81], off
.LBB194_61:                             ;   in Loop: Header=BB194_21 Depth=1
	s_or_b64 exec, exec, s[90:91]
	s_mov_b64 s[90:91], exec
	v_readlane_b32 s46, v86, 43
	v_readlane_b32 s47, v86, 44
	s_and_b64 s[46:47], s[90:91], s[46:47]
	s_mov_b64 exec, s[46:47]
	s_cbranch_execz .LBB194_63
; %bb.62:                               ;   in Loop: Header=BB194_21 Depth=1
	v_mov_b32_e32 v29, s43
	v_add_co_u32_e32 v31, vcc, s42, v42
	v_addc_co_u32_e32 v80, vcc, v29, v43, vcc
	v_add_co_u32_e32 v31, vcc, s93, v31
	v_addc_co_u32_e32 v80, vcc, 0, v80, vcc
	v_add_co_u32_e32 v81, vcc, s42, v56
	v_addc_co_u32_e32 v29, vcc, v29, v57, vcc
	v_add_co_u32_e32 v82, vcc, 0x200, v81
	v_addc_co_u32_e32 v29, vcc, 0, v29, vcc
	v_cndmask_b32_e64 v81, v29, v80, s[0:1]
	v_cndmask_b32_e64 v80, v82, v31, s[0:1]
	global_load_dwordx2 v[80:81], v[80:81], off
	v_add_co_u32_e32 v29, vcc, 0, v26
	v_addc_co_u32_e32 v31, vcc, v3, v15, vcc
	v_add_co_u32_e32 v82, vcc, 0, v29
	v_addc_co_u32_e32 v83, vcc, v31, v21, vcc
	v_ashrrev_i64 v[82:83], 29, v[82:83]
	v_mov_b32_e32 v29, s5
	v_add_co_u32_e32 v84, vcc, s4, v82
	v_addc_co_u32_e32 v85, vcc, v29, v83, vcc
	v_mov_b32_e32 v29, s41
	v_add_co_u32_e32 v82, vcc, s40, v82
	v_addc_co_u32_e32 v83, vcc, v29, v83, vcc
	global_store_dwordx2 v[84:85], v[72:73], off
	s_waitcnt vmcnt(1)
	global_store_dwordx2 v[82:83], v[80:81], off
.LBB194_63:                             ;   in Loop: Header=BB194_21 Depth=1
	;; [unrolled: 35-line block ×5, first 2 shown]
	s_or_b64 exec, exec, s[90:91]
	s_mov_b64 s[90:91], exec
	v_readlane_b32 s46, v86, 51
	v_readlane_b32 s47, v86, 52
	s_and_b64 s[46:47], s[90:91], s[46:47]
	s_mov_b64 exec, s[46:47]
	s_cbranch_execz .LBB194_71
; %bb.70:                               ;   in Loop: Header=BB194_21 Depth=1
	v_mov_b32_e32 v29, s43
	v_add_co_u32_e32 v31, vcc, s42, v40
	v_addc_co_u32_e32 v80, vcc, v29, v41, vcc
	v_add_co_u32_e32 v81, vcc, s42, v48
	v_addc_co_u32_e32 v29, vcc, v29, v49, vcc
	;; [unrolled: 2-line block ×3, first 2 shown]
	v_cndmask_b32_e64 v81, v29, v80, s[0:1]
	v_cndmask_b32_e64 v80, v82, v31, s[0:1]
	global_load_dwordx2 v[80:81], v[80:81], off
	v_add_co_u32_e32 v82, vcc, 0, v24
	v_addc_co_u32_e32 v83, vcc, v3, v13, vcc
	v_ashrrev_i64 v[82:83], 29, v[82:83]
	v_mov_b32_e32 v29, s5
	v_add_co_u32_e32 v84, vcc, s4, v82
	v_addc_co_u32_e32 v85, vcc, v29, v83, vcc
	v_mov_b32_e32 v29, s41
	v_add_co_u32_e32 v82, vcc, s40, v82
	v_addc_co_u32_e32 v83, vcc, v29, v83, vcc
	global_store_dwordx2 v[84:85], v[68:69], off
	s_waitcnt vmcnt(1)
	global_store_dwordx2 v[82:83], v[80:81], off
.LBB194_71:                             ;   in Loop: Header=BB194_21 Depth=1
	s_or_b64 exec, exec, s[90:91]
	s_mov_b64 s[90:91], exec
	v_readlane_b32 s46, v86, 53
	v_readlane_b32 s47, v86, 54
	s_and_b64 s[46:47], s[90:91], s[46:47]
	s_mov_b64 exec, s[46:47]
	s_cbranch_execz .LBB194_73
; %bb.72:                               ;   in Loop: Header=BB194_21 Depth=1
	v_mov_b32_e32 v29, s43
	v_add_co_u32_e32 v31, vcc, s42, v40
	v_addc_co_u32_e32 v80, vcc, v29, v41, vcc
	v_add_co_u32_e32 v31, vcc, s44, v31
	v_addc_co_u32_e32 v80, vcc, 0, v80, vcc
	;; [unrolled: 2-line block ×4, first 2 shown]
	v_cndmask_b32_e64 v81, v29, v80, s[0:1]
	v_cndmask_b32_e64 v80, v82, v31, s[0:1]
	global_load_dwordx2 v[80:81], v[80:81], off
	v_add_co_u32_e32 v29, vcc, 0, v24
	v_addc_co_u32_e32 v31, vcc, v3, v13, vcc
	v_add_co_u32_e32 v82, vcc, 0, v29
	v_addc_co_u32_e32 v83, vcc, 32, v31, vcc
	v_ashrrev_i64 v[82:83], 29, v[82:83]
	v_mov_b32_e32 v29, s5
	v_add_co_u32_e32 v84, vcc, s4, v82
	v_addc_co_u32_e32 v85, vcc, v29, v83, vcc
	v_mov_b32_e32 v29, s41
	v_add_co_u32_e32 v82, vcc, s40, v82
	v_addc_co_u32_e32 v83, vcc, v29, v83, vcc
	global_store_dwordx2 v[84:85], v[64:65], off
	s_waitcnt vmcnt(1)
	global_store_dwordx2 v[82:83], v[80:81], off
.LBB194_73:                             ;   in Loop: Header=BB194_21 Depth=1
	s_or_b64 exec, exec, s[90:91]
	s_mov_b64 s[90:91], exec
	v_readlane_b32 s46, v86, 55
	v_readlane_b32 s47, v86, 56
	s_and_b64 s[46:47], s[90:91], s[46:47]
	s_mov_b64 exec, s[46:47]
	s_cbranch_execz .LBB194_75
; %bb.74:                               ;   in Loop: Header=BB194_21 Depth=1
	v_mov_b32_e32 v29, s43
	v_add_co_u32_e32 v31, vcc, s42, v40
	v_addc_co_u32_e32 v80, vcc, v29, v41, vcc
	v_add_co_u32_e32 v31, vcc, s95, v31
	v_addc_co_u32_e32 v80, vcc, 0, v80, vcc
	;; [unrolled: 2-line block ×4, first 2 shown]
	v_cndmask_b32_e64 v81, v29, v80, s[0:1]
	v_cndmask_b32_e64 v80, v82, v31, s[0:1]
	global_load_dwordx2 v[80:81], v[80:81], off
	v_add_co_u32_e32 v29, vcc, 0, v24
	v_addc_co_u32_e32 v31, vcc, v3, v13, vcc
	v_add_co_u32_e32 v82, vcc, 0, v29
	v_addc_co_u32_e32 v83, vcc, 64, v31, vcc
	v_ashrrev_i64 v[82:83], 29, v[82:83]
	v_mov_b32_e32 v29, s5
	v_add_co_u32_e32 v84, vcc, s4, v82
	v_addc_co_u32_e32 v85, vcc, v29, v83, vcc
	v_mov_b32_e32 v29, s41
	v_add_co_u32_e32 v82, vcc, s40, v82
	v_addc_co_u32_e32 v83, vcc, v29, v83, vcc
	global_store_dwordx2 v[84:85], v[66:67], off
	s_waitcnt vmcnt(1)
	global_store_dwordx2 v[82:83], v[80:81], off
.LBB194_75:                             ;   in Loop: Header=BB194_21 Depth=1
	s_or_b64 exec, exec, s[90:91]
	s_mov_b64 s[90:91], exec
	v_readlane_b32 s46, v86, 57
	v_readlane_b32 s47, v86, 58
	s_and_b64 s[46:47], s[90:91], s[46:47]
	s_mov_b64 exec, s[46:47]
	s_cbranch_execz .LBB194_77
; %bb.76:                               ;   in Loop: Header=BB194_21 Depth=1
	v_cndmask_b32_e64 v31, v54, v40, s[0:1]
	v_cndmask_b32_e64 v29, v55, v41, s[0:1]
	v_mov_b32_e32 v81, s43
	v_add_co_u32_e32 v80, vcc, s42, v31
	v_addc_co_u32_e32 v81, vcc, v81, v29, vcc
	global_load_dwordx2 v[80:81], v[80:81], off offset:768
	v_add_co_u32_e32 v29, vcc, 0, v24
	v_addc_co_u32_e32 v31, vcc, v3, v13, vcc
	v_add_co_u32_e32 v82, vcc, 0, v29
	v_addc_co_u32_e32 v83, vcc, v31, v1, vcc
	v_ashrrev_i64 v[82:83], 29, v[82:83]
	v_mov_b32_e32 v29, s5
	v_add_co_u32_e32 v84, vcc, s4, v82
	v_addc_co_u32_e32 v85, vcc, v29, v83, vcc
	v_mov_b32_e32 v29, s41
	v_add_co_u32_e32 v82, vcc, s40, v82
	v_addc_co_u32_e32 v83, vcc, v29, v83, vcc
	global_store_dwordx2 v[84:85], v[70:71], off
	s_waitcnt vmcnt(1)
	global_store_dwordx2 v[82:83], v[80:81], off
.LBB194_77:                             ;   in Loop: Header=BB194_21 Depth=1
	s_or_b64 exec, exec, s[90:91]
	s_mov_b64 s[90:91], exec
	v_readlane_b32 s46, v86, 59
	v_readlane_b32 s47, v86, 60
	s_and_b64 s[46:47], s[90:91], s[46:47]
	s_mov_b64 exec, s[46:47]
	s_cbranch_execz .LBB194_79
; %bb.78:                               ;   in Loop: Header=BB194_21 Depth=1
	v_mov_b32_e32 v29, s43
	v_add_co_u32_e32 v31, vcc, s42, v40
	v_addc_co_u32_e32 v80, vcc, v29, v41, vcc
	v_add_co_u32_e32 v31, vcc, s93, v31
	v_addc_co_u32_e32 v80, vcc, 0, v80, vcc
	;; [unrolled: 2-line block ×4, first 2 shown]
	v_cndmask_b32_e64 v81, v29, v80, s[0:1]
	v_cndmask_b32_e64 v80, v82, v31, s[0:1]
	global_load_dwordx2 v[80:81], v[80:81], off
	v_add_co_u32_e32 v29, vcc, 0, v24
	v_addc_co_u32_e32 v31, vcc, v3, v13, vcc
	v_add_co_u32_e32 v82, vcc, 0, v29
	v_addc_co_u32_e32 v83, vcc, v31, v21, vcc
	v_ashrrev_i64 v[82:83], 29, v[82:83]
	v_mov_b32_e32 v29, s5
	v_add_co_u32_e32 v84, vcc, s4, v82
	v_addc_co_u32_e32 v85, vcc, v29, v83, vcc
	v_mov_b32_e32 v29, s41
	v_add_co_u32_e32 v82, vcc, s40, v82
	v_addc_co_u32_e32 v83, vcc, v29, v83, vcc
	global_store_dwordx2 v[84:85], v[72:73], off
	s_waitcnt vmcnt(1)
	global_store_dwordx2 v[82:83], v[80:81], off
.LBB194_79:                             ;   in Loop: Header=BB194_21 Depth=1
	s_or_b64 exec, exec, s[90:91]
	s_mov_b64 s[90:91], exec
	v_readlane_b32 s46, v86, 61
	v_readlane_b32 s47, v86, 62
	s_and_b64 s[46:47], s[90:91], s[46:47]
	s_mov_b64 exec, s[46:47]
	s_cbranch_execnz .LBB194_114
; %bb.80:                               ;   in Loop: Header=BB194_21 Depth=1
	s_or_b64 exec, exec, s[90:91]
	s_and_saveexec_b64 s[90:91], s[48:49]
	s_cbranch_execnz .LBB194_115
.LBB194_81:                             ;   in Loop: Header=BB194_21 Depth=1
	s_or_b64 exec, exec, s[90:91]
	s_and_saveexec_b64 s[90:91], s[8:9]
	s_cbranch_execnz .LBB194_116
.LBB194_82:                             ;   in Loop: Header=BB194_21 Depth=1
	s_or_b64 exec, exec, s[90:91]
	s_and_saveexec_b64 s[90:91], s[50:51]
	s_cbranch_execnz .LBB194_117
.LBB194_83:                             ;   in Loop: Header=BB194_21 Depth=1
	s_or_b64 exec, exec, s[90:91]
	s_and_saveexec_b64 s[90:91], s[52:53]
	s_cbranch_execnz .LBB194_118
.LBB194_84:                             ;   in Loop: Header=BB194_21 Depth=1
	s_or_b64 exec, exec, s[90:91]
	s_and_saveexec_b64 s[90:91], s[54:55]
	s_cbranch_execnz .LBB194_119
.LBB194_85:                             ;   in Loop: Header=BB194_21 Depth=1
	s_or_b64 exec, exec, s[90:91]
	s_and_saveexec_b64 s[90:91], s[56:57]
	s_cbranch_execnz .LBB194_120
.LBB194_86:                             ;   in Loop: Header=BB194_21 Depth=1
	s_or_b64 exec, exec, s[90:91]
	s_and_saveexec_b64 s[90:91], s[58:59]
	s_cbranch_execnz .LBB194_121
.LBB194_87:                             ;   in Loop: Header=BB194_21 Depth=1
	s_or_b64 exec, exec, s[90:91]
	s_and_saveexec_b64 s[90:91], s[60:61]
	s_cbranch_execnz .LBB194_122
.LBB194_88:                             ;   in Loop: Header=BB194_21 Depth=1
	s_or_b64 exec, exec, s[90:91]
	s_and_saveexec_b64 s[90:91], s[62:63]
	s_cbranch_execnz .LBB194_123
.LBB194_89:                             ;   in Loop: Header=BB194_21 Depth=1
	s_or_b64 exec, exec, s[90:91]
	s_and_saveexec_b64 s[90:91], s[10:11]
	s_cbranch_execnz .LBB194_124
.LBB194_90:                             ;   in Loop: Header=BB194_21 Depth=1
	s_or_b64 exec, exec, s[90:91]
	s_and_saveexec_b64 s[90:91], s[64:65]
	s_cbranch_execnz .LBB194_125
.LBB194_91:                             ;   in Loop: Header=BB194_21 Depth=1
	s_or_b64 exec, exec, s[90:91]
	s_and_saveexec_b64 s[90:91], s[66:67]
	s_cbranch_execnz .LBB194_126
.LBB194_92:                             ;   in Loop: Header=BB194_21 Depth=1
	s_or_b64 exec, exec, s[90:91]
	s_and_saveexec_b64 s[90:91], s[68:69]
	s_cbranch_execnz .LBB194_127
.LBB194_93:                             ;   in Loop: Header=BB194_21 Depth=1
	s_or_b64 exec, exec, s[90:91]
	s_and_saveexec_b64 s[90:91], s[70:71]
	s_cbranch_execnz .LBB194_128
.LBB194_94:                             ;   in Loop: Header=BB194_21 Depth=1
	s_or_b64 exec, exec, s[90:91]
	s_and_saveexec_b64 s[90:91], s[72:73]
	s_cbranch_execnz .LBB194_129
.LBB194_95:                             ;   in Loop: Header=BB194_21 Depth=1
	s_or_b64 exec, exec, s[90:91]
	s_and_saveexec_b64 s[90:91], s[2:3]
	s_cbranch_execnz .LBB194_130
.LBB194_96:                             ;   in Loop: Header=BB194_21 Depth=1
	s_or_b64 exec, exec, s[90:91]
	s_and_saveexec_b64 s[90:91], s[74:75]
	s_cbranch_execnz .LBB194_131
.LBB194_97:                             ;   in Loop: Header=BB194_21 Depth=1
	s_or_b64 exec, exec, s[90:91]
	s_and_saveexec_b64 s[90:91], s[12:13]
	s_cbranch_execnz .LBB194_132
.LBB194_98:                             ;   in Loop: Header=BB194_21 Depth=1
	s_or_b64 exec, exec, s[90:91]
	s_and_saveexec_b64 s[90:91], s[76:77]
	s_cbranch_execnz .LBB194_133
.LBB194_99:                             ;   in Loop: Header=BB194_21 Depth=1
	s_or_b64 exec, exec, s[90:91]
	s_and_saveexec_b64 s[90:91], s[78:79]
	s_cbranch_execnz .LBB194_134
.LBB194_100:                            ;   in Loop: Header=BB194_21 Depth=1
	s_or_b64 exec, exec, s[90:91]
	s_and_saveexec_b64 s[90:91], s[80:81]
	s_cbranch_execnz .LBB194_135
.LBB194_101:                            ;   in Loop: Header=BB194_21 Depth=1
	s_or_b64 exec, exec, s[90:91]
	s_and_saveexec_b64 s[90:91], s[82:83]
	s_cbranch_execnz .LBB194_136
.LBB194_102:                            ;   in Loop: Header=BB194_21 Depth=1
	s_or_b64 exec, exec, s[90:91]
	s_and_saveexec_b64 s[90:91], s[84:85]
	s_cbranch_execnz .LBB194_137
.LBB194_103:                            ;   in Loop: Header=BB194_21 Depth=1
	s_or_b64 exec, exec, s[90:91]
	s_and_saveexec_b64 s[90:91], s[86:87]
	s_cbranch_execnz .LBB194_138
.LBB194_104:                            ;   in Loop: Header=BB194_21 Depth=1
	s_or_b64 exec, exec, s[90:91]
	s_and_saveexec_b64 s[90:91], s[6:7]
	s_cbranch_execnz .LBB194_139
.LBB194_105:                            ;   in Loop: Header=BB194_21 Depth=1
	s_or_b64 exec, exec, s[90:91]
	s_and_saveexec_b64 s[90:91], s[14:15]
	s_cbranch_execnz .LBB194_140
.LBB194_106:                            ;   in Loop: Header=BB194_21 Depth=1
	s_or_b64 exec, exec, s[90:91]
	s_and_saveexec_b64 s[90:91], s[18:19]
	s_cbranch_execnz .LBB194_141
.LBB194_107:                            ;   in Loop: Header=BB194_21 Depth=1
	s_or_b64 exec, exec, s[90:91]
	s_and_saveexec_b64 s[90:91], s[20:21]
	s_cbranch_execnz .LBB194_142
.LBB194_108:                            ;   in Loop: Header=BB194_21 Depth=1
	s_or_b64 exec, exec, s[90:91]
	s_and_saveexec_b64 s[90:91], s[22:23]
	s_cbranch_execnz .LBB194_143
.LBB194_109:                            ;   in Loop: Header=BB194_21 Depth=1
	s_or_b64 exec, exec, s[90:91]
	s_and_saveexec_b64 s[90:91], s[24:25]
	s_cbranch_execnz .LBB194_144
.LBB194_110:                            ;   in Loop: Header=BB194_21 Depth=1
	s_or_b64 exec, exec, s[90:91]
	s_and_saveexec_b64 s[90:91], s[26:27]
	s_cbranch_execnz .LBB194_145
.LBB194_111:                            ;   in Loop: Header=BB194_21 Depth=1
	s_or_b64 exec, exec, s[90:91]
	s_and_saveexec_b64 s[90:91], s[28:29]
	s_cbranch_execnz .LBB194_146
.LBB194_112:                            ;   in Loop: Header=BB194_21 Depth=1
	s_or_b64 exec, exec, s[90:91]
	s_and_saveexec_b64 s[90:91], s[30:31]
	s_cbranch_execnz .LBB194_147
.LBB194_113:                            ;   in Loop: Header=BB194_21 Depth=1
	s_or_b64 exec, exec, s[90:91]
	s_and_saveexec_b64 s[90:91], s[16:17]
	s_cbranch_execz .LBB194_20
	s_branch .LBB194_148
.LBB194_114:                            ;   in Loop: Header=BB194_21 Depth=1
	v_mov_b32_e32 v29, s43
	v_add_co_u32_e32 v31, vcc, s42, v40
	v_addc_co_u32_e32 v80, vcc, v29, v41, vcc
	v_add_co_u32_e32 v31, vcc, s92, v31
	v_addc_co_u32_e32 v80, vcc, 0, v80, vcc
	;; [unrolled: 2-line block ×4, first 2 shown]
	v_cndmask_b32_e64 v81, v29, v80, s[0:1]
	v_cndmask_b32_e64 v80, v82, v31, s[0:1]
	global_load_dwordx2 v[80:81], v[80:81], off
	v_add_co_u32_e32 v29, vcc, 0, v24
	v_addc_co_u32_e32 v31, vcc, v3, v13, vcc
	v_add_co_u32_e32 v82, vcc, 0, v29
	v_addc_co_u32_e32 v83, vcc, v31, v23, vcc
	v_ashrrev_i64 v[82:83], 29, v[82:83]
	v_mov_b32_e32 v29, s5
	v_add_co_u32_e32 v84, vcc, s4, v82
	v_addc_co_u32_e32 v85, vcc, v29, v83, vcc
	v_mov_b32_e32 v29, s41
	v_add_co_u32_e32 v82, vcc, s40, v82
	v_addc_co_u32_e32 v83, vcc, v29, v83, vcc
	global_store_dwordx2 v[84:85], v[74:75], off
	s_waitcnt vmcnt(1)
	global_store_dwordx2 v[82:83], v[80:81], off
	s_or_b64 exec, exec, s[90:91]
	s_and_saveexec_b64 s[90:91], s[48:49]
	s_cbranch_execz .LBB194_81
.LBB194_115:                            ;   in Loop: Header=BB194_21 Depth=1
	v_mov_b32_e32 v29, s43
	v_add_co_u32_e32 v31, vcc, s42, v40
	v_addc_co_u32_e32 v80, vcc, v29, v41, vcc
	v_add_co_u32_e32 v31, vcc, s33, v31
	v_addc_co_u32_e32 v80, vcc, 0, v80, vcc
	;; [unrolled: 2-line block ×4, first 2 shown]
	v_cndmask_b32_e64 v81, v29, v80, s[0:1]
	v_cndmask_b32_e64 v80, v82, v31, s[0:1]
	global_load_dwordx2 v[80:81], v[80:81], off
	v_add_co_u32_e32 v29, vcc, 0, v24
	v_addc_co_u32_e32 v31, vcc, v3, v13, vcc
	v_add_co_u32_e32 v82, vcc, 0, v29
	v_addc_co_u32_e32 v83, vcc, v31, v25, vcc
	v_ashrrev_i64 v[82:83], 29, v[82:83]
	v_mov_b32_e32 v29, s5
	v_add_co_u32_e32 v84, vcc, s4, v82
	v_addc_co_u32_e32 v85, vcc, v29, v83, vcc
	v_mov_b32_e32 v29, s41
	v_add_co_u32_e32 v82, vcc, s40, v82
	v_addc_co_u32_e32 v83, vcc, v29, v83, vcc
	global_store_dwordx2 v[84:85], v[76:77], off
	s_waitcnt vmcnt(1)
	global_store_dwordx2 v[82:83], v[80:81], off
	s_or_b64 exec, exec, s[90:91]
	s_and_saveexec_b64 s[90:91], s[8:9]
	s_cbranch_execz .LBB194_82
.LBB194_116:                            ;   in Loop: Header=BB194_21 Depth=1
	v_mov_b32_e32 v29, s43
	v_add_co_u32_e32 v31, vcc, s42, v40
	v_addc_co_u32_e32 v80, vcc, v29, v41, vcc
	v_add_co_u32_e32 v31, vcc, s39, v31
	v_addc_co_u32_e32 v80, vcc, 0, v80, vcc
	;; [unrolled: 2-line block ×4, first 2 shown]
	v_cndmask_b32_e64 v81, v29, v80, s[0:1]
	v_cndmask_b32_e64 v80, v82, v31, s[0:1]
	global_load_dwordx2 v[80:81], v[80:81], off
	v_add_co_u32_e32 v29, vcc, 0, v24
	v_addc_co_u32_e32 v31, vcc, v3, v13, vcc
	v_add_co_u32_e32 v82, vcc, 0, v29
	v_addc_co_u32_e32 v83, vcc, v31, v27, vcc
	v_ashrrev_i64 v[82:83], 29, v[82:83]
	v_mov_b32_e32 v29, s5
	v_add_co_u32_e32 v84, vcc, s4, v82
	v_addc_co_u32_e32 v85, vcc, v29, v83, vcc
	v_mov_b32_e32 v29, s41
	v_add_co_u32_e32 v82, vcc, s40, v82
	v_addc_co_u32_e32 v83, vcc, v29, v83, vcc
	global_store_dwordx2 v[84:85], v[78:79], off
	s_waitcnt vmcnt(1)
	global_store_dwordx2 v[82:83], v[80:81], off
	s_or_b64 exec, exec, s[90:91]
	s_and_saveexec_b64 s[90:91], s[50:51]
	s_cbranch_execz .LBB194_83
.LBB194_117:                            ;   in Loop: Header=BB194_21 Depth=1
	v_mov_b32_e32 v29, s43
	v_add_co_u32_e32 v31, vcc, s42, v38
	v_addc_co_u32_e32 v80, vcc, v29, v39, vcc
	v_add_co_u32_e32 v81, vcc, s42, v48
	v_addc_co_u32_e32 v29, vcc, v29, v49, vcc
	;; [unrolled: 2-line block ×3, first 2 shown]
	v_cndmask_b32_e64 v81, v29, v80, s[0:1]
	v_cndmask_b32_e64 v80, v82, v31, s[0:1]
	global_load_dwordx2 v[80:81], v[80:81], off
	v_add_co_u32_e32 v82, vcc, 0, v22
	v_addc_co_u32_e32 v83, vcc, v3, v11, vcc
	v_ashrrev_i64 v[82:83], 29, v[82:83]
	v_mov_b32_e32 v29, s5
	v_add_co_u32_e32 v84, vcc, s4, v82
	v_addc_co_u32_e32 v85, vcc, v29, v83, vcc
	v_mov_b32_e32 v29, s41
	v_add_co_u32_e32 v82, vcc, s40, v82
	v_addc_co_u32_e32 v83, vcc, v29, v83, vcc
	global_store_dwordx2 v[84:85], v[68:69], off
	s_waitcnt vmcnt(1)
	global_store_dwordx2 v[82:83], v[80:81], off
	s_or_b64 exec, exec, s[90:91]
	s_and_saveexec_b64 s[90:91], s[52:53]
	s_cbranch_execz .LBB194_84
.LBB194_118:                            ;   in Loop: Header=BB194_21 Depth=1
	v_mov_b32_e32 v29, s43
	v_add_co_u32_e32 v31, vcc, s42, v38
	v_addc_co_u32_e32 v80, vcc, v29, v39, vcc
	v_add_co_u32_e32 v31, vcc, s44, v31
	v_addc_co_u32_e32 v80, vcc, 0, v80, vcc
	;; [unrolled: 2-line block ×4, first 2 shown]
	v_cndmask_b32_e64 v81, v29, v80, s[0:1]
	v_cndmask_b32_e64 v80, v82, v31, s[0:1]
	global_load_dwordx2 v[80:81], v[80:81], off
	v_add_co_u32_e32 v29, vcc, 0, v22
	v_addc_co_u32_e32 v31, vcc, v3, v11, vcc
	v_add_co_u32_e32 v82, vcc, 0, v29
	v_addc_co_u32_e32 v83, vcc, 32, v31, vcc
	v_ashrrev_i64 v[82:83], 29, v[82:83]
	v_mov_b32_e32 v29, s5
	v_add_co_u32_e32 v84, vcc, s4, v82
	v_addc_co_u32_e32 v85, vcc, v29, v83, vcc
	v_mov_b32_e32 v29, s41
	v_add_co_u32_e32 v82, vcc, s40, v82
	v_addc_co_u32_e32 v83, vcc, v29, v83, vcc
	global_store_dwordx2 v[84:85], v[64:65], off
	s_waitcnt vmcnt(1)
	global_store_dwordx2 v[82:83], v[80:81], off
	s_or_b64 exec, exec, s[90:91]
	s_and_saveexec_b64 s[90:91], s[54:55]
	s_cbranch_execz .LBB194_85
.LBB194_119:                            ;   in Loop: Header=BB194_21 Depth=1
	v_mov_b32_e32 v29, s43
	v_add_co_u32_e32 v31, vcc, s42, v38
	v_addc_co_u32_e32 v80, vcc, v29, v39, vcc
	v_add_co_u32_e32 v31, vcc, s95, v31
	v_addc_co_u32_e32 v80, vcc, 0, v80, vcc
	;; [unrolled: 2-line block ×4, first 2 shown]
	v_cndmask_b32_e64 v81, v29, v80, s[0:1]
	v_cndmask_b32_e64 v80, v82, v31, s[0:1]
	global_load_dwordx2 v[80:81], v[80:81], off
	v_add_co_u32_e32 v29, vcc, 0, v22
	v_addc_co_u32_e32 v31, vcc, v3, v11, vcc
	v_add_co_u32_e32 v82, vcc, 0, v29
	v_addc_co_u32_e32 v83, vcc, 64, v31, vcc
	v_ashrrev_i64 v[82:83], 29, v[82:83]
	v_mov_b32_e32 v29, s5
	v_add_co_u32_e32 v84, vcc, s4, v82
	v_addc_co_u32_e32 v85, vcc, v29, v83, vcc
	v_mov_b32_e32 v29, s41
	v_add_co_u32_e32 v82, vcc, s40, v82
	v_addc_co_u32_e32 v83, vcc, v29, v83, vcc
	global_store_dwordx2 v[84:85], v[66:67], off
	s_waitcnt vmcnt(1)
	global_store_dwordx2 v[82:83], v[80:81], off
	s_or_b64 exec, exec, s[90:91]
	s_and_saveexec_b64 s[90:91], s[56:57]
	s_cbranch_execz .LBB194_86
.LBB194_120:                            ;   in Loop: Header=BB194_21 Depth=1
	v_mov_b32_e32 v29, s43
	v_add_co_u32_e32 v31, vcc, s42, v38
	v_addc_co_u32_e32 v80, vcc, v29, v39, vcc
	v_add_co_u32_e32 v31, vcc, s94, v31
	v_addc_co_u32_e32 v80, vcc, 0, v80, vcc
	;; [unrolled: 2-line block ×4, first 2 shown]
	v_cndmask_b32_e64 v81, v29, v80, s[0:1]
	v_cndmask_b32_e64 v80, v82, v31, s[0:1]
	global_load_dwordx2 v[80:81], v[80:81], off
	v_add_co_u32_e32 v29, vcc, 0, v22
	v_addc_co_u32_e32 v31, vcc, v3, v11, vcc
	v_add_co_u32_e32 v82, vcc, 0, v29
	v_addc_co_u32_e32 v83, vcc, v31, v1, vcc
	v_ashrrev_i64 v[82:83], 29, v[82:83]
	v_mov_b32_e32 v29, s5
	v_add_co_u32_e32 v84, vcc, s4, v82
	v_addc_co_u32_e32 v85, vcc, v29, v83, vcc
	v_mov_b32_e32 v29, s41
	v_add_co_u32_e32 v82, vcc, s40, v82
	v_addc_co_u32_e32 v83, vcc, v29, v83, vcc
	global_store_dwordx2 v[84:85], v[70:71], off
	s_waitcnt vmcnt(1)
	global_store_dwordx2 v[82:83], v[80:81], off
	s_or_b64 exec, exec, s[90:91]
	s_and_saveexec_b64 s[90:91], s[58:59]
	s_cbranch_execz .LBB194_87
.LBB194_121:                            ;   in Loop: Header=BB194_21 Depth=1
	v_cndmask_b32_e64 v31, v56, v38, s[0:1]
	v_cndmask_b32_e64 v29, v57, v39, s[0:1]
	v_mov_b32_e32 v81, s43
	v_add_co_u32_e32 v80, vcc, s42, v31
	v_addc_co_u32_e32 v81, vcc, v81, v29, vcc
	global_load_dwordx2 v[80:81], v[80:81], off offset:1024
	v_add_co_u32_e32 v29, vcc, 0, v22
	v_addc_co_u32_e32 v31, vcc, v3, v11, vcc
	v_add_co_u32_e32 v82, vcc, 0, v29
	v_addc_co_u32_e32 v83, vcc, v31, v21, vcc
	v_ashrrev_i64 v[82:83], 29, v[82:83]
	v_mov_b32_e32 v29, s5
	v_add_co_u32_e32 v84, vcc, s4, v82
	v_addc_co_u32_e32 v85, vcc, v29, v83, vcc
	v_mov_b32_e32 v29, s41
	v_add_co_u32_e32 v82, vcc, s40, v82
	v_addc_co_u32_e32 v83, vcc, v29, v83, vcc
	global_store_dwordx2 v[84:85], v[72:73], off
	s_waitcnt vmcnt(1)
	global_store_dwordx2 v[82:83], v[80:81], off
	s_or_b64 exec, exec, s[90:91]
	s_and_saveexec_b64 s[90:91], s[60:61]
	s_cbranch_execz .LBB194_88
.LBB194_122:                            ;   in Loop: Header=BB194_21 Depth=1
	v_mov_b32_e32 v29, s43
	v_add_co_u32_e32 v31, vcc, s42, v38
	v_addc_co_u32_e32 v80, vcc, v29, v39, vcc
	v_add_co_u32_e32 v31, vcc, s92, v31
	v_addc_co_u32_e32 v80, vcc, 0, v80, vcc
	;; [unrolled: 2-line block ×4, first 2 shown]
	v_cndmask_b32_e64 v81, v29, v80, s[0:1]
	v_cndmask_b32_e64 v80, v82, v31, s[0:1]
	global_load_dwordx2 v[80:81], v[80:81], off
	v_add_co_u32_e32 v29, vcc, 0, v22
	v_addc_co_u32_e32 v31, vcc, v3, v11, vcc
	v_add_co_u32_e32 v82, vcc, 0, v29
	v_addc_co_u32_e32 v83, vcc, v31, v23, vcc
	v_ashrrev_i64 v[82:83], 29, v[82:83]
	v_mov_b32_e32 v29, s5
	v_add_co_u32_e32 v84, vcc, s4, v82
	v_addc_co_u32_e32 v85, vcc, v29, v83, vcc
	v_mov_b32_e32 v29, s41
	v_add_co_u32_e32 v82, vcc, s40, v82
	v_addc_co_u32_e32 v83, vcc, v29, v83, vcc
	global_store_dwordx2 v[84:85], v[74:75], off
	s_waitcnt vmcnt(1)
	global_store_dwordx2 v[82:83], v[80:81], off
	s_or_b64 exec, exec, s[90:91]
	s_and_saveexec_b64 s[90:91], s[62:63]
	s_cbranch_execz .LBB194_89
.LBB194_123:                            ;   in Loop: Header=BB194_21 Depth=1
	v_mov_b32_e32 v29, s43
	v_add_co_u32_e32 v31, vcc, s42, v38
	v_addc_co_u32_e32 v80, vcc, v29, v39, vcc
	v_add_co_u32_e32 v31, vcc, s33, v31
	v_addc_co_u32_e32 v80, vcc, 0, v80, vcc
	;; [unrolled: 2-line block ×4, first 2 shown]
	v_cndmask_b32_e64 v81, v29, v80, s[0:1]
	v_cndmask_b32_e64 v80, v82, v31, s[0:1]
	global_load_dwordx2 v[80:81], v[80:81], off
	v_add_co_u32_e32 v29, vcc, 0, v22
	v_addc_co_u32_e32 v31, vcc, v3, v11, vcc
	v_add_co_u32_e32 v82, vcc, 0, v29
	v_addc_co_u32_e32 v83, vcc, v31, v25, vcc
	v_ashrrev_i64 v[82:83], 29, v[82:83]
	v_mov_b32_e32 v29, s5
	v_add_co_u32_e32 v84, vcc, s4, v82
	v_addc_co_u32_e32 v85, vcc, v29, v83, vcc
	v_mov_b32_e32 v29, s41
	v_add_co_u32_e32 v82, vcc, s40, v82
	v_addc_co_u32_e32 v83, vcc, v29, v83, vcc
	global_store_dwordx2 v[84:85], v[76:77], off
	s_waitcnt vmcnt(1)
	global_store_dwordx2 v[82:83], v[80:81], off
	s_or_b64 exec, exec, s[90:91]
	s_and_saveexec_b64 s[90:91], s[10:11]
	s_cbranch_execz .LBB194_90
.LBB194_124:                            ;   in Loop: Header=BB194_21 Depth=1
	v_mov_b32_e32 v29, s43
	v_add_co_u32_e32 v31, vcc, s42, v38
	v_addc_co_u32_e32 v80, vcc, v29, v39, vcc
	v_add_co_u32_e32 v31, vcc, s39, v31
	v_addc_co_u32_e32 v80, vcc, 0, v80, vcc
	;; [unrolled: 2-line block ×4, first 2 shown]
	v_cndmask_b32_e64 v81, v29, v80, s[0:1]
	v_cndmask_b32_e64 v80, v82, v31, s[0:1]
	global_load_dwordx2 v[80:81], v[80:81], off
	v_add_co_u32_e32 v29, vcc, 0, v22
	v_addc_co_u32_e32 v31, vcc, v3, v11, vcc
	v_add_co_u32_e32 v82, vcc, 0, v29
	v_addc_co_u32_e32 v83, vcc, v31, v27, vcc
	v_ashrrev_i64 v[82:83], 29, v[82:83]
	v_mov_b32_e32 v29, s5
	v_add_co_u32_e32 v84, vcc, s4, v82
	v_addc_co_u32_e32 v85, vcc, v29, v83, vcc
	v_mov_b32_e32 v29, s41
	v_add_co_u32_e32 v82, vcc, s40, v82
	v_addc_co_u32_e32 v83, vcc, v29, v83, vcc
	global_store_dwordx2 v[84:85], v[78:79], off
	s_waitcnt vmcnt(1)
	global_store_dwordx2 v[82:83], v[80:81], off
	s_or_b64 exec, exec, s[90:91]
	s_and_saveexec_b64 s[90:91], s[64:65]
	s_cbranch_execz .LBB194_91
.LBB194_125:                            ;   in Loop: Header=BB194_21 Depth=1
	v_mov_b32_e32 v29, s43
	v_add_co_u32_e32 v31, vcc, s42, v36
	v_addc_co_u32_e32 v80, vcc, v29, v37, vcc
	v_add_co_u32_e32 v81, vcc, s42, v48
	v_addc_co_u32_e32 v29, vcc, v29, v49, vcc
	;; [unrolled: 2-line block ×3, first 2 shown]
	v_cndmask_b32_e64 v81, v29, v80, s[0:1]
	v_cndmask_b32_e64 v80, v82, v31, s[0:1]
	global_load_dwordx2 v[80:81], v[80:81], off
	v_add_co_u32_e32 v82, vcc, 0, v20
	v_addc_co_u32_e32 v83, vcc, v3, v9, vcc
	v_ashrrev_i64 v[82:83], 29, v[82:83]
	v_mov_b32_e32 v29, s5
	v_add_co_u32_e32 v84, vcc, s4, v82
	v_addc_co_u32_e32 v85, vcc, v29, v83, vcc
	v_mov_b32_e32 v29, s41
	v_add_co_u32_e32 v82, vcc, s40, v82
	v_addc_co_u32_e32 v83, vcc, v29, v83, vcc
	global_store_dwordx2 v[84:85], v[68:69], off
	s_waitcnt vmcnt(1)
	global_store_dwordx2 v[82:83], v[80:81], off
	s_or_b64 exec, exec, s[90:91]
	s_and_saveexec_b64 s[90:91], s[66:67]
	s_cbranch_execz .LBB194_92
.LBB194_126:                            ;   in Loop: Header=BB194_21 Depth=1
	v_mov_b32_e32 v29, s43
	v_add_co_u32_e32 v31, vcc, s42, v36
	v_addc_co_u32_e32 v80, vcc, v29, v37, vcc
	v_add_co_u32_e32 v31, vcc, s44, v31
	v_addc_co_u32_e32 v80, vcc, 0, v80, vcc
	v_add_co_u32_e32 v81, vcc, s42, v50
	v_addc_co_u32_e32 v29, vcc, v29, v51, vcc
	v_add_co_u32_e32 v82, vcc, 0x500, v81
	v_addc_co_u32_e32 v29, vcc, 0, v29, vcc
	v_cndmask_b32_e64 v81, v29, v80, s[0:1]
	v_cndmask_b32_e64 v80, v82, v31, s[0:1]
	global_load_dwordx2 v[80:81], v[80:81], off
	v_add_co_u32_e32 v29, vcc, 0, v20
	v_addc_co_u32_e32 v31, vcc, v3, v9, vcc
	v_add_co_u32_e32 v82, vcc, 0, v29
	v_addc_co_u32_e32 v83, vcc, 32, v31, vcc
	v_ashrrev_i64 v[82:83], 29, v[82:83]
	v_mov_b32_e32 v29, s5
	v_add_co_u32_e32 v84, vcc, s4, v82
	v_addc_co_u32_e32 v85, vcc, v29, v83, vcc
	v_mov_b32_e32 v29, s41
	v_add_co_u32_e32 v82, vcc, s40, v82
	v_addc_co_u32_e32 v83, vcc, v29, v83, vcc
	global_store_dwordx2 v[84:85], v[64:65], off
	s_waitcnt vmcnt(1)
	global_store_dwordx2 v[82:83], v[80:81], off
	s_or_b64 exec, exec, s[90:91]
	s_and_saveexec_b64 s[90:91], s[68:69]
	s_cbranch_execz .LBB194_93
.LBB194_127:                            ;   in Loop: Header=BB194_21 Depth=1
	v_mov_b32_e32 v29, s43
	v_add_co_u32_e32 v31, vcc, s42, v36
	v_addc_co_u32_e32 v80, vcc, v29, v37, vcc
	v_add_co_u32_e32 v31, vcc, s95, v31
	v_addc_co_u32_e32 v80, vcc, 0, v80, vcc
	;; [unrolled: 2-line block ×4, first 2 shown]
	v_cndmask_b32_e64 v81, v29, v80, s[0:1]
	v_cndmask_b32_e64 v80, v82, v31, s[0:1]
	global_load_dwordx2 v[80:81], v[80:81], off
	v_add_co_u32_e32 v29, vcc, 0, v20
	v_addc_co_u32_e32 v31, vcc, v3, v9, vcc
	v_add_co_u32_e32 v82, vcc, 0, v29
	v_addc_co_u32_e32 v83, vcc, 64, v31, vcc
	v_ashrrev_i64 v[82:83], 29, v[82:83]
	v_mov_b32_e32 v29, s5
	v_add_co_u32_e32 v84, vcc, s4, v82
	v_addc_co_u32_e32 v85, vcc, v29, v83, vcc
	v_mov_b32_e32 v29, s41
	v_add_co_u32_e32 v82, vcc, s40, v82
	v_addc_co_u32_e32 v83, vcc, v29, v83, vcc
	global_store_dwordx2 v[84:85], v[66:67], off
	s_waitcnt vmcnt(1)
	global_store_dwordx2 v[82:83], v[80:81], off
	s_or_b64 exec, exec, s[90:91]
	s_and_saveexec_b64 s[90:91], s[70:71]
	s_cbranch_execz .LBB194_94
.LBB194_128:                            ;   in Loop: Header=BB194_21 Depth=1
	v_mov_b32_e32 v29, s43
	v_add_co_u32_e32 v31, vcc, s42, v36
	v_addc_co_u32_e32 v80, vcc, v29, v37, vcc
	v_add_co_u32_e32 v31, vcc, s94, v31
	v_addc_co_u32_e32 v80, vcc, 0, v80, vcc
	;; [unrolled: 2-line block ×4, first 2 shown]
	v_cndmask_b32_e64 v81, v29, v80, s[0:1]
	v_cndmask_b32_e64 v80, v82, v31, s[0:1]
	global_load_dwordx2 v[80:81], v[80:81], off
	v_add_co_u32_e32 v29, vcc, 0, v20
	v_addc_co_u32_e32 v31, vcc, v3, v9, vcc
	v_add_co_u32_e32 v82, vcc, 0, v29
	v_addc_co_u32_e32 v83, vcc, v31, v1, vcc
	v_ashrrev_i64 v[82:83], 29, v[82:83]
	v_mov_b32_e32 v29, s5
	v_add_co_u32_e32 v84, vcc, s4, v82
	v_addc_co_u32_e32 v85, vcc, v29, v83, vcc
	v_mov_b32_e32 v29, s41
	v_add_co_u32_e32 v82, vcc, s40, v82
	v_addc_co_u32_e32 v83, vcc, v29, v83, vcc
	global_store_dwordx2 v[84:85], v[70:71], off
	s_waitcnt vmcnt(1)
	global_store_dwordx2 v[82:83], v[80:81], off
	s_or_b64 exec, exec, s[90:91]
	s_and_saveexec_b64 s[90:91], s[72:73]
	s_cbranch_execz .LBB194_95
.LBB194_129:                            ;   in Loop: Header=BB194_21 Depth=1
	v_mov_b32_e32 v29, s43
	v_add_co_u32_e32 v31, vcc, s42, v36
	v_addc_co_u32_e32 v80, vcc, v29, v37, vcc
	v_add_co_u32_e32 v31, vcc, s93, v31
	v_addc_co_u32_e32 v80, vcc, 0, v80, vcc
	;; [unrolled: 2-line block ×4, first 2 shown]
	v_cndmask_b32_e64 v81, v29, v80, s[0:1]
	v_cndmask_b32_e64 v80, v82, v31, s[0:1]
	global_load_dwordx2 v[80:81], v[80:81], off
	v_add_co_u32_e32 v29, vcc, 0, v20
	v_addc_co_u32_e32 v31, vcc, v3, v9, vcc
	v_add_co_u32_e32 v82, vcc, 0, v29
	v_addc_co_u32_e32 v83, vcc, v31, v21, vcc
	v_ashrrev_i64 v[82:83], 29, v[82:83]
	v_mov_b32_e32 v29, s5
	v_add_co_u32_e32 v84, vcc, s4, v82
	v_addc_co_u32_e32 v85, vcc, v29, v83, vcc
	v_mov_b32_e32 v29, s41
	v_add_co_u32_e32 v82, vcc, s40, v82
	v_addc_co_u32_e32 v83, vcc, v29, v83, vcc
	global_store_dwordx2 v[84:85], v[72:73], off
	s_waitcnt vmcnt(1)
	global_store_dwordx2 v[82:83], v[80:81], off
	s_or_b64 exec, exec, s[90:91]
	s_and_saveexec_b64 s[90:91], s[2:3]
	s_cbranch_execz .LBB194_96
.LBB194_130:                            ;   in Loop: Header=BB194_21 Depth=1
	v_cndmask_b32_e64 v31, v58, v36, s[0:1]
	v_cndmask_b32_e64 v29, v59, v37, s[0:1]
	v_mov_b32_e32 v81, s43
	v_add_co_u32_e32 v80, vcc, s42, v31
	v_addc_co_u32_e32 v81, vcc, v81, v29, vcc
	global_load_dwordx2 v[80:81], v[80:81], off offset:1280
	v_add_co_u32_e32 v29, vcc, 0, v20
	v_addc_co_u32_e32 v31, vcc, v3, v9, vcc
	v_add_co_u32_e32 v82, vcc, 0, v29
	v_addc_co_u32_e32 v83, vcc, v31, v23, vcc
	v_ashrrev_i64 v[82:83], 29, v[82:83]
	v_mov_b32_e32 v29, s5
	v_add_co_u32_e32 v84, vcc, s4, v82
	v_addc_co_u32_e32 v85, vcc, v29, v83, vcc
	v_mov_b32_e32 v29, s41
	v_add_co_u32_e32 v82, vcc, s40, v82
	v_addc_co_u32_e32 v83, vcc, v29, v83, vcc
	global_store_dwordx2 v[84:85], v[74:75], off
	s_waitcnt vmcnt(1)
	global_store_dwordx2 v[82:83], v[80:81], off
	s_or_b64 exec, exec, s[90:91]
	s_and_saveexec_b64 s[90:91], s[74:75]
	s_cbranch_execz .LBB194_97
.LBB194_131:                            ;   in Loop: Header=BB194_21 Depth=1
	v_mov_b32_e32 v29, s43
	v_add_co_u32_e32 v31, vcc, s42, v36
	v_addc_co_u32_e32 v80, vcc, v29, v37, vcc
	v_add_co_u32_e32 v31, vcc, s33, v31
	v_addc_co_u32_e32 v80, vcc, 0, v80, vcc
	;; [unrolled: 2-line block ×4, first 2 shown]
	v_cndmask_b32_e64 v81, v29, v80, s[0:1]
	v_cndmask_b32_e64 v80, v82, v31, s[0:1]
	global_load_dwordx2 v[80:81], v[80:81], off
	v_add_co_u32_e32 v29, vcc, 0, v20
	v_addc_co_u32_e32 v31, vcc, v3, v9, vcc
	v_add_co_u32_e32 v82, vcc, 0, v29
	v_addc_co_u32_e32 v83, vcc, v31, v25, vcc
	v_ashrrev_i64 v[82:83], 29, v[82:83]
	v_mov_b32_e32 v29, s5
	v_add_co_u32_e32 v84, vcc, s4, v82
	v_addc_co_u32_e32 v85, vcc, v29, v83, vcc
	v_mov_b32_e32 v29, s41
	v_add_co_u32_e32 v82, vcc, s40, v82
	v_addc_co_u32_e32 v83, vcc, v29, v83, vcc
	global_store_dwordx2 v[84:85], v[76:77], off
	s_waitcnt vmcnt(1)
	global_store_dwordx2 v[82:83], v[80:81], off
	s_or_b64 exec, exec, s[90:91]
	s_and_saveexec_b64 s[90:91], s[12:13]
	s_cbranch_execz .LBB194_98
.LBB194_132:                            ;   in Loop: Header=BB194_21 Depth=1
	v_mov_b32_e32 v29, s43
	v_add_co_u32_e32 v31, vcc, s42, v36
	v_addc_co_u32_e32 v80, vcc, v29, v37, vcc
	v_add_co_u32_e32 v31, vcc, s39, v31
	v_addc_co_u32_e32 v80, vcc, 0, v80, vcc
	;; [unrolled: 2-line block ×4, first 2 shown]
	v_cndmask_b32_e64 v81, v29, v80, s[0:1]
	v_cndmask_b32_e64 v80, v82, v31, s[0:1]
	global_load_dwordx2 v[80:81], v[80:81], off
	v_add_co_u32_e32 v29, vcc, 0, v20
	v_addc_co_u32_e32 v31, vcc, v3, v9, vcc
	v_add_co_u32_e32 v82, vcc, 0, v29
	v_addc_co_u32_e32 v83, vcc, v31, v27, vcc
	v_ashrrev_i64 v[82:83], 29, v[82:83]
	v_mov_b32_e32 v29, s5
	v_add_co_u32_e32 v84, vcc, s4, v82
	v_addc_co_u32_e32 v85, vcc, v29, v83, vcc
	v_mov_b32_e32 v29, s41
	v_add_co_u32_e32 v82, vcc, s40, v82
	v_addc_co_u32_e32 v83, vcc, v29, v83, vcc
	global_store_dwordx2 v[84:85], v[78:79], off
	s_waitcnt vmcnt(1)
	global_store_dwordx2 v[82:83], v[80:81], off
	s_or_b64 exec, exec, s[90:91]
	s_and_saveexec_b64 s[90:91], s[76:77]
	s_cbranch_execz .LBB194_99
.LBB194_133:                            ;   in Loop: Header=BB194_21 Depth=1
	v_mov_b32_e32 v29, s43
	v_add_co_u32_e32 v31, vcc, s42, v34
	v_addc_co_u32_e32 v80, vcc, v29, v35, vcc
	v_add_co_u32_e32 v81, vcc, s42, v48
	v_addc_co_u32_e32 v29, vcc, v29, v49, vcc
	;; [unrolled: 2-line block ×3, first 2 shown]
	v_cndmask_b32_e64 v81, v29, v80, s[0:1]
	v_cndmask_b32_e64 v80, v82, v31, s[0:1]
	global_load_dwordx2 v[80:81], v[80:81], off
	v_add_co_u32_e32 v82, vcc, 0, v18
	v_addc_co_u32_e32 v83, vcc, v3, v7, vcc
	v_ashrrev_i64 v[82:83], 29, v[82:83]
	v_mov_b32_e32 v29, s5
	v_add_co_u32_e32 v84, vcc, s4, v82
	v_addc_co_u32_e32 v85, vcc, v29, v83, vcc
	v_mov_b32_e32 v29, s41
	v_add_co_u32_e32 v82, vcc, s40, v82
	v_addc_co_u32_e32 v83, vcc, v29, v83, vcc
	global_store_dwordx2 v[84:85], v[68:69], off
	s_waitcnt vmcnt(1)
	global_store_dwordx2 v[82:83], v[80:81], off
	s_or_b64 exec, exec, s[90:91]
	s_and_saveexec_b64 s[90:91], s[78:79]
	s_cbranch_execz .LBB194_100
.LBB194_134:                            ;   in Loop: Header=BB194_21 Depth=1
	v_mov_b32_e32 v29, s43
	v_add_co_u32_e32 v31, vcc, s42, v34
	v_addc_co_u32_e32 v80, vcc, v29, v35, vcc
	v_add_co_u32_e32 v31, vcc, s44, v31
	v_addc_co_u32_e32 v80, vcc, 0, v80, vcc
	v_add_co_u32_e32 v81, vcc, s42, v50
	v_addc_co_u32_e32 v29, vcc, v29, v51, vcc
	v_add_co_u32_e32 v82, vcc, 0x600, v81
	v_addc_co_u32_e32 v29, vcc, 0, v29, vcc
	v_cndmask_b32_e64 v81, v29, v80, s[0:1]
	v_cndmask_b32_e64 v80, v82, v31, s[0:1]
	global_load_dwordx2 v[80:81], v[80:81], off
	v_add_co_u32_e32 v29, vcc, 0, v18
	v_addc_co_u32_e32 v31, vcc, v3, v7, vcc
	v_add_co_u32_e32 v82, vcc, 0, v29
	v_addc_co_u32_e32 v83, vcc, 32, v31, vcc
	v_ashrrev_i64 v[82:83], 29, v[82:83]
	v_mov_b32_e32 v29, s5
	v_add_co_u32_e32 v84, vcc, s4, v82
	v_addc_co_u32_e32 v85, vcc, v29, v83, vcc
	v_mov_b32_e32 v29, s41
	v_add_co_u32_e32 v82, vcc, s40, v82
	v_addc_co_u32_e32 v83, vcc, v29, v83, vcc
	global_store_dwordx2 v[84:85], v[64:65], off
	s_waitcnt vmcnt(1)
	global_store_dwordx2 v[82:83], v[80:81], off
	s_or_b64 exec, exec, s[90:91]
	s_and_saveexec_b64 s[90:91], s[80:81]
	s_cbranch_execz .LBB194_101
.LBB194_135:                            ;   in Loop: Header=BB194_21 Depth=1
	v_mov_b32_e32 v29, s43
	v_add_co_u32_e32 v31, vcc, s42, v34
	v_addc_co_u32_e32 v80, vcc, v29, v35, vcc
	v_add_co_u32_e32 v31, vcc, s95, v31
	v_addc_co_u32_e32 v80, vcc, 0, v80, vcc
	;; [unrolled: 2-line block ×4, first 2 shown]
	v_cndmask_b32_e64 v81, v29, v80, s[0:1]
	v_cndmask_b32_e64 v80, v82, v31, s[0:1]
	global_load_dwordx2 v[80:81], v[80:81], off
	v_add_co_u32_e32 v29, vcc, 0, v18
	v_addc_co_u32_e32 v31, vcc, v3, v7, vcc
	v_add_co_u32_e32 v82, vcc, 0, v29
	v_addc_co_u32_e32 v83, vcc, 64, v31, vcc
	v_ashrrev_i64 v[82:83], 29, v[82:83]
	v_mov_b32_e32 v29, s5
	v_add_co_u32_e32 v84, vcc, s4, v82
	v_addc_co_u32_e32 v85, vcc, v29, v83, vcc
	v_mov_b32_e32 v29, s41
	v_add_co_u32_e32 v82, vcc, s40, v82
	v_addc_co_u32_e32 v83, vcc, v29, v83, vcc
	global_store_dwordx2 v[84:85], v[66:67], off
	s_waitcnt vmcnt(1)
	global_store_dwordx2 v[82:83], v[80:81], off
	s_or_b64 exec, exec, s[90:91]
	s_and_saveexec_b64 s[90:91], s[82:83]
	s_cbranch_execz .LBB194_102
.LBB194_136:                            ;   in Loop: Header=BB194_21 Depth=1
	v_mov_b32_e32 v29, s43
	v_add_co_u32_e32 v31, vcc, s42, v34
	v_addc_co_u32_e32 v80, vcc, v29, v35, vcc
	v_add_co_u32_e32 v31, vcc, s94, v31
	v_addc_co_u32_e32 v80, vcc, 0, v80, vcc
	;; [unrolled: 2-line block ×4, first 2 shown]
	v_cndmask_b32_e64 v81, v29, v80, s[0:1]
	v_cndmask_b32_e64 v80, v82, v31, s[0:1]
	global_load_dwordx2 v[80:81], v[80:81], off
	v_add_co_u32_e32 v29, vcc, 0, v18
	v_addc_co_u32_e32 v31, vcc, v3, v7, vcc
	v_add_co_u32_e32 v82, vcc, 0, v29
	v_addc_co_u32_e32 v83, vcc, v31, v1, vcc
	v_ashrrev_i64 v[82:83], 29, v[82:83]
	v_mov_b32_e32 v29, s5
	v_add_co_u32_e32 v84, vcc, s4, v82
	v_addc_co_u32_e32 v85, vcc, v29, v83, vcc
	v_mov_b32_e32 v29, s41
	v_add_co_u32_e32 v82, vcc, s40, v82
	v_addc_co_u32_e32 v83, vcc, v29, v83, vcc
	global_store_dwordx2 v[84:85], v[70:71], off
	s_waitcnt vmcnt(1)
	global_store_dwordx2 v[82:83], v[80:81], off
	s_or_b64 exec, exec, s[90:91]
	s_and_saveexec_b64 s[90:91], s[84:85]
	s_cbranch_execz .LBB194_103
.LBB194_137:                            ;   in Loop: Header=BB194_21 Depth=1
	v_mov_b32_e32 v29, s43
	v_add_co_u32_e32 v31, vcc, s42, v34
	v_addc_co_u32_e32 v80, vcc, v29, v35, vcc
	v_add_co_u32_e32 v31, vcc, s93, v31
	v_addc_co_u32_e32 v80, vcc, 0, v80, vcc
	;; [unrolled: 2-line block ×4, first 2 shown]
	v_cndmask_b32_e64 v81, v29, v80, s[0:1]
	v_cndmask_b32_e64 v80, v82, v31, s[0:1]
	global_load_dwordx2 v[80:81], v[80:81], off
	v_add_co_u32_e32 v29, vcc, 0, v18
	v_addc_co_u32_e32 v31, vcc, v3, v7, vcc
	v_add_co_u32_e32 v82, vcc, 0, v29
	v_addc_co_u32_e32 v83, vcc, v31, v21, vcc
	v_ashrrev_i64 v[82:83], 29, v[82:83]
	v_mov_b32_e32 v29, s5
	v_add_co_u32_e32 v84, vcc, s4, v82
	v_addc_co_u32_e32 v85, vcc, v29, v83, vcc
	v_mov_b32_e32 v29, s41
	v_add_co_u32_e32 v82, vcc, s40, v82
	v_addc_co_u32_e32 v83, vcc, v29, v83, vcc
	global_store_dwordx2 v[84:85], v[72:73], off
	s_waitcnt vmcnt(1)
	global_store_dwordx2 v[82:83], v[80:81], off
	s_or_b64 exec, exec, s[90:91]
	s_and_saveexec_b64 s[90:91], s[86:87]
	s_cbranch_execz .LBB194_104
.LBB194_138:                            ;   in Loop: Header=BB194_21 Depth=1
	v_mov_b32_e32 v29, s43
	v_add_co_u32_e32 v31, vcc, s42, v34
	v_addc_co_u32_e32 v80, vcc, v29, v35, vcc
	v_add_co_u32_e32 v31, vcc, s92, v31
	v_addc_co_u32_e32 v80, vcc, 0, v80, vcc
	;; [unrolled: 2-line block ×4, first 2 shown]
	v_cndmask_b32_e64 v81, v29, v80, s[0:1]
	v_cndmask_b32_e64 v80, v82, v31, s[0:1]
	global_load_dwordx2 v[80:81], v[80:81], off
	v_add_co_u32_e32 v29, vcc, 0, v18
	v_addc_co_u32_e32 v31, vcc, v3, v7, vcc
	v_add_co_u32_e32 v82, vcc, 0, v29
	v_addc_co_u32_e32 v83, vcc, v31, v23, vcc
	v_ashrrev_i64 v[82:83], 29, v[82:83]
	v_mov_b32_e32 v29, s5
	v_add_co_u32_e32 v84, vcc, s4, v82
	v_addc_co_u32_e32 v85, vcc, v29, v83, vcc
	v_mov_b32_e32 v29, s41
	v_add_co_u32_e32 v82, vcc, s40, v82
	v_addc_co_u32_e32 v83, vcc, v29, v83, vcc
	global_store_dwordx2 v[84:85], v[74:75], off
	s_waitcnt vmcnt(1)
	global_store_dwordx2 v[82:83], v[80:81], off
	s_or_b64 exec, exec, s[90:91]
	s_and_saveexec_b64 s[90:91], s[6:7]
	s_cbranch_execz .LBB194_105
.LBB194_139:                            ;   in Loop: Header=BB194_21 Depth=1
	v_cndmask_b32_e64 v31, v60, v34, s[0:1]
	v_cndmask_b32_e64 v29, v61, v35, s[0:1]
	v_mov_b32_e32 v81, s43
	v_add_co_u32_e32 v80, vcc, s42, v31
	v_addc_co_u32_e32 v81, vcc, v81, v29, vcc
	global_load_dwordx2 v[80:81], v[80:81], off offset:1536
	v_add_co_u32_e32 v29, vcc, 0, v18
	v_addc_co_u32_e32 v31, vcc, v3, v7, vcc
	v_add_co_u32_e32 v82, vcc, 0, v29
	v_addc_co_u32_e32 v83, vcc, v31, v25, vcc
	v_ashrrev_i64 v[82:83], 29, v[82:83]
	v_mov_b32_e32 v29, s5
	v_add_co_u32_e32 v84, vcc, s4, v82
	v_addc_co_u32_e32 v85, vcc, v29, v83, vcc
	v_mov_b32_e32 v29, s41
	v_add_co_u32_e32 v82, vcc, s40, v82
	v_addc_co_u32_e32 v83, vcc, v29, v83, vcc
	global_store_dwordx2 v[84:85], v[76:77], off
	s_waitcnt vmcnt(1)
	global_store_dwordx2 v[82:83], v[80:81], off
	s_or_b64 exec, exec, s[90:91]
	s_and_saveexec_b64 s[90:91], s[14:15]
	s_cbranch_execz .LBB194_106
.LBB194_140:                            ;   in Loop: Header=BB194_21 Depth=1
	v_mov_b32_e32 v29, s43
	v_add_co_u32_e32 v31, vcc, s42, v34
	v_addc_co_u32_e32 v80, vcc, v29, v35, vcc
	v_add_co_u32_e32 v31, vcc, s39, v31
	v_addc_co_u32_e32 v80, vcc, 0, v80, vcc
	;; [unrolled: 2-line block ×4, first 2 shown]
	v_cndmask_b32_e64 v81, v29, v80, s[0:1]
	v_cndmask_b32_e64 v80, v82, v31, s[0:1]
	global_load_dwordx2 v[80:81], v[80:81], off
	v_add_co_u32_e32 v29, vcc, 0, v18
	v_addc_co_u32_e32 v31, vcc, v3, v7, vcc
	v_add_co_u32_e32 v82, vcc, 0, v29
	v_addc_co_u32_e32 v83, vcc, v31, v27, vcc
	v_ashrrev_i64 v[82:83], 29, v[82:83]
	v_mov_b32_e32 v29, s5
	v_add_co_u32_e32 v84, vcc, s4, v82
	v_addc_co_u32_e32 v85, vcc, v29, v83, vcc
	v_mov_b32_e32 v29, s41
	v_add_co_u32_e32 v82, vcc, s40, v82
	v_addc_co_u32_e32 v83, vcc, v29, v83, vcc
	global_store_dwordx2 v[84:85], v[78:79], off
	s_waitcnt vmcnt(1)
	global_store_dwordx2 v[82:83], v[80:81], off
	s_or_b64 exec, exec, s[90:91]
	s_and_saveexec_b64 s[90:91], s[18:19]
	s_cbranch_execz .LBB194_107
.LBB194_141:                            ;   in Loop: Header=BB194_21 Depth=1
	v_mov_b32_e32 v29, s43
	v_add_co_u32_e32 v31, vcc, s42, v32
	v_addc_co_u32_e32 v80, vcc, v29, v33, vcc
	v_add_co_u32_e32 v81, vcc, s42, v48
	v_addc_co_u32_e32 v29, vcc, v29, v49, vcc
	;; [unrolled: 2-line block ×3, first 2 shown]
	v_cndmask_b32_e64 v81, v29, v80, s[0:1]
	v_cndmask_b32_e64 v80, v82, v31, s[0:1]
	global_load_dwordx2 v[80:81], v[80:81], off
	v_add_co_u32_e32 v82, vcc, 0, v16
	v_addc_co_u32_e32 v83, vcc, v3, v5, vcc
	v_ashrrev_i64 v[82:83], 29, v[82:83]
	v_mov_b32_e32 v29, s5
	v_add_co_u32_e32 v84, vcc, s4, v82
	v_addc_co_u32_e32 v85, vcc, v29, v83, vcc
	global_store_dwordx2 v[84:85], v[68:69], off
	v_mov_b32_e32 v29, s41
	v_add_co_u32_e32 v68, vcc, s40, v82
	v_addc_co_u32_e32 v69, vcc, v29, v83, vcc
	s_waitcnt vmcnt(1)
	global_store_dwordx2 v[68:69], v[80:81], off
	s_or_b64 exec, exec, s[90:91]
	s_and_saveexec_b64 s[90:91], s[20:21]
	s_cbranch_execz .LBB194_108
.LBB194_142:                            ;   in Loop: Header=BB194_21 Depth=1
	v_mov_b32_e32 v29, s43
	v_add_co_u32_e32 v31, vcc, s42, v32
	v_addc_co_u32_e32 v68, vcc, v29, v33, vcc
	v_add_co_u32_e32 v31, vcc, s44, v31
	v_addc_co_u32_e32 v68, vcc, 0, v68, vcc
	;; [unrolled: 2-line block ×4, first 2 shown]
	v_cndmask_b32_e64 v69, v29, v68, s[0:1]
	v_cndmask_b32_e64 v68, v80, v31, s[0:1]
	global_load_dwordx2 v[68:69], v[68:69], off
	v_add_co_u32_e32 v29, vcc, 0, v16
	v_addc_co_u32_e32 v31, vcc, v3, v5, vcc
	v_add_co_u32_e32 v80, vcc, 0, v29
	v_addc_co_u32_e32 v81, vcc, 32, v31, vcc
	v_ashrrev_i64 v[80:81], 29, v[80:81]
	v_mov_b32_e32 v29, s5
	v_add_co_u32_e32 v82, vcc, s4, v80
	v_addc_co_u32_e32 v83, vcc, v29, v81, vcc
	global_store_dwordx2 v[82:83], v[64:65], off
	v_mov_b32_e32 v29, s41
	v_add_co_u32_e32 v64, vcc, s40, v80
	v_addc_co_u32_e32 v65, vcc, v29, v81, vcc
	s_waitcnt vmcnt(1)
	global_store_dwordx2 v[64:65], v[68:69], off
	s_or_b64 exec, exec, s[90:91]
	s_and_saveexec_b64 s[90:91], s[22:23]
	s_cbranch_execz .LBB194_109
.LBB194_143:                            ;   in Loop: Header=BB194_21 Depth=1
	v_mov_b32_e32 v29, s43
	v_add_co_u32_e32 v31, vcc, s42, v32
	v_addc_co_u32_e32 v64, vcc, v29, v33, vcc
	v_add_co_u32_e32 v31, vcc, s95, v31
	v_addc_co_u32_e32 v64, vcc, 0, v64, vcc
	;; [unrolled: 2-line block ×4, first 2 shown]
	v_cndmask_b32_e64 v65, v29, v64, s[0:1]
	v_cndmask_b32_e64 v64, v68, v31, s[0:1]
	global_load_dwordx2 v[64:65], v[64:65], off
	v_add_co_u32_e32 v29, vcc, 0, v16
	v_addc_co_u32_e32 v31, vcc, v3, v5, vcc
	v_add_co_u32_e32 v68, vcc, 0, v29
	v_addc_co_u32_e32 v69, vcc, 64, v31, vcc
	v_ashrrev_i64 v[68:69], 29, v[68:69]
	v_mov_b32_e32 v29, s5
	v_add_co_u32_e32 v80, vcc, s4, v68
	v_addc_co_u32_e32 v81, vcc, v29, v69, vcc
	global_store_dwordx2 v[80:81], v[66:67], off
	v_mov_b32_e32 v29, s41
	v_add_co_u32_e32 v66, vcc, s40, v68
	v_addc_co_u32_e32 v67, vcc, v29, v69, vcc
	s_waitcnt vmcnt(1)
	global_store_dwordx2 v[66:67], v[64:65], off
	s_or_b64 exec, exec, s[90:91]
	s_and_saveexec_b64 s[90:91], s[24:25]
	s_cbranch_execz .LBB194_110
.LBB194_144:                            ;   in Loop: Header=BB194_21 Depth=1
	v_mov_b32_e32 v29, s43
	v_add_co_u32_e32 v31, vcc, s42, v32
	v_addc_co_u32_e32 v64, vcc, v29, v33, vcc
	v_add_co_u32_e32 v31, vcc, s94, v31
	v_addc_co_u32_e32 v64, vcc, 0, v64, vcc
	;; [unrolled: 2-line block ×4, first 2 shown]
	v_cndmask_b32_e64 v65, v29, v64, s[0:1]
	v_cndmask_b32_e64 v64, v66, v31, s[0:1]
	global_load_dwordx2 v[64:65], v[64:65], off
	v_add_co_u32_e32 v29, vcc, 0, v16
	v_addc_co_u32_e32 v31, vcc, v3, v5, vcc
	v_add_co_u32_e32 v66, vcc, 0, v29
	v_addc_co_u32_e32 v67, vcc, v31, v1, vcc
	v_ashrrev_i64 v[66:67], 29, v[66:67]
	v_mov_b32_e32 v29, s5
	v_add_co_u32_e32 v68, vcc, s4, v66
	v_addc_co_u32_e32 v69, vcc, v29, v67, vcc
	v_mov_b32_e32 v29, s41
	v_add_co_u32_e32 v66, vcc, s40, v66
	v_addc_co_u32_e32 v67, vcc, v29, v67, vcc
	global_store_dwordx2 v[68:69], v[70:71], off
	s_waitcnt vmcnt(1)
	global_store_dwordx2 v[66:67], v[64:65], off
	s_or_b64 exec, exec, s[90:91]
	s_and_saveexec_b64 s[90:91], s[26:27]
	s_cbranch_execz .LBB194_111
.LBB194_145:                            ;   in Loop: Header=BB194_21 Depth=1
	v_mov_b32_e32 v29, s43
	v_add_co_u32_e32 v31, vcc, s42, v32
	v_addc_co_u32_e32 v64, vcc, v29, v33, vcc
	v_add_co_u32_e32 v31, vcc, s93, v31
	v_addc_co_u32_e32 v64, vcc, 0, v64, vcc
	;; [unrolled: 2-line block ×4, first 2 shown]
	v_cndmask_b32_e64 v65, v29, v64, s[0:1]
	v_cndmask_b32_e64 v64, v66, v31, s[0:1]
	global_load_dwordx2 v[64:65], v[64:65], off
	v_add_co_u32_e32 v29, vcc, 0, v16
	v_addc_co_u32_e32 v31, vcc, v3, v5, vcc
	v_add_co_u32_e32 v66, vcc, 0, v29
	v_addc_co_u32_e32 v67, vcc, v31, v21, vcc
	v_ashrrev_i64 v[66:67], 29, v[66:67]
	v_mov_b32_e32 v29, s5
	v_add_co_u32_e32 v68, vcc, s4, v66
	v_addc_co_u32_e32 v69, vcc, v29, v67, vcc
	v_mov_b32_e32 v29, s41
	v_add_co_u32_e32 v66, vcc, s40, v66
	v_addc_co_u32_e32 v67, vcc, v29, v67, vcc
	global_store_dwordx2 v[68:69], v[72:73], off
	s_waitcnt vmcnt(1)
	global_store_dwordx2 v[66:67], v[64:65], off
	s_or_b64 exec, exec, s[90:91]
	s_and_saveexec_b64 s[90:91], s[28:29]
	s_cbranch_execz .LBB194_112
.LBB194_146:                            ;   in Loop: Header=BB194_21 Depth=1
	v_mov_b32_e32 v29, s43
	v_add_co_u32_e32 v31, vcc, s42, v32
	v_addc_co_u32_e32 v64, vcc, v29, v33, vcc
	v_add_co_u32_e32 v31, vcc, s92, v31
	v_addc_co_u32_e32 v64, vcc, 0, v64, vcc
	;; [unrolled: 2-line block ×4, first 2 shown]
	v_cndmask_b32_e64 v65, v29, v64, s[0:1]
	v_cndmask_b32_e64 v64, v66, v31, s[0:1]
	global_load_dwordx2 v[64:65], v[64:65], off
	v_add_co_u32_e32 v29, vcc, 0, v16
	v_addc_co_u32_e32 v31, vcc, v3, v5, vcc
	v_add_co_u32_e32 v66, vcc, 0, v29
	v_addc_co_u32_e32 v67, vcc, v31, v23, vcc
	v_ashrrev_i64 v[66:67], 29, v[66:67]
	v_mov_b32_e32 v29, s5
	v_add_co_u32_e32 v68, vcc, s4, v66
	v_addc_co_u32_e32 v69, vcc, v29, v67, vcc
	v_mov_b32_e32 v29, s41
	v_add_co_u32_e32 v66, vcc, s40, v66
	v_addc_co_u32_e32 v67, vcc, v29, v67, vcc
	global_store_dwordx2 v[68:69], v[74:75], off
	s_waitcnt vmcnt(1)
	global_store_dwordx2 v[66:67], v[64:65], off
	s_or_b64 exec, exec, s[90:91]
	s_and_saveexec_b64 s[90:91], s[30:31]
	s_cbranch_execz .LBB194_113
.LBB194_147:                            ;   in Loop: Header=BB194_21 Depth=1
	v_mov_b32_e32 v29, s43
	v_add_co_u32_e32 v31, vcc, s42, v32
	v_addc_co_u32_e32 v64, vcc, v29, v33, vcc
	v_add_co_u32_e32 v31, vcc, s33, v31
	v_addc_co_u32_e32 v64, vcc, 0, v64, vcc
	;; [unrolled: 2-line block ×4, first 2 shown]
	v_cndmask_b32_e64 v65, v29, v64, s[0:1]
	v_cndmask_b32_e64 v64, v66, v31, s[0:1]
	global_load_dwordx2 v[64:65], v[64:65], off
	v_add_co_u32_e32 v29, vcc, 0, v16
	v_addc_co_u32_e32 v31, vcc, v3, v5, vcc
	v_add_co_u32_e32 v66, vcc, 0, v29
	v_addc_co_u32_e32 v67, vcc, v31, v25, vcc
	v_ashrrev_i64 v[66:67], 29, v[66:67]
	v_mov_b32_e32 v29, s5
	v_add_co_u32_e32 v68, vcc, s4, v66
	v_addc_co_u32_e32 v69, vcc, v29, v67, vcc
	v_mov_b32_e32 v29, s41
	v_add_co_u32_e32 v66, vcc, s40, v66
	v_addc_co_u32_e32 v67, vcc, v29, v67, vcc
	global_store_dwordx2 v[68:69], v[76:77], off
	s_waitcnt vmcnt(1)
	global_store_dwordx2 v[66:67], v[64:65], off
	s_or_b64 exec, exec, s[90:91]
	s_and_saveexec_b64 s[90:91], s[16:17]
	s_cbranch_execz .LBB194_20
.LBB194_148:                            ;   in Loop: Header=BB194_21 Depth=1
	v_cndmask_b32_e64 v31, v62, v32, s[0:1]
	v_cndmask_b32_e64 v29, v63, v33, s[0:1]
	v_mov_b32_e32 v65, s43
	v_add_co_u32_e32 v64, vcc, s42, v31
	v_addc_co_u32_e32 v65, vcc, v65, v29, vcc
	global_load_dwordx2 v[64:65], v[64:65], off offset:1792
	v_add_co_u32_e32 v29, vcc, 0, v16
	v_addc_co_u32_e32 v31, vcc, v3, v5, vcc
	v_add_co_u32_e32 v66, vcc, 0, v29
	v_addc_co_u32_e32 v67, vcc, v31, v27, vcc
	v_ashrrev_i64 v[66:67], 29, v[66:67]
	v_mov_b32_e32 v29, s5
	v_add_co_u32_e32 v68, vcc, s4, v66
	v_addc_co_u32_e32 v69, vcc, v29, v67, vcc
	v_mov_b32_e32 v29, s41
	v_add_co_u32_e32 v66, vcc, s40, v66
	v_addc_co_u32_e32 v67, vcc, v29, v67, vcc
	global_store_dwordx2 v[68:69], v[78:79], off
	s_waitcnt vmcnt(1)
	global_store_dwordx2 v[66:67], v[64:65], off
	s_branch .LBB194_20
.LBB194_149:
	s_endpgm
	.section	.rodata,"a",@progbits
	.p2align	6, 0x0
	.amdhsa_kernel _ZN9rocsparseL35bsr2csr_block_per_row_33_256_kernelILj1024ELj256ELj32E21rocsparse_complex_numIfEilEEv20rocsparse_direction_T4_S4_21rocsparse_index_base_PKT2_PKT3_PKS4_S4_S5_PS6_PS9_PS4_
		.amdhsa_group_segment_fixed_size 0
		.amdhsa_private_segment_fixed_size 0
		.amdhsa_kernarg_size 96
		.amdhsa_user_sgpr_count 6
		.amdhsa_user_sgpr_private_segment_buffer 1
		.amdhsa_user_sgpr_dispatch_ptr 0
		.amdhsa_user_sgpr_queue_ptr 0
		.amdhsa_user_sgpr_kernarg_segment_ptr 1
		.amdhsa_user_sgpr_dispatch_id 0
		.amdhsa_user_sgpr_flat_scratch_init 0
		.amdhsa_user_sgpr_kernarg_preload_length 0
		.amdhsa_user_sgpr_kernarg_preload_offset 0
		.amdhsa_user_sgpr_private_segment_size 0
		.amdhsa_uses_dynamic_stack 0
		.amdhsa_system_sgpr_private_segment_wavefront_offset 0
		.amdhsa_system_sgpr_workgroup_id_x 1
		.amdhsa_system_sgpr_workgroup_id_y 0
		.amdhsa_system_sgpr_workgroup_id_z 0
		.amdhsa_system_sgpr_workgroup_info 0
		.amdhsa_system_vgpr_workitem_id 0
		.amdhsa_next_free_vgpr 87
		.amdhsa_next_free_sgpr 96
		.amdhsa_accum_offset 88
		.amdhsa_reserve_vcc 1
		.amdhsa_reserve_flat_scratch 0
		.amdhsa_float_round_mode_32 0
		.amdhsa_float_round_mode_16_64 0
		.amdhsa_float_denorm_mode_32 3
		.amdhsa_float_denorm_mode_16_64 3
		.amdhsa_dx10_clamp 1
		.amdhsa_ieee_mode 1
		.amdhsa_fp16_overflow 0
		.amdhsa_tg_split 0
		.amdhsa_exception_fp_ieee_invalid_op 0
		.amdhsa_exception_fp_denorm_src 0
		.amdhsa_exception_fp_ieee_div_zero 0
		.amdhsa_exception_fp_ieee_overflow 0
		.amdhsa_exception_fp_ieee_underflow 0
		.amdhsa_exception_fp_ieee_inexact 0
		.amdhsa_exception_int_div_zero 0
	.end_amdhsa_kernel
	.section	.text._ZN9rocsparseL35bsr2csr_block_per_row_33_256_kernelILj1024ELj256ELj32E21rocsparse_complex_numIfEilEEv20rocsparse_direction_T4_S4_21rocsparse_index_base_PKT2_PKT3_PKS4_S4_S5_PS6_PS9_PS4_,"axG",@progbits,_ZN9rocsparseL35bsr2csr_block_per_row_33_256_kernelILj1024ELj256ELj32E21rocsparse_complex_numIfEilEEv20rocsparse_direction_T4_S4_21rocsparse_index_base_PKT2_PKT3_PKS4_S4_S5_PS6_PS9_PS4_,comdat
.Lfunc_end194:
	.size	_ZN9rocsparseL35bsr2csr_block_per_row_33_256_kernelILj1024ELj256ELj32E21rocsparse_complex_numIfEilEEv20rocsparse_direction_T4_S4_21rocsparse_index_base_PKT2_PKT3_PKS4_S4_S5_PS6_PS9_PS4_, .Lfunc_end194-_ZN9rocsparseL35bsr2csr_block_per_row_33_256_kernelILj1024ELj256ELj32E21rocsparse_complex_numIfEilEEv20rocsparse_direction_T4_S4_21rocsparse_index_base_PKT2_PKT3_PKS4_S4_S5_PS6_PS9_PS4_
                                        ; -- End function
	.section	.AMDGPU.csdata,"",@progbits
; Kernel info:
; codeLenInByte = 12812
; NumSgprs: 100
; NumVgprs: 87
; NumAgprs: 0
; TotalNumVgprs: 87
; ScratchSize: 0
; MemoryBound: 0
; FloatMode: 240
; IeeeMode: 1
; LDSByteSize: 0 bytes/workgroup (compile time only)
; SGPRBlocks: 12
; VGPRBlocks: 10
; NumSGPRsForWavesPerEU: 100
; NumVGPRsForWavesPerEU: 87
; AccumOffset: 88
; Occupancy: 5
; WaveLimiterHint : 1
; COMPUTE_PGM_RSRC2:SCRATCH_EN: 0
; COMPUTE_PGM_RSRC2:USER_SGPR: 6
; COMPUTE_PGM_RSRC2:TRAP_HANDLER: 0
; COMPUTE_PGM_RSRC2:TGID_X_EN: 1
; COMPUTE_PGM_RSRC2:TGID_Y_EN: 0
; COMPUTE_PGM_RSRC2:TGID_Z_EN: 0
; COMPUTE_PGM_RSRC2:TIDIG_COMP_CNT: 0
; COMPUTE_PGM_RSRC3_GFX90A:ACCUM_OFFSET: 21
; COMPUTE_PGM_RSRC3_GFX90A:TG_SPLIT: 0
	.section	.text._ZN9rocsparseL35bsr2csr_block_dim_equals_one_kernelILj1024E21rocsparse_complex_numIfEllEEvT2_S3_21rocsparse_index_base_PKT0_PKT1_PKS3_S4_PS5_PS8_PS3_,"axG",@progbits,_ZN9rocsparseL35bsr2csr_block_dim_equals_one_kernelILj1024E21rocsparse_complex_numIfEllEEvT2_S3_21rocsparse_index_base_PKT0_PKT1_PKS3_S4_PS5_PS8_PS3_,comdat
	.globl	_ZN9rocsparseL35bsr2csr_block_dim_equals_one_kernelILj1024E21rocsparse_complex_numIfEllEEvT2_S3_21rocsparse_index_base_PKT0_PKT1_PKS3_S4_PS5_PS8_PS3_ ; -- Begin function _ZN9rocsparseL35bsr2csr_block_dim_equals_one_kernelILj1024E21rocsparse_complex_numIfEllEEvT2_S3_21rocsparse_index_base_PKT0_PKT1_PKS3_S4_PS5_PS8_PS3_
	.p2align	8
	.type	_ZN9rocsparseL35bsr2csr_block_dim_equals_one_kernelILj1024E21rocsparse_complex_numIfEllEEvT2_S3_21rocsparse_index_base_PKT0_PKT1_PKS3_S4_PS5_PS8_PS3_,@function
_ZN9rocsparseL35bsr2csr_block_dim_equals_one_kernelILj1024E21rocsparse_complex_numIfEllEEvT2_S3_21rocsparse_index_base_PKT0_PKT1_PKS3_S4_PS5_PS8_PS3_: ; @_ZN9rocsparseL35bsr2csr_block_dim_equals_one_kernelILj1024E21rocsparse_complex_numIfEllEEvT2_S3_21rocsparse_index_base_PKT0_PKT1_PKS3_S4_PS5_PS8_PS3_
; %bb.0:
	v_lshl_or_b32 v0, s6, 10, v0
	v_mov_b32_e32 v1, 0
	s_load_dwordx2 s[14:15], s[4:5], 0x0
	s_load_dword s22, s[4:5], 0x10
	s_load_dwordx4 s[0:3], s[4:5], 0x18
	s_load_dwordx2 s[8:9], s[4:5], 0x28
	s_load_dword s23, s[4:5], 0x30
	s_load_dwordx2 s[10:11], s[4:5], 0x48
	s_load_dwordx2 s[12:13], s[4:5], 0x38
	s_waitcnt lgkmcnt(0)
	v_cmp_gt_i64_e32 vcc, s[14:15], v[0:1]
	s_and_saveexec_b64 s[6:7], vcc
	s_cbranch_execz .LBB195_6
; %bb.1:
	s_load_dwordx2 s[16:17], s[4:5], 0x40
	v_cmp_ne_u32_e32 vcc, 0, v0
                                        ; implicit-def: $sgpr20_sgpr21
	s_and_saveexec_b64 s[18:19], vcc
	s_xor_b64 s[18:19], exec, s[18:19]
; %bb.2:
	s_sub_u32 s20, s23, s22
	s_subb_u32 s21, 0, 0
; %bb.3:
	s_or_saveexec_b64 s[18:19], s[18:19]
	v_pk_mov_b32 v[2:3], s[20:21], s[20:21] op_sel:[0,1]
	s_xor_b64 exec, exec, s[18:19]
	s_cbranch_execz .LBB195_5
; %bb.4:
	s_load_dwordx2 s[20:21], s[2:3], 0x0
	s_sub_u32 s24, s23, s22
	s_subb_u32 s25, 0, 0
	v_mov_b32_e32 v4, 0
	s_waitcnt lgkmcnt(0)
	s_add_u32 s20, s24, s20
	s_addc_u32 s21, s25, s21
	v_pk_mov_b32 v[2:3], s[20:21], s[20:21] op_sel:[0,1]
	global_store_dwordx2 v4, v[2:3], s[16:17]
	v_pk_mov_b32 v[2:3], s[24:25], s[24:25] op_sel:[0,1]
.LBB195_5:
	s_or_b64 exec, exec, s[18:19]
	v_lshlrev_b64 v[4:5], 3, v[0:1]
	v_mov_b32_e32 v7, s3
	v_add_co_u32_e32 v6, vcc, s2, v4
	v_addc_co_u32_e32 v7, vcc, v7, v5, vcc
	global_load_dwordx2 v[6:7], v[6:7], off offset:8
	s_waitcnt lgkmcnt(0)
	v_mov_b32_e32 v8, s17
	s_waitcnt vmcnt(0)
	v_add_co_u32_e32 v2, vcc, v2, v6
	v_addc_co_u32_e32 v3, vcc, v3, v7, vcc
	v_add_co_u32_e32 v4, vcc, s16, v4
	v_addc_co_u32_e32 v5, vcc, v8, v5, vcc
	global_store_dwordx2 v[4:5], v[2:3], off offset:8
.LBB195_6:
	s_or_b64 exec, exec, s[6:7]
	s_lshl_b64 s[6:7], s[14:15], 3
	s_add_u32 s6, s2, s6
	s_addc_u32 s7, s3, s7
	s_load_dwordx2 s[14:15], s[6:7], 0x0
	s_load_dwordx2 s[16:17], s[2:3], 0x0
	s_waitcnt lgkmcnt(0)
	s_sub_u32 s2, s14, s16
	s_subb_u32 s3, s15, s17
	v_cmp_gt_i64_e32 vcc, s[2:3], v[0:1]
	s_and_saveexec_b64 s[6:7], vcc
	s_cbranch_execz .LBB195_9
; %bb.7:
	s_load_dword s4, s[4:5], 0x50
	s_sub_u32 s16, s23, s22
	s_mov_b32 s5, 0
	s_subb_u32 s17, 0, 0
	v_lshlrev_b64 v[2:3], 3, v[0:1]
	s_waitcnt lgkmcnt(0)
	s_lshl_b32 s4, s4, 10
	s_lshl_b64 s[6:7], s[4:5], 3
	s_mov_b64 s[14:15], 0
	v_mov_b32_e32 v4, s9
	v_mov_b32_e32 v5, s17
	;; [unrolled: 1-line block ×7, first 2 shown]
.LBB195_8:                              ; =>This Inner Loop Header: Depth=1
	v_add_co_u32_e32 v12, vcc, s8, v2
	v_addc_co_u32_e32 v13, vcc, v4, v3, vcc
	v_add_co_u32_e32 v14, vcc, s0, v2
	v_addc_co_u32_e32 v15, vcc, v7, v3, vcc
	global_load_dwordx2 v[16:17], v[12:13], off
	global_load_dwordx2 v[18:19], v[14:15], off
	v_add_co_u32_e32 v12, vcc, s10, v2
	v_addc_co_u32_e32 v13, vcc, v6, v3, vcc
	v_add_co_u32_e32 v14, vcc, s12, v2
	v_addc_co_u32_e32 v15, vcc, v8, v3, vcc
	;; [unrolled: 2-line block ×4, first 2 shown]
	v_cmp_le_i64_e32 vcc, s[2:3], v[0:1]
	s_or_b64 s[14:15], vcc, s[14:15]
	s_waitcnt vmcnt(1)
	v_add_co_u32_e32 v16, vcc, s16, v16
	v_addc_co_u32_e32 v17, vcc, v5, v17, vcc
	s_waitcnt vmcnt(0)
	global_store_dwordx2 v[14:15], v[18:19], off
	global_store_dwordx2 v[12:13], v[16:17], off
	s_andn2_b64 exec, exec, s[14:15]
	s_cbranch_execnz .LBB195_8
.LBB195_9:
	s_endpgm
	.section	.rodata,"a",@progbits
	.p2align	6, 0x0
	.amdhsa_kernel _ZN9rocsparseL35bsr2csr_block_dim_equals_one_kernelILj1024E21rocsparse_complex_numIfEllEEvT2_S3_21rocsparse_index_base_PKT0_PKT1_PKS3_S4_PS5_PS8_PS3_
		.amdhsa_group_segment_fixed_size 0
		.amdhsa_private_segment_fixed_size 0
		.amdhsa_kernarg_size 336
		.amdhsa_user_sgpr_count 6
		.amdhsa_user_sgpr_private_segment_buffer 1
		.amdhsa_user_sgpr_dispatch_ptr 0
		.amdhsa_user_sgpr_queue_ptr 0
		.amdhsa_user_sgpr_kernarg_segment_ptr 1
		.amdhsa_user_sgpr_dispatch_id 0
		.amdhsa_user_sgpr_flat_scratch_init 0
		.amdhsa_user_sgpr_kernarg_preload_length 0
		.amdhsa_user_sgpr_kernarg_preload_offset 0
		.amdhsa_user_sgpr_private_segment_size 0
		.amdhsa_uses_dynamic_stack 0
		.amdhsa_system_sgpr_private_segment_wavefront_offset 0
		.amdhsa_system_sgpr_workgroup_id_x 1
		.amdhsa_system_sgpr_workgroup_id_y 0
		.amdhsa_system_sgpr_workgroup_id_z 0
		.amdhsa_system_sgpr_workgroup_info 0
		.amdhsa_system_vgpr_workitem_id 0
		.amdhsa_next_free_vgpr 20
		.amdhsa_next_free_sgpr 26
		.amdhsa_accum_offset 20
		.amdhsa_reserve_vcc 1
		.amdhsa_reserve_flat_scratch 0
		.amdhsa_float_round_mode_32 0
		.amdhsa_float_round_mode_16_64 0
		.amdhsa_float_denorm_mode_32 3
		.amdhsa_float_denorm_mode_16_64 3
		.amdhsa_dx10_clamp 1
		.amdhsa_ieee_mode 1
		.amdhsa_fp16_overflow 0
		.amdhsa_tg_split 0
		.amdhsa_exception_fp_ieee_invalid_op 0
		.amdhsa_exception_fp_denorm_src 0
		.amdhsa_exception_fp_ieee_div_zero 0
		.amdhsa_exception_fp_ieee_overflow 0
		.amdhsa_exception_fp_ieee_underflow 0
		.amdhsa_exception_fp_ieee_inexact 0
		.amdhsa_exception_int_div_zero 0
	.end_amdhsa_kernel
	.section	.text._ZN9rocsparseL35bsr2csr_block_dim_equals_one_kernelILj1024E21rocsparse_complex_numIfEllEEvT2_S3_21rocsparse_index_base_PKT0_PKT1_PKS3_S4_PS5_PS8_PS3_,"axG",@progbits,_ZN9rocsparseL35bsr2csr_block_dim_equals_one_kernelILj1024E21rocsparse_complex_numIfEllEEvT2_S3_21rocsparse_index_base_PKT0_PKT1_PKS3_S4_PS5_PS8_PS3_,comdat
.Lfunc_end195:
	.size	_ZN9rocsparseL35bsr2csr_block_dim_equals_one_kernelILj1024E21rocsparse_complex_numIfEllEEvT2_S3_21rocsparse_index_base_PKT0_PKT1_PKS3_S4_PS5_PS8_PS3_, .Lfunc_end195-_ZN9rocsparseL35bsr2csr_block_dim_equals_one_kernelILj1024E21rocsparse_complex_numIfEllEEvT2_S3_21rocsparse_index_base_PKT0_PKT1_PKS3_S4_PS5_PS8_PS3_
                                        ; -- End function
	.section	.AMDGPU.csdata,"",@progbits
; Kernel info:
; codeLenInByte = 500
; NumSgprs: 30
; NumVgprs: 20
; NumAgprs: 0
; TotalNumVgprs: 20
; ScratchSize: 0
; MemoryBound: 0
; FloatMode: 240
; IeeeMode: 1
; LDSByteSize: 0 bytes/workgroup (compile time only)
; SGPRBlocks: 3
; VGPRBlocks: 2
; NumSGPRsForWavesPerEU: 30
; NumVGPRsForWavesPerEU: 20
; AccumOffset: 20
; Occupancy: 8
; WaveLimiterHint : 0
; COMPUTE_PGM_RSRC2:SCRATCH_EN: 0
; COMPUTE_PGM_RSRC2:USER_SGPR: 6
; COMPUTE_PGM_RSRC2:TRAP_HANDLER: 0
; COMPUTE_PGM_RSRC2:TGID_X_EN: 1
; COMPUTE_PGM_RSRC2:TGID_Y_EN: 0
; COMPUTE_PGM_RSRC2:TGID_Z_EN: 0
; COMPUTE_PGM_RSRC2:TIDIG_COMP_CNT: 0
; COMPUTE_PGM_RSRC3_GFX90A:ACCUM_OFFSET: 4
; COMPUTE_PGM_RSRC3_GFX90A:TG_SPLIT: 0
	.section	.text._ZN9rocsparseL32bsr2csr_block_per_row_2_7_kernelILj256ELj2E21rocsparse_complex_numIfEllEEv20rocsparse_direction_T3_S4_21rocsparse_index_base_PKT1_PKT2_PKS4_S4_S5_PS6_PS9_PS4_,"axG",@progbits,_ZN9rocsparseL32bsr2csr_block_per_row_2_7_kernelILj256ELj2E21rocsparse_complex_numIfEllEEv20rocsparse_direction_T3_S4_21rocsparse_index_base_PKT1_PKT2_PKS4_S4_S5_PS6_PS9_PS4_,comdat
	.globl	_ZN9rocsparseL32bsr2csr_block_per_row_2_7_kernelILj256ELj2E21rocsparse_complex_numIfEllEEv20rocsparse_direction_T3_S4_21rocsparse_index_base_PKT1_PKT2_PKS4_S4_S5_PS6_PS9_PS4_ ; -- Begin function _ZN9rocsparseL32bsr2csr_block_per_row_2_7_kernelILj256ELj2E21rocsparse_complex_numIfEllEEv20rocsparse_direction_T3_S4_21rocsparse_index_base_PKT1_PKT2_PKS4_S4_S5_PS6_PS9_PS4_
	.p2align	8
	.type	_ZN9rocsparseL32bsr2csr_block_per_row_2_7_kernelILj256ELj2E21rocsparse_complex_numIfEllEEv20rocsparse_direction_T3_S4_21rocsparse_index_base_PKT1_PKT2_PKS4_S4_S5_PS6_PS9_PS4_,@function
_ZN9rocsparseL32bsr2csr_block_per_row_2_7_kernelILj256ELj2E21rocsparse_complex_numIfEllEEv20rocsparse_direction_T3_S4_21rocsparse_index_base_PKT1_PKT2_PKS4_S4_S5_PS6_PS9_PS4_: ; @_ZN9rocsparseL32bsr2csr_block_per_row_2_7_kernelILj256ELj2E21rocsparse_complex_numIfEllEEv20rocsparse_direction_T3_S4_21rocsparse_index_base_PKT1_PKT2_PKS4_S4_S5_PS6_PS9_PS4_
; %bb.0:
	s_load_dwordx2 s[2:3], s[4:5], 0x28
	s_load_dword s12, s[4:5], 0x40
	s_load_dwordx2 s[0:1], s[4:5], 0x50
	s_mov_b32 s15, 0
	s_mov_b32 s7, s15
	s_lshl_b64 s[8:9], s[6:7], 3
	s_waitcnt lgkmcnt(0)
	s_add_u32 s2, s2, s8
	s_addc_u32 s3, s3, s9
	s_load_dwordx4 s[8:11], s[2:3], 0x0
	v_or_b32_e32 v1, s6, v0
	s_mov_b32 s13, s15
	v_cmp_eq_u32_e32 vcc, 0, v1
	s_and_saveexec_b64 s[2:3], vcc
	s_cbranch_execz .LBB196_2
; %bb.1:
	v_mov_b32_e32 v1, 0
	v_pk_mov_b32 v[2:3], s[12:13], s[12:13] op_sel:[0,1]
	global_store_dwordx2 v1, v[2:3], s[0:1]
.LBB196_2:
	s_or_b64 exec, exec, s[2:3]
	s_load_dword s14, s[4:5], 0x18
	v_and_b32_e32 v16, 1, v0
	v_lshrrev_b32_e32 v4, 1, v0
	v_mov_b32_e32 v6, s1
	s_waitcnt lgkmcnt(0)
	s_sub_u32 s16, s8, s14
	s_subb_u32 s17, s9, 0
	s_sub_u32 s10, s10, s14
	s_subb_u32 s11, s11, 0
	s_lshl_b64 s[18:19], s[16:17], 2
	s_sub_u32 s20, s10, s16
	s_subb_u32 s21, s11, s17
	s_lshl_b64 s[2:3], s[20:21], 1
	v_mov_b32_e32 v0, s20
	s_add_u32 s20, s2, s12
	s_addc_u32 s3, s3, 0
	s_add_u32 s18, s20, s18
	v_alignbit_b32 v0, s21, v0, 31
	s_addc_u32 s19, s3, s19
	s_lshl_b64 s[6:7], s[6:7], 4
	v_mul_lo_u32 v5, v0, v16
	v_pk_mov_b32 v[0:1], s[18:19], s[18:19] op_sel:[0,1]
	v_lshl_or_b32 v2, v16, 3, s6
	v_mad_u64_u32 v[0:1], s[18:19], s2, v16, v[0:1]
	v_mov_b32_e32 v3, s7
	v_add_co_u32_e32 v2, vcc, s0, v2
	v_add_u32_e32 v1, v5, v1
	v_addc_co_u32_e32 v3, vcc, v6, v3, vcc
	global_store_dwordx2 v[2:3], v[0:1], off offset:8
	v_mov_b32_e32 v1, s17
	v_add_co_u32_e32 v0, vcc, s16, v4
	v_addc_co_u32_e32 v1, vcc, 0, v1, vcc
	v_cmp_gt_i64_e32 vcc, s[10:11], v[0:1]
	s_and_saveexec_b64 s[0:1], vcc
	s_cbranch_execz .LBB196_7
; %bb.3:
	s_load_dwordx2 s[18:19], s[4:5], 0x30
	s_load_dwordx2 s[20:21], s[4:5], 0x48
	s_load_dword s3, s[4:5], 0x0
	s_load_dwordx2 s[6:7], s[4:5], 0x20
	s_load_dwordx2 s[22:23], s[4:5], 0x58
	v_lshlrev_b64 v[2:3], 3, v[0:1]
	s_waitcnt lgkmcnt(0)
	v_mov_b32_e32 v7, s19
	s_cmp_eq_u32 s3, 0
	s_cselect_b64 s[0:1], -1, 0
	s_cmp_lg_u32 s3, 0
	s_cselect_b64 s[4:5], -1, 0
	s_add_u32 s16, s6, 16
	v_add_co_u32_e32 v2, vcc, s18, v2
	v_mul_lo_u32 v6, s2, v16
	s_addc_u32 s17, s7, 0
	v_addc_co_u32_e32 v3, vcc, v7, v3, vcc
	s_lshl_b64 s[2:3], s[8:9], 2
	v_mov_b32_e32 v7, s3
	v_add_co_u32_e32 v6, vcc, s2, v6
	v_addc_co_u32_e32 v5, vcc, v5, v7, vcc
	v_lshlrev_b32_e32 v4, 1, v4
	v_add_co_u32_e32 v4, vcc, v6, v4
	v_addc_co_u32_e32 v5, vcc, 0, v5, vcc
	s_lshl_b64 s[2:3], s[14:15], 2
	v_mov_b32_e32 v6, s3
	v_subrev_co_u32_e32 v4, vcc, s2, v4
	v_subb_co_u32_e32 v5, vcc, v5, v6, vcc
	v_lshlrev_b64 v[4:5], 3, v[4:5]
	v_add_co_u32_e32 v10, vcc, 8, v4
	v_addc_co_u32_e32 v11, vcc, 0, v5, vcc
	v_mov_b32_e32 v5, s21
	v_add_co_u32_e32 v4, vcc, s20, v10
	v_addc_co_u32_e32 v5, vcc, v5, v11, vcc
	v_mov_b32_e32 v12, s23
	v_add_co_u32_e32 v10, vcc, s22, v10
	v_addc_co_u32_e32 v11, vcc, v12, v11, vcc
	v_lshlrev_b64 v[12:13], 5, v[0:1]
	v_lshl_or_b32 v12, v16, 4, v12
	v_mov_b32_e32 v17, s7
	v_add_co_u32_e32 v12, vcc, s6, v12
	v_addc_co_u32_e32 v13, vcc, v13, v17, vcc
	v_lshlrev_b64 v[6:7], 2, v[0:1]
	v_add_co_u32_e32 v12, vcc, 8, v12
	v_or_b32_e32 v8, v6, v16
	v_mov_b32_e32 v9, v7
	v_addc_co_u32_e32 v13, vcc, 0, v13, vcc
	v_lshl_or_b32 v6, v16, 1, v6
	s_mov_b64 s[8:9], 0
	v_mov_b32_e32 v18, s15
	v_mov_b32_e32 v19, s13
	s_branch .LBB196_5
.LBB196_4:                              ;   in Loop: Header=BB196_5 Depth=1
	global_load_dwordx2 v[14:15], v[14:15], off
	v_add_co_u32_e32 v0, vcc, 0x80, v0
	v_addc_co_u32_e32 v1, vcc, 0, v1, vcc
	v_add_co_u32_e32 v2, vcc, 0x400, v2
	v_addc_co_u32_e32 v3, vcc, 0, v3, vcc
	v_cmp_le_i64_e32 vcc, s[10:11], v[0:1]
	s_or_b64 s[8:9], vcc, s[8:9]
	s_waitcnt vmcnt(0)
	global_store_dwordx2 v[4:5], v[14:15], off
	v_add_co_u32_e32 v4, vcc, 0x800, v4
	v_addc_co_u32_e32 v5, vcc, 0, v5, vcc
	v_add_co_u32_e32 v8, vcc, 0x200, v8
	v_addc_co_u32_e32 v9, vcc, 0, v9, vcc
	;; [unrolled: 2-line block ×5, first 2 shown]
	s_andn2_b64 exec, exec, s[8:9]
	s_cbranch_execz .LBB196_7
.LBB196_5:                              ; =>This Inner Loop Header: Depth=1
	global_load_dwordx2 v[14:15], v[2:3], off
	v_cndmask_b32_e64 v21, v9, v7, s[0:1]
	v_cndmask_b32_e64 v20, v8, v6, s[0:1]
	v_lshlrev_b64 v[20:21], 3, v[20:21]
	v_add_co_u32_e32 v20, vcc, s6, v20
	v_addc_co_u32_e32 v21, vcc, v17, v21, vcc
	global_load_dwordx2 v[22:23], v[20:21], off
	s_andn2_b64 vcc, exec, s[4:5]
	s_waitcnt vmcnt(1)
	v_subrev_co_u32_e64 v14, s[2:3], s14, v14
	v_subb_co_u32_e64 v15, s[2:3], v15, v18, s[2:3]
	v_lshlrev_b64 v[14:15], 1, v[14:15]
	v_add_co_u32_e64 v20, s[2:3], s12, v14
	v_addc_co_u32_e64 v21, s[2:3], v15, v19, s[2:3]
	s_waitcnt vmcnt(0)
	global_store_dwordx2 v[4:5], v[22:23], off offset:-8
	v_add_co_u32_e64 v22, s[2:3], 1, v20
	v_addc_co_u32_e64 v23, s[2:3], 0, v21, s[2:3]
	v_pk_mov_b32 v[14:15], v[12:13], v[12:13] op_sel:[0,1]
	global_store_dwordx4 v[10:11], v[20:23], off offset:-8
	s_cbranch_vccnz .LBB196_4
; %bb.6:                                ;   in Loop: Header=BB196_5 Depth=1
	v_lshlrev_b64 v[14:15], 5, v[0:1]
	v_lshl_or_b32 v14, v16, 3, v14
	v_mov_b32_e32 v20, s17
	v_add_co_u32_e32 v14, vcc, s16, v14
	v_addc_co_u32_e32 v15, vcc, v20, v15, vcc
	s_branch .LBB196_4
.LBB196_7:
	s_endpgm
	.section	.rodata,"a",@progbits
	.p2align	6, 0x0
	.amdhsa_kernel _ZN9rocsparseL32bsr2csr_block_per_row_2_7_kernelILj256ELj2E21rocsparse_complex_numIfEllEEv20rocsparse_direction_T3_S4_21rocsparse_index_base_PKT1_PKT2_PKS4_S4_S5_PS6_PS9_PS4_
		.amdhsa_group_segment_fixed_size 0
		.amdhsa_private_segment_fixed_size 0
		.amdhsa_kernarg_size 96
		.amdhsa_user_sgpr_count 6
		.amdhsa_user_sgpr_private_segment_buffer 1
		.amdhsa_user_sgpr_dispatch_ptr 0
		.amdhsa_user_sgpr_queue_ptr 0
		.amdhsa_user_sgpr_kernarg_segment_ptr 1
		.amdhsa_user_sgpr_dispatch_id 0
		.amdhsa_user_sgpr_flat_scratch_init 0
		.amdhsa_user_sgpr_kernarg_preload_length 0
		.amdhsa_user_sgpr_kernarg_preload_offset 0
		.amdhsa_user_sgpr_private_segment_size 0
		.amdhsa_uses_dynamic_stack 0
		.amdhsa_system_sgpr_private_segment_wavefront_offset 0
		.amdhsa_system_sgpr_workgroup_id_x 1
		.amdhsa_system_sgpr_workgroup_id_y 0
		.amdhsa_system_sgpr_workgroup_id_z 0
		.amdhsa_system_sgpr_workgroup_info 0
		.amdhsa_system_vgpr_workitem_id 0
		.amdhsa_next_free_vgpr 24
		.amdhsa_next_free_sgpr 24
		.amdhsa_accum_offset 24
		.amdhsa_reserve_vcc 1
		.amdhsa_reserve_flat_scratch 0
		.amdhsa_float_round_mode_32 0
		.amdhsa_float_round_mode_16_64 0
		.amdhsa_float_denorm_mode_32 3
		.amdhsa_float_denorm_mode_16_64 3
		.amdhsa_dx10_clamp 1
		.amdhsa_ieee_mode 1
		.amdhsa_fp16_overflow 0
		.amdhsa_tg_split 0
		.amdhsa_exception_fp_ieee_invalid_op 0
		.amdhsa_exception_fp_denorm_src 0
		.amdhsa_exception_fp_ieee_div_zero 0
		.amdhsa_exception_fp_ieee_overflow 0
		.amdhsa_exception_fp_ieee_underflow 0
		.amdhsa_exception_fp_ieee_inexact 0
		.amdhsa_exception_int_div_zero 0
	.end_amdhsa_kernel
	.section	.text._ZN9rocsparseL32bsr2csr_block_per_row_2_7_kernelILj256ELj2E21rocsparse_complex_numIfEllEEv20rocsparse_direction_T3_S4_21rocsparse_index_base_PKT1_PKT2_PKS4_S4_S5_PS6_PS9_PS4_,"axG",@progbits,_ZN9rocsparseL32bsr2csr_block_per_row_2_7_kernelILj256ELj2E21rocsparse_complex_numIfEllEEv20rocsparse_direction_T3_S4_21rocsparse_index_base_PKT1_PKT2_PKS4_S4_S5_PS6_PS9_PS4_,comdat
.Lfunc_end196:
	.size	_ZN9rocsparseL32bsr2csr_block_per_row_2_7_kernelILj256ELj2E21rocsparse_complex_numIfEllEEv20rocsparse_direction_T3_S4_21rocsparse_index_base_PKT1_PKT2_PKS4_S4_S5_PS6_PS9_PS4_, .Lfunc_end196-_ZN9rocsparseL32bsr2csr_block_per_row_2_7_kernelILj256ELj2E21rocsparse_complex_numIfEllEEv20rocsparse_direction_T3_S4_21rocsparse_index_base_PKT1_PKT2_PKS4_S4_S5_PS6_PS9_PS4_
                                        ; -- End function
	.section	.AMDGPU.csdata,"",@progbits
; Kernel info:
; codeLenInByte = 824
; NumSgprs: 28
; NumVgprs: 24
; NumAgprs: 0
; TotalNumVgprs: 24
; ScratchSize: 0
; MemoryBound: 0
; FloatMode: 240
; IeeeMode: 1
; LDSByteSize: 0 bytes/workgroup (compile time only)
; SGPRBlocks: 3
; VGPRBlocks: 2
; NumSGPRsForWavesPerEU: 28
; NumVGPRsForWavesPerEU: 24
; AccumOffset: 24
; Occupancy: 8
; WaveLimiterHint : 0
; COMPUTE_PGM_RSRC2:SCRATCH_EN: 0
; COMPUTE_PGM_RSRC2:USER_SGPR: 6
; COMPUTE_PGM_RSRC2:TRAP_HANDLER: 0
; COMPUTE_PGM_RSRC2:TGID_X_EN: 1
; COMPUTE_PGM_RSRC2:TGID_Y_EN: 0
; COMPUTE_PGM_RSRC2:TGID_Z_EN: 0
; COMPUTE_PGM_RSRC2:TIDIG_COMP_CNT: 0
; COMPUTE_PGM_RSRC3_GFX90A:ACCUM_OFFSET: 5
; COMPUTE_PGM_RSRC3_GFX90A:TG_SPLIT: 0
	.section	.text._ZN9rocsparseL32bsr2csr_block_per_row_2_7_kernelILj256ELj3E21rocsparse_complex_numIfEllEEv20rocsparse_direction_T3_S4_21rocsparse_index_base_PKT1_PKT2_PKS4_S4_S5_PS6_PS9_PS4_,"axG",@progbits,_ZN9rocsparseL32bsr2csr_block_per_row_2_7_kernelILj256ELj3E21rocsparse_complex_numIfEllEEv20rocsparse_direction_T3_S4_21rocsparse_index_base_PKT1_PKT2_PKS4_S4_S5_PS6_PS9_PS4_,comdat
	.globl	_ZN9rocsparseL32bsr2csr_block_per_row_2_7_kernelILj256ELj3E21rocsparse_complex_numIfEllEEv20rocsparse_direction_T3_S4_21rocsparse_index_base_PKT1_PKT2_PKS4_S4_S5_PS6_PS9_PS4_ ; -- Begin function _ZN9rocsparseL32bsr2csr_block_per_row_2_7_kernelILj256ELj3E21rocsparse_complex_numIfEllEEv20rocsparse_direction_T3_S4_21rocsparse_index_base_PKT1_PKT2_PKS4_S4_S5_PS6_PS9_PS4_
	.p2align	8
	.type	_ZN9rocsparseL32bsr2csr_block_per_row_2_7_kernelILj256ELj3E21rocsparse_complex_numIfEllEEv20rocsparse_direction_T3_S4_21rocsparse_index_base_PKT1_PKT2_PKS4_S4_S5_PS6_PS9_PS4_,@function
_ZN9rocsparseL32bsr2csr_block_per_row_2_7_kernelILj256ELj3E21rocsparse_complex_numIfEllEEv20rocsparse_direction_T3_S4_21rocsparse_index_base_PKT1_PKT2_PKS4_S4_S5_PS6_PS9_PS4_: ; @_ZN9rocsparseL32bsr2csr_block_per_row_2_7_kernelILj256ELj3E21rocsparse_complex_numIfEllEEv20rocsparse_direction_T3_S4_21rocsparse_index_base_PKT1_PKT2_PKS4_S4_S5_PS6_PS9_PS4_
; %bb.0:
	s_load_dwordx2 s[2:3], s[4:5], 0x28
	s_load_dword s12, s[4:5], 0x40
	s_load_dwordx2 s[0:1], s[4:5], 0x50
	s_mov_b32 s7, 0
	s_lshl_b64 s[8:9], s[6:7], 3
	s_waitcnt lgkmcnt(0)
	s_add_u32 s2, s2, s8
	v_or_b32_e32 v1, s6, v0
	s_addc_u32 s3, s3, s9
	v_cmp_eq_u32_e32 vcc, 0, v1
	s_and_saveexec_b64 s[8:9], vcc
	s_cbranch_execz .LBB197_2
; %bb.1:
	v_mov_b32_e32 v2, s12
	v_mov_b32_e32 v3, 0
	global_store_dwordx2 v3, v[2:3], s[0:1]
.LBB197_2:
	s_or_b64 exec, exec, s[8:9]
	v_and_b32_e32 v12, 3, v0
	v_cmp_ne_u32_e32 vcc, 3, v12
	s_and_saveexec_b64 s[8:9], vcc
	s_cbranch_execz .LBB197_6
; %bb.3:
	s_load_dwordx4 s[8:11], s[2:3], 0x0
	s_load_dword s7, s[4:5], 0x18
	v_lshrrev_b32_e32 v8, 2, v0
	v_lshlrev_b32_e32 v0, 3, v12
	s_mov_b32 s2, 0
	s_waitcnt lgkmcnt(0)
	s_sub_u32 s16, s8, s7
	s_subb_u32 s17, s9, 0
	s_sub_u32 s10, s10, s7
	s_mul_i32 s3, s17, 9
	s_mul_hi_u32 s13, s16, 9
	s_subb_u32 s11, s11, 0
	s_add_i32 s15, s13, s3
	s_sub_u32 s3, s10, s16
	s_subb_u32 s13, s11, s17
	s_mul_i32 s13, s13, 3
	s_mul_hi_u32 s18, s3, 3
	s_add_i32 s18, s18, s13
	s_mul_i32 s3, s3, 3
	s_add_u32 s19, s3, s12
	s_mul_i32 s14, s16, 9
	v_mul_lo_u32 v1, s18, v12
	s_addc_u32 s18, s18, 0
	s_add_u32 s14, s19, s14
	s_addc_u32 s15, s18, s15
	v_pk_mov_b32 v[2:3], s[14:15], s[14:15] op_sel:[0,1]
	v_mad_u64_u32 v[2:3], s[14:15], s3, v12, v[2:3]
	s_mul_hi_u32 s14, s6, 24
	s_mul_i32 s6, s6, 24
	s_add_u32 s0, s0, s6
	v_add_u32_e32 v3, v1, v3
	s_addc_u32 s1, s1, s14
	global_store_dwordx2 v0, v[2:3], s[0:1] offset:8
	v_mov_b32_e32 v3, s17
	v_add_co_u32_e32 v2, vcc, s16, v8
	v_addc_co_u32_e32 v3, vcc, 0, v3, vcc
	v_cmp_gt_i64_e32 vcc, s[10:11], v[2:3]
	s_and_b64 exec, exec, vcc
	s_cbranch_execz .LBB197_6
; %bb.4:
	s_load_dwordx2 s[14:15], s[4:5], 0x30
	s_load_dwordx2 s[16:17], s[4:5], 0x48
	;; [unrolled: 1-line block ×3, first 2 shown]
	s_load_dword s6, s[4:5], 0x0
	s_load_dwordx2 s[20:21], s[4:5], 0x58
	v_mad_u64_u32 v[10:11], s[0:1], s3, v12, 0
	s_movk_i32 s3, 0x48
	s_waitcnt lgkmcnt(0)
	v_pk_mov_b32 v[6:7], s[18:19], s[18:19] op_sel:[0,1]
	v_mad_u64_u32 v[6:7], s[4:5], v2, s3, v[6:7]
	v_add_u32_e32 v11, v11, v1
	v_lshlrev_b64 v[4:5], 3, v[2:3]
	v_mov_b32_e32 v14, v7
	v_mov_b32_e32 v1, s15
	v_add_co_u32_e32 v4, vcc, s14, v4
	v_mad_u64_u32 v[14:15], s[4:5], v3, s3, v[14:15]
	v_mad_u64_u32 v[10:11], s[4:5], s8, 9, v[10:11]
	v_addc_co_u32_e32 v5, vcc, v1, v5, vcc
	v_mov_b32_e32 v1, v14
	v_mov_b32_e32 v14, v11
	v_mad_u64_u32 v[14:15], s[4:5], s9, 9, v[14:15]
	v_mov_b32_e32 v11, v14
	v_mad_u64_u32 v[8:9], s[4:5], v8, 3, v[10:11]
	s_mul_hi_u32 s3, s7, 9
	s_mul_i32 s4, s7, 9
	v_mov_b32_e32 v7, s3
	v_subrev_co_u32_e32 v8, vcc, s4, v8
	v_subb_co_u32_e32 v9, vcc, v9, v7, vcc
	v_lshlrev_b64 v[8:9], 3, v[8:9]
	v_add_co_u32_e32 v7, vcc, 8, v8
	v_addc_co_u32_e32 v11, vcc, 0, v9, vcc
	v_mov_b32_e32 v9, s17
	v_add_co_u32_e32 v8, vcc, s16, v7
	v_addc_co_u32_e32 v9, vcc, v9, v11, vcc
	s_cmp_eq_u32 s6, 0
	v_mov_b32_e32 v13, s21
	v_add_co_u32_e32 v10, vcc, s20, v7
	s_mov_b32 s13, s2
	s_cselect_b64 s[0:1], -1, 0
	v_addc_co_u32_e32 v11, vcc, v13, v11, vcc
	v_mul_hi_u32_u24_e32 v7, 24, v12
	v_mul_u32_u24_e32 v12, 24, v12
	s_mov_b64 s[4:5], 0
	v_mov_b32_e32 v13, s2
	s_movk_i32 s6, 0x200
	s_movk_i32 s8, 0x1200
.LBB197_5:                              ; =>This Inner Loop Header: Depth=1
	v_add_co_u32_e32 v16, vcc, v6, v0
	v_addc_co_u32_e32 v17, vcc, 0, v1, vcc
	v_add_co_u32_e32 v20, vcc, v6, v12
	v_addc_co_u32_e32 v21, vcc, v1, v7, vcc
	;; [unrolled: 2-line block ×5, first 2 shown]
	global_load_dwordx2 v[18:19], v[4:5], off
	v_cndmask_b32_e64 v14, v16, v20, s[0:1]
	v_add_co_u32_e32 v16, vcc, 48, v16
	v_cndmask_b32_e64 v15, v17, v21, s[0:1]
	v_addc_co_u32_e32 v17, vcc, 0, v17, vcc
	v_cndmask_b32_e64 v21, v25, v23, s[0:1]
	v_cndmask_b32_e64 v20, v24, v22, s[0:1]
	global_load_dwordx2 v[14:15], v[14:15], off
	v_cndmask_b32_e64 v23, v17, v27, s[0:1]
	v_cndmask_b32_e64 v22, v16, v26, s[0:1]
	global_load_dwordx2 v[16:17], v[20:21], off
	global_load_dwordx2 v[24:25], v[22:23], off
	v_add_co_u32_e32 v2, vcc, 64, v2
	v_addc_co_u32_e32 v3, vcc, 0, v3, vcc
	v_add_co_u32_e32 v4, vcc, s6, v4
	v_addc_co_u32_e32 v5, vcc, 0, v5, vcc
	;; [unrolled: 2-line block ×3, first 2 shown]
	v_cmp_le_i64_e64 s[2:3], s[10:11], v[2:3]
	s_or_b64 s[4:5], s[2:3], s[4:5]
	s_waitcnt vmcnt(1)
	global_store_dwordx4 v[8:9], v[14:17], off offset:-8
	s_waitcnt vmcnt(1)
	global_store_dwordx2 v[8:9], v[24:25], off offset:8
	v_subrev_co_u32_e32 v18, vcc, s7, v18
	v_subb_co_u32_e32 v19, vcc, v19, v13, vcc
	v_mad_u64_u32 v[20:21], s[2:3], v18, 3, s[12:13]
	v_mov_b32_e32 v22, v21
	v_add_co_u32_e32 v8, vcc, 0x600, v8
	v_mad_u64_u32 v[22:23], s[2:3], v19, 3, v[22:23]
	v_addc_co_u32_e32 v9, vcc, 0, v9, vcc
	v_mov_b32_e32 v18, v20
	v_mov_b32_e32 v15, v22
	v_add_co_u32_e64 v14, s[2:3], 2, v20
	v_add_co_u32_e32 v20, vcc, 1, v20
	v_mov_b32_e32 v19, v22
	v_addc_co_u32_e32 v21, vcc, 0, v15, vcc
	v_addc_co_u32_e64 v15, vcc, 0, v15, s[2:3]
	global_store_dwordx4 v[10:11], v[18:21], off offset:-8
	global_store_dwordx2 v[10:11], v[14:15], off offset:8
	v_add_co_u32_e32 v10, vcc, 0x600, v10
	v_addc_co_u32_e32 v11, vcc, 0, v11, vcc
	s_andn2_b64 exec, exec, s[4:5]
	s_cbranch_execnz .LBB197_5
.LBB197_6:
	s_endpgm
	.section	.rodata,"a",@progbits
	.p2align	6, 0x0
	.amdhsa_kernel _ZN9rocsparseL32bsr2csr_block_per_row_2_7_kernelILj256ELj3E21rocsparse_complex_numIfEllEEv20rocsparse_direction_T3_S4_21rocsparse_index_base_PKT1_PKT2_PKS4_S4_S5_PS6_PS9_PS4_
		.amdhsa_group_segment_fixed_size 0
		.amdhsa_private_segment_fixed_size 0
		.amdhsa_kernarg_size 96
		.amdhsa_user_sgpr_count 6
		.amdhsa_user_sgpr_private_segment_buffer 1
		.amdhsa_user_sgpr_dispatch_ptr 0
		.amdhsa_user_sgpr_queue_ptr 0
		.amdhsa_user_sgpr_kernarg_segment_ptr 1
		.amdhsa_user_sgpr_dispatch_id 0
		.amdhsa_user_sgpr_flat_scratch_init 0
		.amdhsa_user_sgpr_kernarg_preload_length 0
		.amdhsa_user_sgpr_kernarg_preload_offset 0
		.amdhsa_user_sgpr_private_segment_size 0
		.amdhsa_uses_dynamic_stack 0
		.amdhsa_system_sgpr_private_segment_wavefront_offset 0
		.amdhsa_system_sgpr_workgroup_id_x 1
		.amdhsa_system_sgpr_workgroup_id_y 0
		.amdhsa_system_sgpr_workgroup_id_z 0
		.amdhsa_system_sgpr_workgroup_info 0
		.amdhsa_system_vgpr_workitem_id 0
		.amdhsa_next_free_vgpr 28
		.amdhsa_next_free_sgpr 22
		.amdhsa_accum_offset 28
		.amdhsa_reserve_vcc 1
		.amdhsa_reserve_flat_scratch 0
		.amdhsa_float_round_mode_32 0
		.amdhsa_float_round_mode_16_64 0
		.amdhsa_float_denorm_mode_32 3
		.amdhsa_float_denorm_mode_16_64 3
		.amdhsa_dx10_clamp 1
		.amdhsa_ieee_mode 1
		.amdhsa_fp16_overflow 0
		.amdhsa_tg_split 0
		.amdhsa_exception_fp_ieee_invalid_op 0
		.amdhsa_exception_fp_denorm_src 0
		.amdhsa_exception_fp_ieee_div_zero 0
		.amdhsa_exception_fp_ieee_overflow 0
		.amdhsa_exception_fp_ieee_underflow 0
		.amdhsa_exception_fp_ieee_inexact 0
		.amdhsa_exception_int_div_zero 0
	.end_amdhsa_kernel
	.section	.text._ZN9rocsparseL32bsr2csr_block_per_row_2_7_kernelILj256ELj3E21rocsparse_complex_numIfEllEEv20rocsparse_direction_T3_S4_21rocsparse_index_base_PKT1_PKT2_PKS4_S4_S5_PS6_PS9_PS4_,"axG",@progbits,_ZN9rocsparseL32bsr2csr_block_per_row_2_7_kernelILj256ELj3E21rocsparse_complex_numIfEllEEv20rocsparse_direction_T3_S4_21rocsparse_index_base_PKT1_PKT2_PKS4_S4_S5_PS6_PS9_PS4_,comdat
.Lfunc_end197:
	.size	_ZN9rocsparseL32bsr2csr_block_per_row_2_7_kernelILj256ELj3E21rocsparse_complex_numIfEllEEv20rocsparse_direction_T3_S4_21rocsparse_index_base_PKT1_PKT2_PKS4_S4_S5_PS6_PS9_PS4_, .Lfunc_end197-_ZN9rocsparseL32bsr2csr_block_per_row_2_7_kernelILj256ELj3E21rocsparse_complex_numIfEllEEv20rocsparse_direction_T3_S4_21rocsparse_index_base_PKT1_PKT2_PKS4_S4_S5_PS6_PS9_PS4_
                                        ; -- End function
	.section	.AMDGPU.csdata,"",@progbits
; Kernel info:
; codeLenInByte = 820
; NumSgprs: 26
; NumVgprs: 28
; NumAgprs: 0
; TotalNumVgprs: 28
; ScratchSize: 0
; MemoryBound: 0
; FloatMode: 240
; IeeeMode: 1
; LDSByteSize: 0 bytes/workgroup (compile time only)
; SGPRBlocks: 3
; VGPRBlocks: 3
; NumSGPRsForWavesPerEU: 26
; NumVGPRsForWavesPerEU: 28
; AccumOffset: 28
; Occupancy: 8
; WaveLimiterHint : 0
; COMPUTE_PGM_RSRC2:SCRATCH_EN: 0
; COMPUTE_PGM_RSRC2:USER_SGPR: 6
; COMPUTE_PGM_RSRC2:TRAP_HANDLER: 0
; COMPUTE_PGM_RSRC2:TGID_X_EN: 1
; COMPUTE_PGM_RSRC2:TGID_Y_EN: 0
; COMPUTE_PGM_RSRC2:TGID_Z_EN: 0
; COMPUTE_PGM_RSRC2:TIDIG_COMP_CNT: 0
; COMPUTE_PGM_RSRC3_GFX90A:ACCUM_OFFSET: 6
; COMPUTE_PGM_RSRC3_GFX90A:TG_SPLIT: 0
	.section	.text._ZN9rocsparseL32bsr2csr_block_per_row_2_7_kernelILj256ELj4E21rocsparse_complex_numIfEllEEv20rocsparse_direction_T3_S4_21rocsparse_index_base_PKT1_PKT2_PKS4_S4_S5_PS6_PS9_PS4_,"axG",@progbits,_ZN9rocsparseL32bsr2csr_block_per_row_2_7_kernelILj256ELj4E21rocsparse_complex_numIfEllEEv20rocsparse_direction_T3_S4_21rocsparse_index_base_PKT1_PKT2_PKS4_S4_S5_PS6_PS9_PS4_,comdat
	.globl	_ZN9rocsparseL32bsr2csr_block_per_row_2_7_kernelILj256ELj4E21rocsparse_complex_numIfEllEEv20rocsparse_direction_T3_S4_21rocsparse_index_base_PKT1_PKT2_PKS4_S4_S5_PS6_PS9_PS4_ ; -- Begin function _ZN9rocsparseL32bsr2csr_block_per_row_2_7_kernelILj256ELj4E21rocsparse_complex_numIfEllEEv20rocsparse_direction_T3_S4_21rocsparse_index_base_PKT1_PKT2_PKS4_S4_S5_PS6_PS9_PS4_
	.p2align	8
	.type	_ZN9rocsparseL32bsr2csr_block_per_row_2_7_kernelILj256ELj4E21rocsparse_complex_numIfEllEEv20rocsparse_direction_T3_S4_21rocsparse_index_base_PKT1_PKT2_PKS4_S4_S5_PS6_PS9_PS4_,@function
_ZN9rocsparseL32bsr2csr_block_per_row_2_7_kernelILj256ELj4E21rocsparse_complex_numIfEllEEv20rocsparse_direction_T3_S4_21rocsparse_index_base_PKT1_PKT2_PKS4_S4_S5_PS6_PS9_PS4_: ; @_ZN9rocsparseL32bsr2csr_block_per_row_2_7_kernelILj256ELj4E21rocsparse_complex_numIfEllEEv20rocsparse_direction_T3_S4_21rocsparse_index_base_PKT1_PKT2_PKS4_S4_S5_PS6_PS9_PS4_
; %bb.0:
	s_load_dwordx2 s[2:3], s[4:5], 0x28
	s_load_dword s12, s[4:5], 0x40
	s_load_dwordx2 s[0:1], s[4:5], 0x50
	s_mov_b32 s15, 0
	s_mov_b32 s7, s15
	s_lshl_b64 s[8:9], s[6:7], 3
	s_waitcnt lgkmcnt(0)
	s_add_u32 s2, s2, s8
	s_addc_u32 s3, s3, s9
	s_load_dwordx4 s[8:11], s[2:3], 0x0
	v_or_b32_e32 v1, s6, v0
	s_mov_b32 s13, s15
	v_cmp_eq_u32_e32 vcc, 0, v1
	s_and_saveexec_b64 s[2:3], vcc
	s_cbranch_execz .LBB198_2
; %bb.1:
	v_mov_b32_e32 v1, 0
	v_pk_mov_b32 v[2:3], s[12:13], s[12:13] op_sel:[0,1]
	global_store_dwordx2 v1, v[2:3], s[0:1]
.LBB198_2:
	s_or_b64 exec, exec, s[2:3]
	s_load_dword s14, s[4:5], 0x18
	v_and_b32_e32 v20, 3, v0
	v_mov_b32_e32 v6, s1
	v_lshrrev_b32_e32 v0, 2, v0
	s_waitcnt lgkmcnt(0)
	s_sub_u32 s16, s8, s14
	s_subb_u32 s17, s9, 0
	s_sub_u32 s10, s10, s14
	s_subb_u32 s11, s11, 0
	s_lshl_b64 s[18:19], s[16:17], 4
	s_sub_u32 s20, s10, s16
	s_subb_u32 s21, s11, s17
	s_lshl_b64 s[2:3], s[20:21], 2
	v_mov_b32_e32 v1, s20
	s_add_u32 s20, s2, s12
	s_addc_u32 s3, s3, 0
	s_add_u32 s18, s20, s18
	s_addc_u32 s19, s3, s19
	s_lshl_b64 s[6:7], s[6:7], 5
	v_alignbit_b32 v1, s21, v1, 30
	v_pk_mov_b32 v[2:3], s[18:19], s[18:19] op_sel:[0,1]
	v_lshl_or_b32 v4, v20, 3, s6
	v_mul_lo_u32 v1, v1, v20
	v_mad_u64_u32 v[2:3], s[18:19], s2, v20, v[2:3]
	v_mov_b32_e32 v5, s7
	v_add_co_u32_e32 v4, vcc, s0, v4
	v_add_u32_e32 v3, v1, v3
	v_addc_co_u32_e32 v5, vcc, v6, v5, vcc
	global_store_dwordx2 v[4:5], v[2:3], off offset:8
	v_mov_b32_e32 v2, s17
	v_add_co_u32_e32 v4, vcc, s16, v0
	v_addc_co_u32_e32 v5, vcc, 0, v2, vcc
	v_cmp_gt_i64_e32 vcc, s[10:11], v[4:5]
	s_and_saveexec_b64 s[0:1], vcc
	s_cbranch_execz .LBB198_15
; %bb.3:
	s_load_dwordx2 s[24:25], s[4:5], 0x30
	s_load_dwordx2 s[26:27], s[4:5], 0x48
	;; [unrolled: 1-line block ×3, first 2 shown]
	s_load_dword s3, s[4:5], 0x0
	s_load_dwordx2 s[28:29], s[4:5], 0x58
	v_mad_u64_u32 v[2:3], s[0:1], s2, v20, 0
	v_lshlrev_b64 v[6:7], 3, v[4:5]
	s_waitcnt lgkmcnt(0)
	s_cmp_eq_u32 s3, 0
	s_cselect_b64 s[0:1], -1, 0
	s_cmp_lg_u32 s3, 0
	s_cselect_b64 s[16:17], -1, 0
	s_add_u32 s18, s6, 32
	s_addc_u32 s19, s7, 0
	s_add_u32 s20, s6, 64
	s_addc_u32 s21, s7, 0
	v_add_u32_e32 v1, v3, v1
	s_add_u32 s22, s6, 0x60
	v_mov_b32_e32 v3, s25
	v_add_co_u32_e32 v6, vcc, s24, v6
	s_addc_u32 s23, s7, 0
	v_addc_co_u32_e32 v7, vcc, v3, v7, vcc
	s_lshl_b64 s[2:3], s[8:9], 4
	v_mov_b32_e32 v3, s3
	v_add_co_u32_e32 v2, vcc, s2, v2
	v_addc_co_u32_e32 v1, vcc, v1, v3, vcc
	v_lshlrev_b32_e32 v0, 2, v0
	v_add_co_u32_e32 v0, vcc, v2, v0
	v_addc_co_u32_e32 v1, vcc, 0, v1, vcc
	s_lshl_b64 s[2:3], s[14:15], 4
	v_mov_b32_e32 v2, s3
	v_subrev_co_u32_e32 v0, vcc, s2, v0
	v_subb_co_u32_e32 v1, vcc, v1, v2, vcc
	v_lshlrev_b64 v[0:1], 3, v[0:1]
	v_add_co_u32_e32 v2, vcc, 16, v0
	v_addc_co_u32_e32 v3, vcc, 0, v1, vcc
	v_mov_b32_e32 v0, s27
	v_add_co_u32_e32 v12, vcc, s26, v2
	v_addc_co_u32_e32 v13, vcc, v0, v3, vcc
	v_lshlrev_b64 v[0:1], 7, v[4:5]
	v_lshl_or_b32 v0, v20, 5, v0
	v_mov_b32_e32 v21, s7
	v_add_co_u32_e32 v0, vcc, s6, v0
	v_addc_co_u32_e32 v1, vcc, v1, v21, vcc
	v_add_co_u32_e32 v14, vcc, 24, v0
	v_addc_co_u32_e32 v15, vcc, 0, v1, vcc
	v_lshlrev_b64 v[8:9], 4, v[4:5]
	v_mov_b32_e32 v0, s29
	v_add_co_u32_e32 v16, vcc, s28, v2
	v_or_b32_e32 v10, v8, v20
	v_mov_b32_e32 v11, v9
	v_lshl_or_b32 v8, v20, 2, v8
	v_addc_co_u32_e32 v17, vcc, v0, v3, vcc
	s_mov_b64 s[8:9], 0
	v_mov_b32_e32 v22, s15
	v_mov_b32_e32 v23, s13
	v_cndmask_b32_e64 v24, 0, 1, s[16:17]
	s_branch .LBB198_5
.LBB198_4:                              ;   in Loop: Header=BB198_5 Depth=1
	global_load_dwordx2 v[0:1], v[0:1], off
	v_add_co_u32_e32 v4, vcc, 64, v4
	v_addc_co_u32_e32 v5, vcc, 0, v5, vcc
	v_add_co_u32_e32 v6, vcc, 0x200, v6
	v_addc_co_u32_e32 v7, vcc, 0, v7, vcc
	v_add_co_u32_e32 v10, vcc, 0x400, v10
	v_addc_co_u32_e32 v11, vcc, 0, v11, vcc
	v_add_co_u32_e32 v8, vcc, 0x400, v8
	v_addc_co_u32_e32 v9, vcc, 0, v9, vcc
	v_cmp_le_i64_e64 s[2:3], s[10:11], v[4:5]
	s_or_b64 s[8:9], s[2:3], s[8:9]
	s_waitcnt vmcnt(0)
	global_store_dwordx2 v[12:13], v[0:1], off offset:8
	v_add_co_u32_e32 v12, vcc, 0x800, v12
	v_addc_co_u32_e32 v13, vcc, 0, v13, vcc
	v_add_co_u32_e32 v14, vcc, 0x2000, v14
	v_addc_co_u32_e32 v15, vcc, 0, v15, vcc
	;; [unrolled: 2-line block ×3, first 2 shown]
	s_andn2_b64 exec, exec, s[8:9]
	s_cbranch_execz .LBB198_15
.LBB198_5:                              ; =>This Inner Loop Header: Depth=1
	global_load_dwordx2 v[0:1], v[6:7], off
	v_cndmask_b32_e64 v3, v11, v9, s[0:1]
	v_cndmask_b32_e64 v2, v10, v8, s[0:1]
	v_lshlrev_b64 v[2:3], 3, v[2:3]
	v_add_co_u32_e32 v2, vcc, s6, v2
	v_addc_co_u32_e32 v3, vcc, v21, v3, vcc
	global_load_dwordx2 v[2:3], v[2:3], off
	v_lshlrev_b64 v[18:19], 4, v[4:5]
	v_or_b32_e32 v18, v18, v20
	v_cmp_ne_u32_e64 s[2:3], 1, v24
	s_andn2_b64 vcc, exec, s[16:17]
	s_waitcnt vmcnt(1)
	v_subrev_co_u32_e64 v0, s[4:5], s14, v0
	v_subb_co_u32_e64 v1, s[4:5], v1, v22, s[4:5]
	v_lshlrev_b64 v[0:1], 2, v[0:1]
	v_add_co_u32_e64 v0, s[4:5], s12, v0
	v_addc_co_u32_e64 v1, s[4:5], v1, v23, s[4:5]
	s_waitcnt vmcnt(0)
	global_store_dwordx2 v[12:13], v[2:3], off offset:-16
	v_add_co_u32_e64 v2, s[4:5], 1, v0
	v_addc_co_u32_e64 v3, s[4:5], 0, v1, s[4:5]
	global_store_dwordx4 v[16:17], v[0:3], off offset:-16
	s_nop 0
	v_lshlrev_b64 v[2:3], 3, v[18:19]
	s_cbranch_vccnz .LBB198_7
; %bb.6:                                ;   in Loop: Header=BB198_5 Depth=1
	v_mov_b32_e32 v19, s19
	v_add_co_u32_e32 v18, vcc, s18, v2
	v_addc_co_u32_e32 v19, vcc, v19, v3, vcc
	s_cbranch_execz .LBB198_8
	s_branch .LBB198_9
.LBB198_7:                              ;   in Loop: Header=BB198_5 Depth=1
                                        ; implicit-def: $vgpr18_vgpr19
.LBB198_8:                              ;   in Loop: Header=BB198_5 Depth=1
	v_add_co_u32_e32 v18, vcc, -16, v14
	v_addc_co_u32_e32 v19, vcc, -1, v15, vcc
.LBB198_9:                              ;   in Loop: Header=BB198_5 Depth=1
	global_load_dwordx2 v[18:19], v[18:19], off
	v_add_co_u32_e32 v26, vcc, 2, v0
	v_addc_co_u32_e32 v27, vcc, 0, v1, vcc
	s_and_b64 vcc, exec, s[2:3]
	s_waitcnt vmcnt(0)
	global_store_dwordx2 v[12:13], v[18:19], off offset:-8
	global_store_dwordx2 v[16:17], v[26:27], off
	s_cbranch_vccnz .LBB198_11
; %bb.10:                               ;   in Loop: Header=BB198_5 Depth=1
	v_mov_b32_e32 v19, s21
	v_add_co_u32_e32 v18, vcc, s20, v2
	v_addc_co_u32_e32 v19, vcc, v19, v3, vcc
	s_cbranch_execz .LBB198_12
	s_branch .LBB198_13
.LBB198_11:                             ;   in Loop: Header=BB198_5 Depth=1
                                        ; implicit-def: $vgpr18_vgpr19
.LBB198_12:                             ;   in Loop: Header=BB198_5 Depth=1
	v_add_co_u32_e32 v18, vcc, -8, v14
	v_addc_co_u32_e32 v19, vcc, -1, v15, vcc
.LBB198_13:                             ;   in Loop: Header=BB198_5 Depth=1
	global_load_dwordx2 v[18:19], v[18:19], off
	v_add_co_u32_e32 v0, vcc, 3, v0
	v_addc_co_u32_e32 v1, vcc, 0, v1, vcc
	s_and_b64 vcc, exec, s[2:3]
	global_store_dwordx2 v[16:17], v[0:1], off offset:8
	s_waitcnt vmcnt(1)
	global_store_dwordx2 v[12:13], v[18:19], off
	v_pk_mov_b32 v[0:1], v[14:15], v[14:15] op_sel:[0,1]
	s_cbranch_vccnz .LBB198_4
; %bb.14:                               ;   in Loop: Header=BB198_5 Depth=1
	v_mov_b32_e32 v1, s23
	v_add_co_u32_e32 v0, vcc, s22, v2
	v_addc_co_u32_e32 v1, vcc, v1, v3, vcc
	s_branch .LBB198_4
.LBB198_15:
	s_endpgm
	.section	.rodata,"a",@progbits
	.p2align	6, 0x0
	.amdhsa_kernel _ZN9rocsparseL32bsr2csr_block_per_row_2_7_kernelILj256ELj4E21rocsparse_complex_numIfEllEEv20rocsparse_direction_T3_S4_21rocsparse_index_base_PKT1_PKT2_PKS4_S4_S5_PS6_PS9_PS4_
		.amdhsa_group_segment_fixed_size 0
		.amdhsa_private_segment_fixed_size 0
		.amdhsa_kernarg_size 96
		.amdhsa_user_sgpr_count 6
		.amdhsa_user_sgpr_private_segment_buffer 1
		.amdhsa_user_sgpr_dispatch_ptr 0
		.amdhsa_user_sgpr_queue_ptr 0
		.amdhsa_user_sgpr_kernarg_segment_ptr 1
		.amdhsa_user_sgpr_dispatch_id 0
		.amdhsa_user_sgpr_flat_scratch_init 0
		.amdhsa_user_sgpr_kernarg_preload_length 0
		.amdhsa_user_sgpr_kernarg_preload_offset 0
		.amdhsa_user_sgpr_private_segment_size 0
		.amdhsa_uses_dynamic_stack 0
		.amdhsa_system_sgpr_private_segment_wavefront_offset 0
		.amdhsa_system_sgpr_workgroup_id_x 1
		.amdhsa_system_sgpr_workgroup_id_y 0
		.amdhsa_system_sgpr_workgroup_id_z 0
		.amdhsa_system_sgpr_workgroup_info 0
		.amdhsa_system_vgpr_workitem_id 0
		.amdhsa_next_free_vgpr 28
		.amdhsa_next_free_sgpr 30
		.amdhsa_accum_offset 28
		.amdhsa_reserve_vcc 1
		.amdhsa_reserve_flat_scratch 0
		.amdhsa_float_round_mode_32 0
		.amdhsa_float_round_mode_16_64 0
		.amdhsa_float_denorm_mode_32 3
		.amdhsa_float_denorm_mode_16_64 3
		.amdhsa_dx10_clamp 1
		.amdhsa_ieee_mode 1
		.amdhsa_fp16_overflow 0
		.amdhsa_tg_split 0
		.amdhsa_exception_fp_ieee_invalid_op 0
		.amdhsa_exception_fp_denorm_src 0
		.amdhsa_exception_fp_ieee_div_zero 0
		.amdhsa_exception_fp_ieee_overflow 0
		.amdhsa_exception_fp_ieee_underflow 0
		.amdhsa_exception_fp_ieee_inexact 0
		.amdhsa_exception_int_div_zero 0
	.end_amdhsa_kernel
	.section	.text._ZN9rocsparseL32bsr2csr_block_per_row_2_7_kernelILj256ELj4E21rocsparse_complex_numIfEllEEv20rocsparse_direction_T3_S4_21rocsparse_index_base_PKT1_PKT2_PKS4_S4_S5_PS6_PS9_PS4_,"axG",@progbits,_ZN9rocsparseL32bsr2csr_block_per_row_2_7_kernelILj256ELj4E21rocsparse_complex_numIfEllEEv20rocsparse_direction_T3_S4_21rocsparse_index_base_PKT1_PKT2_PKS4_S4_S5_PS6_PS9_PS4_,comdat
.Lfunc_end198:
	.size	_ZN9rocsparseL32bsr2csr_block_per_row_2_7_kernelILj256ELj4E21rocsparse_complex_numIfEllEEv20rocsparse_direction_T3_S4_21rocsparse_index_base_PKT1_PKT2_PKS4_S4_S5_PS6_PS9_PS4_, .Lfunc_end198-_ZN9rocsparseL32bsr2csr_block_per_row_2_7_kernelILj256ELj4E21rocsparse_complex_numIfEllEEv20rocsparse_direction_T3_S4_21rocsparse_index_base_PKT1_PKT2_PKS4_S4_S5_PS6_PS9_PS4_
                                        ; -- End function
	.section	.AMDGPU.csdata,"",@progbits
; Kernel info:
; codeLenInByte = 1016
; NumSgprs: 34
; NumVgprs: 28
; NumAgprs: 0
; TotalNumVgprs: 28
; ScratchSize: 0
; MemoryBound: 0
; FloatMode: 240
; IeeeMode: 1
; LDSByteSize: 0 bytes/workgroup (compile time only)
; SGPRBlocks: 4
; VGPRBlocks: 3
; NumSGPRsForWavesPerEU: 34
; NumVGPRsForWavesPerEU: 28
; AccumOffset: 28
; Occupancy: 8
; WaveLimiterHint : 0
; COMPUTE_PGM_RSRC2:SCRATCH_EN: 0
; COMPUTE_PGM_RSRC2:USER_SGPR: 6
; COMPUTE_PGM_RSRC2:TRAP_HANDLER: 0
; COMPUTE_PGM_RSRC2:TGID_X_EN: 1
; COMPUTE_PGM_RSRC2:TGID_Y_EN: 0
; COMPUTE_PGM_RSRC2:TGID_Z_EN: 0
; COMPUTE_PGM_RSRC2:TIDIG_COMP_CNT: 0
; COMPUTE_PGM_RSRC3_GFX90A:ACCUM_OFFSET: 6
; COMPUTE_PGM_RSRC3_GFX90A:TG_SPLIT: 0
	.section	.text._ZN9rocsparseL32bsr2csr_block_per_row_2_7_kernelILj256ELj5E21rocsparse_complex_numIfEllEEv20rocsparse_direction_T3_S4_21rocsparse_index_base_PKT1_PKT2_PKS4_S4_S5_PS6_PS9_PS4_,"axG",@progbits,_ZN9rocsparseL32bsr2csr_block_per_row_2_7_kernelILj256ELj5E21rocsparse_complex_numIfEllEEv20rocsparse_direction_T3_S4_21rocsparse_index_base_PKT1_PKT2_PKS4_S4_S5_PS6_PS9_PS4_,comdat
	.globl	_ZN9rocsparseL32bsr2csr_block_per_row_2_7_kernelILj256ELj5E21rocsparse_complex_numIfEllEEv20rocsparse_direction_T3_S4_21rocsparse_index_base_PKT1_PKT2_PKS4_S4_S5_PS6_PS9_PS4_ ; -- Begin function _ZN9rocsparseL32bsr2csr_block_per_row_2_7_kernelILj256ELj5E21rocsparse_complex_numIfEllEEv20rocsparse_direction_T3_S4_21rocsparse_index_base_PKT1_PKT2_PKS4_S4_S5_PS6_PS9_PS4_
	.p2align	8
	.type	_ZN9rocsparseL32bsr2csr_block_per_row_2_7_kernelILj256ELj5E21rocsparse_complex_numIfEllEEv20rocsparse_direction_T3_S4_21rocsparse_index_base_PKT1_PKT2_PKS4_S4_S5_PS6_PS9_PS4_,@function
_ZN9rocsparseL32bsr2csr_block_per_row_2_7_kernelILj256ELj5E21rocsparse_complex_numIfEllEEv20rocsparse_direction_T3_S4_21rocsparse_index_base_PKT1_PKT2_PKS4_S4_S5_PS6_PS9_PS4_: ; @_ZN9rocsparseL32bsr2csr_block_per_row_2_7_kernelILj256ELj5E21rocsparse_complex_numIfEllEEv20rocsparse_direction_T3_S4_21rocsparse_index_base_PKT1_PKT2_PKS4_S4_S5_PS6_PS9_PS4_
; %bb.0:
	s_load_dwordx2 s[2:3], s[4:5], 0x28
	s_load_dword s12, s[4:5], 0x40
	s_load_dwordx2 s[0:1], s[4:5], 0x50
	s_mov_b32 s7, 0
	s_lshl_b64 s[8:9], s[6:7], 3
	s_waitcnt lgkmcnt(0)
	s_add_u32 s2, s2, s8
	v_or_b32_e32 v1, s6, v0
	s_addc_u32 s3, s3, s9
	v_cmp_eq_u32_e32 vcc, 0, v1
	s_and_saveexec_b64 s[8:9], vcc
	s_cbranch_execz .LBB199_2
; %bb.1:
	v_mov_b32_e32 v2, s12
	v_mov_b32_e32 v3, 0
	global_store_dwordx2 v3, v[2:3], s[0:1]
.LBB199_2:
	s_or_b64 exec, exec, s[8:9]
	v_and_b32_e32 v10, 7, v0
	v_cmp_gt_u32_e32 vcc, 5, v10
	s_and_saveexec_b64 s[8:9], vcc
	s_cbranch_execz .LBB199_6
; %bb.3:
	s_load_dwordx4 s[8:11], s[2:3], 0x0
	s_load_dword s14, s[4:5], 0x18
	v_lshrrev_b32_e32 v8, 3, v0
	v_lshlrev_b32_e32 v0, 3, v10
	s_mov_b32 s2, 0
	s_waitcnt lgkmcnt(0)
	s_sub_u32 s7, s8, s14
	s_subb_u32 s15, s9, 0
	s_sub_u32 s10, s10, s14
	s_mul_i32 s3, s15, 25
	s_mul_hi_u32 s13, s7, 25
	s_subb_u32 s11, s11, 0
	s_add_i32 s17, s13, s3
	s_sub_u32 s3, s10, s7
	s_subb_u32 s13, s11, s15
	s_mul_i32 s13, s13, 5
	s_mul_hi_u32 s18, s3, 5
	s_add_i32 s18, s18, s13
	s_mul_i32 s3, s3, 5
	s_add_u32 s19, s3, s12
	s_mul_i32 s16, s7, 25
	v_mul_lo_u32 v1, s18, v10
	s_addc_u32 s18, s18, 0
	s_add_u32 s16, s19, s16
	s_addc_u32 s17, s18, s17
	v_pk_mov_b32 v[2:3], s[16:17], s[16:17] op_sel:[0,1]
	v_mad_u64_u32 v[2:3], s[16:17], s3, v10, v[2:3]
	s_mul_hi_u32 s16, s6, 40
	s_mul_i32 s6, s6, 40
	s_add_u32 s0, s0, s6
	v_add_u32_e32 v3, v1, v3
	s_addc_u32 s1, s1, s16
	global_store_dwordx2 v0, v[2:3], s[0:1] offset:8
	v_mov_b32_e32 v3, s15
	v_add_co_u32_e32 v2, vcc, s7, v8
	v_addc_co_u32_e32 v3, vcc, 0, v3, vcc
	v_cmp_gt_i64_e32 vcc, s[10:11], v[2:3]
	s_and_b64 exec, exec, vcc
	s_cbranch_execz .LBB199_6
; %bb.4:
	s_load_dwordx2 s[6:7], s[4:5], 0x30
	s_load_dwordx2 s[16:17], s[4:5], 0x48
	;; [unrolled: 1-line block ×3, first 2 shown]
	s_load_dword s15, s[4:5], 0x0
	s_load_dwordx2 s[20:21], s[4:5], 0x58
	v_mad_u64_u32 v[12:13], s[0:1], s3, v10, 0
	s_movk_i32 s3, 0xc8
	s_waitcnt lgkmcnt(0)
	v_pk_mov_b32 v[6:7], s[18:19], s[18:19] op_sel:[0,1]
	v_mad_u64_u32 v[6:7], s[4:5], v2, s3, v[6:7]
	v_add_u32_e32 v13, v13, v1
	v_lshlrev_b64 v[4:5], 3, v[2:3]
	v_mov_b32_e32 v14, v7
	v_mov_b32_e32 v1, s7
	v_add_co_u32_e32 v4, vcc, s6, v4
	v_mad_u64_u32 v[14:15], s[4:5], v3, s3, v[14:15]
	v_mad_u64_u32 v[12:13], s[4:5], s8, 25, v[12:13]
	v_addc_co_u32_e32 v5, vcc, v1, v5, vcc
	v_mov_b32_e32 v1, v14
	v_mov_b32_e32 v14, v13
	v_mad_u64_u32 v[14:15], s[4:5], s9, 25, v[14:15]
	v_mov_b32_e32 v13, v14
	v_mad_u64_u32 v[8:9], s[4:5], v8, 5, v[12:13]
	s_mul_hi_u32 s3, s14, 25
	s_mul_i32 s4, s14, 25
	v_mov_b32_e32 v7, s3
	v_subrev_co_u32_e32 v8, vcc, s4, v8
	v_subb_co_u32_e32 v9, vcc, v9, v7, vcc
	v_lshlrev_b64 v[8:9], 3, v[8:9]
	v_add_co_u32_e32 v11, vcc, 16, v8
	v_addc_co_u32_e32 v13, vcc, 0, v9, vcc
	v_mov_b32_e32 v7, s17
	v_add_co_u32_e32 v8, vcc, s16, v11
	v_addc_co_u32_e32 v9, vcc, v7, v13, vcc
	s_cmp_eq_u32 s15, 0
	v_mov_b32_e32 v14, s21
	v_add_co_u32_e32 v12, vcc, s20, v11
	s_mov_b32 s13, s2
	s_cselect_b64 s[0:1], -1, 0
	v_mul_hi_u32_u24_e32 v7, 40, v10
	v_mul_u32_u24_e32 v10, 40, v10
	v_addc_co_u32_e32 v13, vcc, v14, v13, vcc
	s_mov_b64 s[8:9], 0
	v_mov_b32_e32 v11, s2
	s_movk_i32 s15, 0x50
	s_movk_i32 s16, 0x78
	;; [unrolled: 1-line block ×5, first 2 shown]
.LBB199_5:                              ; =>This Inner Loop Header: Depth=1
	v_add_co_u32_e32 v16, vcc, v6, v0
	v_addc_co_u32_e32 v17, vcc, 0, v1, vcc
	v_add_co_u32_e32 v18, vcc, v6, v10
	v_addc_co_u32_e32 v19, vcc, v1, v7, vcc
	;; [unrolled: 2-line block ×8, first 2 shown]
	v_cndmask_b32_e64 v14, v16, v18, s[0:1]
	v_add_co_u32_e32 v18, vcc, 32, v18
	v_cndmask_b32_e64 v15, v17, v19, s[0:1]
	v_addc_co_u32_e32 v19, vcc, 0, v19, vcc
	global_load_dwordx2 v[22:23], v[4:5], off
	v_add_co_u32_e32 v16, vcc, s17, v16
	v_addc_co_u32_e32 v17, vcc, 0, v17, vcc
	v_cndmask_b32_e64 v25, v25, v21, s[0:1]
	v_cndmask_b32_e64 v24, v24, v20, s[0:1]
	global_load_dwordx2 v[14:15], v[14:15], off
	v_cndmask_b32_e64 v27, v29, v27, s[0:1]
	v_cndmask_b32_e64 v26, v28, v26, s[0:1]
	;; [unrolled: 1-line block ×6, first 2 shown]
	global_load_dwordx2 v[16:17], v[24:25], off
	global_load_dwordx2 v[18:19], v[26:27], off
	;; [unrolled: 1-line block ×4, first 2 shown]
	v_add_co_u32_e32 v2, vcc, 32, v2
	v_addc_co_u32_e32 v3, vcc, 0, v3, vcc
	v_add_co_u32_e32 v4, vcc, s18, v4
	v_addc_co_u32_e32 v5, vcc, 0, v5, vcc
	;; [unrolled: 2-line block ×3, first 2 shown]
	v_cmp_le_i64_e64 s[2:3], s[10:11], v[2:3]
	s_or_b64 s[8:9], s[2:3], s[8:9]
	s_waitcnt vmcnt(3)
	global_store_dwordx4 v[8:9], v[14:17], off offset:-16
	s_waitcnt vmcnt(2)
	global_store_dwordx4 v[8:9], v[18:21], off
	s_waitcnt vmcnt(2)
	global_store_dwordx2 v[8:9], v[32:33], off offset:16
	v_subrev_co_u32_e32 v22, vcc, s14, v22
	v_subb_co_u32_e32 v23, vcc, v23, v11, vcc
	v_mad_u64_u32 v[24:25], s[2:3], v22, 5, s[12:13]
	v_mov_b32_e32 v26, v25
	v_add_co_u32_e32 v8, vcc, 0x500, v8
	v_mad_u64_u32 v[26:27], s[2:3], v23, 5, v[26:27]
	v_addc_co_u32_e32 v9, vcc, 0, v9, vcc
	v_mov_b32_e32 v22, v24
	v_mov_b32_e32 v19, v26
	v_add_co_u32_e64 v14, s[2:3], 2, v24
	v_add_co_u32_e64 v16, s[4:5], 3, v24
	;; [unrolled: 1-line block ×3, first 2 shown]
	v_add_co_u32_e32 v24, vcc, 1, v24
	v_mov_b32_e32 v23, v26
	v_addc_co_u32_e32 v25, vcc, 0, v19, vcc
	v_addc_co_u32_e64 v15, vcc, 0, v19, s[2:3]
	v_addc_co_u32_e64 v17, vcc, 0, v19, s[4:5]
	;; [unrolled: 1-line block ×3, first 2 shown]
	global_store_dwordx4 v[12:13], v[22:25], off offset:-16
	global_store_dwordx4 v[12:13], v[14:17], off
	global_store_dwordx2 v[12:13], v[18:19], off offset:16
	v_add_co_u32_e32 v12, vcc, 0x500, v12
	v_addc_co_u32_e32 v13, vcc, 0, v13, vcc
	s_andn2_b64 exec, exec, s[8:9]
	s_cbranch_execnz .LBB199_5
.LBB199_6:
	s_endpgm
	.section	.rodata,"a",@progbits
	.p2align	6, 0x0
	.amdhsa_kernel _ZN9rocsparseL32bsr2csr_block_per_row_2_7_kernelILj256ELj5E21rocsparse_complex_numIfEllEEv20rocsparse_direction_T3_S4_21rocsparse_index_base_PKT1_PKT2_PKS4_S4_S5_PS6_PS9_PS4_
		.amdhsa_group_segment_fixed_size 0
		.amdhsa_private_segment_fixed_size 0
		.amdhsa_kernarg_size 96
		.amdhsa_user_sgpr_count 6
		.amdhsa_user_sgpr_private_segment_buffer 1
		.amdhsa_user_sgpr_dispatch_ptr 0
		.amdhsa_user_sgpr_queue_ptr 0
		.amdhsa_user_sgpr_kernarg_segment_ptr 1
		.amdhsa_user_sgpr_dispatch_id 0
		.amdhsa_user_sgpr_flat_scratch_init 0
		.amdhsa_user_sgpr_kernarg_preload_length 0
		.amdhsa_user_sgpr_kernarg_preload_offset 0
		.amdhsa_user_sgpr_private_segment_size 0
		.amdhsa_uses_dynamic_stack 0
		.amdhsa_system_sgpr_private_segment_wavefront_offset 0
		.amdhsa_system_sgpr_workgroup_id_x 1
		.amdhsa_system_sgpr_workgroup_id_y 0
		.amdhsa_system_sgpr_workgroup_id_z 0
		.amdhsa_system_sgpr_workgroup_info 0
		.amdhsa_system_vgpr_workitem_id 0
		.amdhsa_next_free_vgpr 34
		.amdhsa_next_free_sgpr 22
		.amdhsa_accum_offset 36
		.amdhsa_reserve_vcc 1
		.amdhsa_reserve_flat_scratch 0
		.amdhsa_float_round_mode_32 0
		.amdhsa_float_round_mode_16_64 0
		.amdhsa_float_denorm_mode_32 3
		.amdhsa_float_denorm_mode_16_64 3
		.amdhsa_dx10_clamp 1
		.amdhsa_ieee_mode 1
		.amdhsa_fp16_overflow 0
		.amdhsa_tg_split 0
		.amdhsa_exception_fp_ieee_invalid_op 0
		.amdhsa_exception_fp_denorm_src 0
		.amdhsa_exception_fp_ieee_div_zero 0
		.amdhsa_exception_fp_ieee_overflow 0
		.amdhsa_exception_fp_ieee_underflow 0
		.amdhsa_exception_fp_ieee_inexact 0
		.amdhsa_exception_int_div_zero 0
	.end_amdhsa_kernel
	.section	.text._ZN9rocsparseL32bsr2csr_block_per_row_2_7_kernelILj256ELj5E21rocsparse_complex_numIfEllEEv20rocsparse_direction_T3_S4_21rocsparse_index_base_PKT1_PKT2_PKS4_S4_S5_PS6_PS9_PS4_,"axG",@progbits,_ZN9rocsparseL32bsr2csr_block_per_row_2_7_kernelILj256ELj5E21rocsparse_complex_numIfEllEEv20rocsparse_direction_T3_S4_21rocsparse_index_base_PKT1_PKT2_PKS4_S4_S5_PS6_PS9_PS4_,comdat
.Lfunc_end199:
	.size	_ZN9rocsparseL32bsr2csr_block_per_row_2_7_kernelILj256ELj5E21rocsparse_complex_numIfEllEEv20rocsparse_direction_T3_S4_21rocsparse_index_base_PKT1_PKT2_PKS4_S4_S5_PS6_PS9_PS4_, .Lfunc_end199-_ZN9rocsparseL32bsr2csr_block_per_row_2_7_kernelILj256ELj5E21rocsparse_complex_numIfEllEEv20rocsparse_direction_T3_S4_21rocsparse_index_base_PKT1_PKT2_PKS4_S4_S5_PS6_PS9_PS4_
                                        ; -- End function
	.section	.AMDGPU.csdata,"",@progbits
; Kernel info:
; codeLenInByte = 964
; NumSgprs: 26
; NumVgprs: 34
; NumAgprs: 0
; TotalNumVgprs: 34
; ScratchSize: 0
; MemoryBound: 0
; FloatMode: 240
; IeeeMode: 1
; LDSByteSize: 0 bytes/workgroup (compile time only)
; SGPRBlocks: 3
; VGPRBlocks: 4
; NumSGPRsForWavesPerEU: 26
; NumVGPRsForWavesPerEU: 34
; AccumOffset: 36
; Occupancy: 8
; WaveLimiterHint : 0
; COMPUTE_PGM_RSRC2:SCRATCH_EN: 0
; COMPUTE_PGM_RSRC2:USER_SGPR: 6
; COMPUTE_PGM_RSRC2:TRAP_HANDLER: 0
; COMPUTE_PGM_RSRC2:TGID_X_EN: 1
; COMPUTE_PGM_RSRC2:TGID_Y_EN: 0
; COMPUTE_PGM_RSRC2:TGID_Z_EN: 0
; COMPUTE_PGM_RSRC2:TIDIG_COMP_CNT: 0
; COMPUTE_PGM_RSRC3_GFX90A:ACCUM_OFFSET: 8
; COMPUTE_PGM_RSRC3_GFX90A:TG_SPLIT: 0
	.section	.text._ZN9rocsparseL32bsr2csr_block_per_row_2_7_kernelILj256ELj6E21rocsparse_complex_numIfEllEEv20rocsparse_direction_T3_S4_21rocsparse_index_base_PKT1_PKT2_PKS4_S4_S5_PS6_PS9_PS4_,"axG",@progbits,_ZN9rocsparseL32bsr2csr_block_per_row_2_7_kernelILj256ELj6E21rocsparse_complex_numIfEllEEv20rocsparse_direction_T3_S4_21rocsparse_index_base_PKT1_PKT2_PKS4_S4_S5_PS6_PS9_PS4_,comdat
	.globl	_ZN9rocsparseL32bsr2csr_block_per_row_2_7_kernelILj256ELj6E21rocsparse_complex_numIfEllEEv20rocsparse_direction_T3_S4_21rocsparse_index_base_PKT1_PKT2_PKS4_S4_S5_PS6_PS9_PS4_ ; -- Begin function _ZN9rocsparseL32bsr2csr_block_per_row_2_7_kernelILj256ELj6E21rocsparse_complex_numIfEllEEv20rocsparse_direction_T3_S4_21rocsparse_index_base_PKT1_PKT2_PKS4_S4_S5_PS6_PS9_PS4_
	.p2align	8
	.type	_ZN9rocsparseL32bsr2csr_block_per_row_2_7_kernelILj256ELj6E21rocsparse_complex_numIfEllEEv20rocsparse_direction_T3_S4_21rocsparse_index_base_PKT1_PKT2_PKS4_S4_S5_PS6_PS9_PS4_,@function
_ZN9rocsparseL32bsr2csr_block_per_row_2_7_kernelILj256ELj6E21rocsparse_complex_numIfEllEEv20rocsparse_direction_T3_S4_21rocsparse_index_base_PKT1_PKT2_PKS4_S4_S5_PS6_PS9_PS4_: ; @_ZN9rocsparseL32bsr2csr_block_per_row_2_7_kernelILj256ELj6E21rocsparse_complex_numIfEllEEv20rocsparse_direction_T3_S4_21rocsparse_index_base_PKT1_PKT2_PKS4_S4_S5_PS6_PS9_PS4_
; %bb.0:
	s_load_dwordx2 s[2:3], s[4:5], 0x28
	s_load_dword s12, s[4:5], 0x40
	s_load_dwordx2 s[0:1], s[4:5], 0x50
	s_mov_b32 s7, 0
	s_lshl_b64 s[8:9], s[6:7], 3
	s_waitcnt lgkmcnt(0)
	s_add_u32 s2, s2, s8
	v_or_b32_e32 v1, s6, v0
	s_addc_u32 s3, s3, s9
	v_cmp_eq_u32_e32 vcc, 0, v1
	s_and_saveexec_b64 s[8:9], vcc
	s_cbranch_execz .LBB200_2
; %bb.1:
	v_mov_b32_e32 v2, s12
	v_mov_b32_e32 v3, 0
	global_store_dwordx2 v3, v[2:3], s[0:1]
.LBB200_2:
	s_or_b64 exec, exec, s[8:9]
	v_and_b32_e32 v2, 7, v0
	v_cmp_gt_u32_e32 vcc, 6, v2
	s_and_saveexec_b64 s[8:9], vcc
	s_cbranch_execz .LBB200_6
; %bb.3:
	s_load_dwordx4 s[8:11], s[2:3], 0x0
	s_load_dword s16, s[4:5], 0x18
	v_lshrrev_b32_e32 v8, 3, v0
	v_lshlrev_b32_e32 v6, 3, v2
	s_mov_b32 s2, 0
	v_mov_b32_e32 v7, 0
	s_waitcnt lgkmcnt(0)
	s_sub_u32 s7, s8, s16
	s_subb_u32 s17, s9, 0
	s_sub_u32 s10, s10, s16
	s_mul_i32 s3, s17, 36
	s_mul_hi_u32 s13, s7, 36
	s_subb_u32 s11, s11, 0
	s_add_i32 s15, s13, s3
	s_sub_u32 s3, s10, s7
	s_subb_u32 s13, s11, s17
	s_mul_i32 s13, s13, 6
	s_mul_hi_u32 s18, s3, 6
	s_add_i32 s18, s18, s13
	s_mul_i32 s3, s3, 6
	s_add_u32 s19, s3, s12
	s_mul_i32 s14, s7, 36
	v_mul_lo_u32 v3, s18, v2
	s_addc_u32 s18, s18, 0
	s_add_u32 s14, s19, s14
	s_addc_u32 s15, s18, s15
	v_pk_mov_b32 v[0:1], s[14:15], s[14:15] op_sel:[0,1]
	v_mad_u64_u32 v[0:1], s[14:15], s3, v2, v[0:1]
	s_mul_hi_u32 s14, s6, 48
	s_mul_i32 s6, s6, 48
	s_add_u32 s0, s0, s6
	v_add_u32_e32 v1, v3, v1
	s_addc_u32 s1, s1, s14
	global_store_dwordx2 v6, v[0:1], s[0:1] offset:8
	v_mov_b32_e32 v1, s17
	v_add_co_u32_e32 v0, vcc, s7, v8
	v_addc_co_u32_e32 v1, vcc, 0, v1, vcc
	v_cmp_gt_i64_e32 vcc, s[10:11], v[0:1]
	s_and_b64 exec, exec, vcc
	s_cbranch_execz .LBB200_6
; %bb.4:
	v_mad_u64_u32 v[10:11], s[0:1], s3, v2, 0
	s_movk_i32 s3, 0x120
	s_load_dwordx2 s[6:7], s[4:5], 0x30
	s_load_dwordx2 s[14:15], s[4:5], 0x48
	;; [unrolled: 1-line block ×3, first 2 shown]
	s_load_dword s17, s[4:5], 0x0
	s_load_dwordx2 s[20:21], s[4:5], 0x58
	v_mad_u64_u32 v[6:7], s[4:5], v0, s3, v[6:7]
	v_add_u32_e32 v11, v11, v3
	v_mov_b32_e32 v12, v7
	v_lshlrev_b64 v[4:5], 3, v[0:1]
	v_mad_u64_u32 v[12:13], s[4:5], v1, s3, v[12:13]
	v_mad_u64_u32 v[10:11], s[4:5], s8, 36, v[10:11]
	s_waitcnt lgkmcnt(0)
	v_mov_b32_e32 v9, s7
	v_add_co_u32_e32 v4, vcc, s6, v4
	v_mov_b32_e32 v7, v12
	v_mov_b32_e32 v12, v11
	v_addc_co_u32_e32 v5, vcc, v9, v5, vcc
	v_mad_u64_u32 v[12:13], s[4:5], s9, 36, v[12:13]
	v_mov_b32_e32 v9, s19
	v_add_co_u32_e32 v6, vcc, s18, v6
	v_mov_b32_e32 v11, v12
	v_addc_co_u32_e32 v7, vcc, v9, v7, vcc
	v_mad_u64_u32 v[8:9], s[4:5], v8, 6, v[10:11]
	s_mul_hi_u32 s3, s16, 36
	s_mul_i32 s4, s16, 36
	v_mov_b32_e32 v10, s3
	v_subrev_co_u32_e32 v8, vcc, s4, v8
	v_subb_co_u32_e32 v9, vcc, v9, v10, vcc
	v_lshlrev_b64 v[8:9], 3, v[8:9]
	v_add_co_u32_e32 v10, vcc, 24, v8
	v_addc_co_u32_e32 v11, vcc, 0, v9, vcc
	v_mov_b32_e32 v9, s15
	v_add_co_u32_e32 v8, vcc, s14, v10
	v_addc_co_u32_e32 v9, vcc, v9, v11, vcc
	s_cmp_eq_u32 s17, 0
	v_mov_b32_e32 v12, s21
	v_add_co_u32_e32 v10, vcc, s20, v10
	s_mov_b32 s13, s2
	s_cselect_b64 s[0:1], -1, 0
	v_mul_hi_u32_u24_e32 v3, 40, v2
	v_mul_u32_u24_e32 v2, 40, v2
	v_addc_co_u32_e32 v11, vcc, v12, v11, vcc
	s_mov_b64 s[14:15], 0
	v_mov_b32_e32 v12, s2
	s_movk_i32 s17, 0x60
	s_movk_i32 s18, 0x90
	s_movk_i32 s19, 0xc0
	s_movk_i32 s20, 0xf0
	s_movk_i32 s21, 0x100
	s_movk_i32 s22, 0x2400
.LBB200_5:                              ; =>This Inner Loop Header: Depth=1
	v_add_co_u32_e32 v13, vcc, v6, v2
	v_addc_co_u32_e32 v16, vcc, v7, v3, vcc
	v_add_co_u32_e32 v17, vcc, 48, v6
	v_addc_co_u32_e32 v18, vcc, 0, v7, vcc
	;; [unrolled: 2-line block ×10, first 2 shown]
	global_load_dwordx2 v[26:27], v[4:5], off
	v_cndmask_b32_e64 v14, v6, v13, s[0:1]
	v_add_co_u32_e32 v13, vcc, 40, v13
	v_cndmask_b32_e64 v15, v7, v16, s[0:1]
	v_addc_co_u32_e32 v16, vcc, 0, v16, vcc
	v_cndmask_b32_e64 v29, v18, v29, s[0:1]
	v_cndmask_b32_e64 v28, v17, v28, s[0:1]
	global_load_dwordx2 v[14:15], v[14:15], off
	v_cndmask_b32_e64 v31, v20, v31, s[0:1]
	v_cndmask_b32_e64 v30, v19, v30, s[0:1]
	;; [unrolled: 1-line block ×8, first 2 shown]
	global_load_dwordx2 v[16:17], v[28:29], off
	global_load_dwordx2 v[18:19], v[30:31], off
	;; [unrolled: 1-line block ×5, first 2 shown]
	v_add_co_u32_e32 v0, vcc, 32, v0
	v_addc_co_u32_e32 v1, vcc, 0, v1, vcc
	v_add_co_u32_e32 v4, vcc, s21, v4
	v_addc_co_u32_e32 v5, vcc, 0, v5, vcc
	;; [unrolled: 2-line block ×3, first 2 shown]
	v_cmp_le_i64_e64 s[2:3], s[10:11], v[0:1]
	s_or_b64 s[14:15], s[2:3], s[14:15]
	s_waitcnt vmcnt(4)
	global_store_dwordx4 v[8:9], v[14:17], off offset:-24
	s_waitcnt vmcnt(3)
	global_store_dwordx4 v[8:9], v[18:21], off offset:-8
	s_waitcnt vmcnt(2)
	global_store_dwordx4 v[8:9], v[22:25], off offset:8
	v_subrev_co_u32_e32 v13, vcc, s16, v26
	v_subb_co_u32_e32 v27, vcc, v27, v12, vcc
	v_mad_u64_u32 v[28:29], s[2:3], v13, 6, s[12:13]
	v_mov_b32_e32 v30, v29
	v_add_co_u32_e32 v8, vcc, 0x600, v8
	v_mad_u64_u32 v[30:31], s[2:3], v27, 6, v[30:31]
	v_addc_co_u32_e32 v9, vcc, 0, v9, vcc
	v_mov_b32_e32 v26, v28
	v_mov_b32_e32 v13, v30
	v_add_co_u32_e64 v14, s[2:3], 2, v28
	v_add_co_u32_e64 v16, s[4:5], 3, v28
	;; [unrolled: 1-line block ×4, first 2 shown]
	v_add_co_u32_e32 v28, vcc, 1, v28
	v_mov_b32_e32 v27, v30
	v_addc_co_u32_e32 v29, vcc, 0, v13, vcc
	v_addc_co_u32_e64 v15, vcc, 0, v13, s[2:3]
	v_addc_co_u32_e64 v17, vcc, 0, v13, s[4:5]
	;; [unrolled: 1-line block ×4, first 2 shown]
	global_store_dwordx4 v[10:11], v[26:29], off offset:-24
	global_store_dwordx4 v[10:11], v[14:17], off offset:-8
	global_store_dwordx4 v[10:11], v[18:21], off offset:8
	v_add_co_u32_e32 v10, vcc, 0x600, v10
	v_addc_co_u32_e32 v11, vcc, 0, v11, vcc
	s_andn2_b64 exec, exec, s[14:15]
	s_cbranch_execnz .LBB200_5
.LBB200_6:
	s_endpgm
	.section	.rodata,"a",@progbits
	.p2align	6, 0x0
	.amdhsa_kernel _ZN9rocsparseL32bsr2csr_block_per_row_2_7_kernelILj256ELj6E21rocsparse_complex_numIfEllEEv20rocsparse_direction_T3_S4_21rocsparse_index_base_PKT1_PKT2_PKS4_S4_S5_PS6_PS9_PS4_
		.amdhsa_group_segment_fixed_size 0
		.amdhsa_private_segment_fixed_size 0
		.amdhsa_kernarg_size 96
		.amdhsa_user_sgpr_count 6
		.amdhsa_user_sgpr_private_segment_buffer 1
		.amdhsa_user_sgpr_dispatch_ptr 0
		.amdhsa_user_sgpr_queue_ptr 0
		.amdhsa_user_sgpr_kernarg_segment_ptr 1
		.amdhsa_user_sgpr_dispatch_id 0
		.amdhsa_user_sgpr_flat_scratch_init 0
		.amdhsa_user_sgpr_kernarg_preload_length 0
		.amdhsa_user_sgpr_kernarg_preload_offset 0
		.amdhsa_user_sgpr_private_segment_size 0
		.amdhsa_uses_dynamic_stack 0
		.amdhsa_system_sgpr_private_segment_wavefront_offset 0
		.amdhsa_system_sgpr_workgroup_id_x 1
		.amdhsa_system_sgpr_workgroup_id_y 0
		.amdhsa_system_sgpr_workgroup_id_z 0
		.amdhsa_system_sgpr_workgroup_info 0
		.amdhsa_system_vgpr_workitem_id 0
		.amdhsa_next_free_vgpr 38
		.amdhsa_next_free_sgpr 23
		.amdhsa_accum_offset 40
		.amdhsa_reserve_vcc 1
		.amdhsa_reserve_flat_scratch 0
		.amdhsa_float_round_mode_32 0
		.amdhsa_float_round_mode_16_64 0
		.amdhsa_float_denorm_mode_32 3
		.amdhsa_float_denorm_mode_16_64 3
		.amdhsa_dx10_clamp 1
		.amdhsa_ieee_mode 1
		.amdhsa_fp16_overflow 0
		.amdhsa_tg_split 0
		.amdhsa_exception_fp_ieee_invalid_op 0
		.amdhsa_exception_fp_denorm_src 0
		.amdhsa_exception_fp_ieee_div_zero 0
		.amdhsa_exception_fp_ieee_overflow 0
		.amdhsa_exception_fp_ieee_underflow 0
		.amdhsa_exception_fp_ieee_inexact 0
		.amdhsa_exception_int_div_zero 0
	.end_amdhsa_kernel
	.section	.text._ZN9rocsparseL32bsr2csr_block_per_row_2_7_kernelILj256ELj6E21rocsparse_complex_numIfEllEEv20rocsparse_direction_T3_S4_21rocsparse_index_base_PKT1_PKT2_PKS4_S4_S5_PS6_PS9_PS4_,"axG",@progbits,_ZN9rocsparseL32bsr2csr_block_per_row_2_7_kernelILj256ELj6E21rocsparse_complex_numIfEllEEv20rocsparse_direction_T3_S4_21rocsparse_index_base_PKT1_PKT2_PKS4_S4_S5_PS6_PS9_PS4_,comdat
.Lfunc_end200:
	.size	_ZN9rocsparseL32bsr2csr_block_per_row_2_7_kernelILj256ELj6E21rocsparse_complex_numIfEllEEv20rocsparse_direction_T3_S4_21rocsparse_index_base_PKT1_PKT2_PKS4_S4_S5_PS6_PS9_PS4_, .Lfunc_end200-_ZN9rocsparseL32bsr2csr_block_per_row_2_7_kernelILj256ELj6E21rocsparse_complex_numIfEllEEv20rocsparse_direction_T3_S4_21rocsparse_index_base_PKT1_PKT2_PKS4_S4_S5_PS6_PS9_PS4_
                                        ; -- End function
	.section	.AMDGPU.csdata,"",@progbits
; Kernel info:
; codeLenInByte = 1024
; NumSgprs: 27
; NumVgprs: 38
; NumAgprs: 0
; TotalNumVgprs: 38
; ScratchSize: 0
; MemoryBound: 0
; FloatMode: 240
; IeeeMode: 1
; LDSByteSize: 0 bytes/workgroup (compile time only)
; SGPRBlocks: 3
; VGPRBlocks: 4
; NumSGPRsForWavesPerEU: 27
; NumVGPRsForWavesPerEU: 38
; AccumOffset: 40
; Occupancy: 8
; WaveLimiterHint : 0
; COMPUTE_PGM_RSRC2:SCRATCH_EN: 0
; COMPUTE_PGM_RSRC2:USER_SGPR: 6
; COMPUTE_PGM_RSRC2:TRAP_HANDLER: 0
; COMPUTE_PGM_RSRC2:TGID_X_EN: 1
; COMPUTE_PGM_RSRC2:TGID_Y_EN: 0
; COMPUTE_PGM_RSRC2:TGID_Z_EN: 0
; COMPUTE_PGM_RSRC2:TIDIG_COMP_CNT: 0
; COMPUTE_PGM_RSRC3_GFX90A:ACCUM_OFFSET: 9
; COMPUTE_PGM_RSRC3_GFX90A:TG_SPLIT: 0
	.section	.text._ZN9rocsparseL32bsr2csr_block_per_row_2_7_kernelILj256ELj7E21rocsparse_complex_numIfEllEEv20rocsparse_direction_T3_S4_21rocsparse_index_base_PKT1_PKT2_PKS4_S4_S5_PS6_PS9_PS4_,"axG",@progbits,_ZN9rocsparseL32bsr2csr_block_per_row_2_7_kernelILj256ELj7E21rocsparse_complex_numIfEllEEv20rocsparse_direction_T3_S4_21rocsparse_index_base_PKT1_PKT2_PKS4_S4_S5_PS6_PS9_PS4_,comdat
	.globl	_ZN9rocsparseL32bsr2csr_block_per_row_2_7_kernelILj256ELj7E21rocsparse_complex_numIfEllEEv20rocsparse_direction_T3_S4_21rocsparse_index_base_PKT1_PKT2_PKS4_S4_S5_PS6_PS9_PS4_ ; -- Begin function _ZN9rocsparseL32bsr2csr_block_per_row_2_7_kernelILj256ELj7E21rocsparse_complex_numIfEllEEv20rocsparse_direction_T3_S4_21rocsparse_index_base_PKT1_PKT2_PKS4_S4_S5_PS6_PS9_PS4_
	.p2align	8
	.type	_ZN9rocsparseL32bsr2csr_block_per_row_2_7_kernelILj256ELj7E21rocsparse_complex_numIfEllEEv20rocsparse_direction_T3_S4_21rocsparse_index_base_PKT1_PKT2_PKS4_S4_S5_PS6_PS9_PS4_,@function
_ZN9rocsparseL32bsr2csr_block_per_row_2_7_kernelILj256ELj7E21rocsparse_complex_numIfEllEEv20rocsparse_direction_T3_S4_21rocsparse_index_base_PKT1_PKT2_PKS4_S4_S5_PS6_PS9_PS4_: ; @_ZN9rocsparseL32bsr2csr_block_per_row_2_7_kernelILj256ELj7E21rocsparse_complex_numIfEllEEv20rocsparse_direction_T3_S4_21rocsparse_index_base_PKT1_PKT2_PKS4_S4_S5_PS6_PS9_PS4_
; %bb.0:
	s_load_dwordx2 s[2:3], s[4:5], 0x28
	s_load_dword s12, s[4:5], 0x40
	s_load_dwordx2 s[0:1], s[4:5], 0x50
	s_mov_b32 s7, 0
	s_lshl_b64 s[8:9], s[6:7], 3
	s_waitcnt lgkmcnt(0)
	s_add_u32 s2, s2, s8
	v_or_b32_e32 v1, s6, v0
	s_addc_u32 s3, s3, s9
	v_cmp_eq_u32_e32 vcc, 0, v1
	s_and_saveexec_b64 s[8:9], vcc
	s_cbranch_execz .LBB201_2
; %bb.1:
	v_mov_b32_e32 v2, s12
	v_mov_b32_e32 v3, 0
	global_store_dwordx2 v3, v[2:3], s[0:1]
.LBB201_2:
	s_or_b64 exec, exec, s[8:9]
	v_and_b32_e32 v2, 7, v0
	v_cmp_ne_u32_e32 vcc, 7, v2
	s_and_saveexec_b64 s[8:9], vcc
	s_cbranch_execz .LBB201_6
; %bb.3:
	s_load_dwordx4 s[8:11], s[2:3], 0x0
	s_load_dword s18, s[4:5], 0x18
	v_lshrrev_b32_e32 v8, 3, v0
	v_lshlrev_b32_e32 v6, 3, v2
	s_mov_b32 s2, 0
	v_mov_b32_e32 v7, 0
	s_waitcnt lgkmcnt(0)
	s_sub_u32 s7, s8, s18
	s_subb_u32 s16, s9, 0
	s_sub_u32 s14, s10, s18
	s_mul_i32 s3, s16, 49
	s_mul_hi_u32 s10, s7, 49
	s_subb_u32 s15, s11, 0
	s_add_i32 s11, s10, s3
	s_sub_u32 s3, s14, s7
	s_subb_u32 s13, s15, s16
	s_mul_i32 s13, s13, 7
	s_mul_hi_u32 s17, s3, 7
	s_add_i32 s17, s17, s13
	s_mul_i32 s3, s3, 7
	s_add_u32 s19, s3, s12
	s_mul_i32 s10, s7, 49
	v_mul_lo_u32 v3, s17, v2
	s_addc_u32 s17, s17, 0
	s_add_u32 s10, s19, s10
	s_addc_u32 s11, s17, s11
	v_pk_mov_b32 v[0:1], s[10:11], s[10:11] op_sel:[0,1]
	v_mad_u64_u32 v[0:1], s[10:11], s3, v2, v[0:1]
	s_mul_hi_u32 s10, s6, 56
	s_mul_i32 s6, s6, 56
	s_add_u32 s0, s0, s6
	v_add_u32_e32 v1, v3, v1
	s_addc_u32 s1, s1, s10
	global_store_dwordx2 v6, v[0:1], s[0:1] offset:8
	v_mov_b32_e32 v1, s16
	v_add_co_u32_e32 v0, vcc, s7, v8
	v_addc_co_u32_e32 v1, vcc, 0, v1, vcc
	v_cmp_gt_i64_e32 vcc, s[14:15], v[0:1]
	s_and_b64 exec, exec, vcc
	s_cbranch_execz .LBB201_6
; %bb.4:
	v_mad_u64_u32 v[10:11], s[0:1], s3, v2, 0
	s_movk_i32 s3, 0x188
	s_load_dwordx2 s[6:7], s[4:5], 0x30
	s_load_dwordx2 s[10:11], s[4:5], 0x48
	;; [unrolled: 1-line block ×3, first 2 shown]
	s_load_dword s19, s[4:5], 0x0
	s_load_dwordx2 s[20:21], s[4:5], 0x58
	v_mad_u64_u32 v[6:7], s[4:5], v0, s3, v[6:7]
	v_add_u32_e32 v11, v11, v3
	v_mov_b32_e32 v12, v7
	v_lshlrev_b64 v[4:5], 3, v[0:1]
	v_mad_u64_u32 v[12:13], s[4:5], v1, s3, v[12:13]
	v_mad_u64_u32 v[10:11], s[4:5], s8, 49, v[10:11]
	s_waitcnt lgkmcnt(0)
	v_mov_b32_e32 v9, s7
	v_add_co_u32_e32 v4, vcc, s6, v4
	v_mov_b32_e32 v7, v12
	v_mov_b32_e32 v12, v11
	v_addc_co_u32_e32 v5, vcc, v9, v5, vcc
	v_mad_u64_u32 v[12:13], s[4:5], s9, 49, v[12:13]
	v_mov_b32_e32 v9, s17
	v_add_co_u32_e32 v6, vcc, s16, v6
	v_mov_b32_e32 v11, v12
	v_addc_co_u32_e32 v7, vcc, v9, v7, vcc
	v_mad_u64_u32 v[8:9], s[4:5], v8, 7, v[10:11]
	s_mul_hi_u32 s3, s18, 49
	s_mul_i32 s4, s18, 49
	v_mov_b32_e32 v10, s3
	v_subrev_co_u32_e32 v8, vcc, s4, v8
	v_subb_co_u32_e32 v9, vcc, v9, v10, vcc
	v_lshlrev_b64 v[8:9], 3, v[8:9]
	v_add_co_u32_e32 v10, vcc, 24, v8
	v_addc_co_u32_e32 v11, vcc, 0, v9, vcc
	v_mov_b32_e32 v9, s11
	v_add_co_u32_e32 v8, vcc, s10, v10
	v_addc_co_u32_e32 v9, vcc, v9, v11, vcc
	s_cmp_eq_u32 s19, 0
	v_mov_b32_e32 v12, s21
	v_add_co_u32_e32 v10, vcc, s20, v10
	s_mov_b32 s13, s2
	s_cselect_b64 s[0:1], -1, 0
	v_mul_hi_u32_u24_e32 v3, 48, v2
	v_mul_u32_u24_e32 v2, 48, v2
	v_addc_co_u32_e32 v11, vcc, v12, v11, vcc
	s_mov_b64 s[16:17], 0
	v_mov_b32_e32 v12, s2
	s_movk_i32 s19, 0x70
	s_movk_i32 s20, 0xa8
	;; [unrolled: 1-line block ×7, first 2 shown]
.LBB201_5:                              ; =>This Inner Loop Header: Depth=1
	v_add_co_u32_e32 v13, vcc, v6, v2
	v_addc_co_u32_e32 v16, vcc, v7, v3, vcc
	v_add_co_u32_e32 v17, vcc, 56, v6
	v_addc_co_u32_e32 v18, vcc, 0, v7, vcc
	;; [unrolled: 2-line block ×12, first 2 shown]
	global_load_dwordx2 v[26:27], v[4:5], off
	v_cndmask_b32_e64 v14, v6, v13, s[0:1]
	v_add_co_u32_e32 v13, vcc, 48, v13
	v_cndmask_b32_e64 v15, v7, v16, s[0:1]
	v_addc_co_u32_e32 v16, vcc, 0, v16, vcc
	v_cndmask_b32_e64 v29, v18, v29, s[0:1]
	v_cndmask_b32_e64 v28, v17, v28, s[0:1]
	global_load_dwordx2 v[14:15], v[14:15], off
	v_cndmask_b32_e64 v31, v20, v31, s[0:1]
	v_cndmask_b32_e64 v30, v19, v30, s[0:1]
	;; [unrolled: 1-line block ×10, first 2 shown]
	global_load_dwordx2 v[16:17], v[28:29], off
	global_load_dwordx2 v[18:19], v[30:31], off
	;; [unrolled: 1-line block ×6, first 2 shown]
	v_add_co_u32_e32 v0, vcc, 32, v0
	v_addc_co_u32_e32 v1, vcc, 0, v1, vcc
	v_add_co_u32_e32 v4, vcc, s24, v4
	v_addc_co_u32_e32 v5, vcc, 0, v5, vcc
	;; [unrolled: 2-line block ×3, first 2 shown]
	v_cmp_le_i64_e64 s[2:3], s[14:15], v[0:1]
	s_or_b64 s[16:17], s[2:3], s[16:17]
	s_waitcnt vmcnt(5)
	global_store_dwordx4 v[8:9], v[14:17], off offset:-24
	s_waitcnt vmcnt(4)
	global_store_dwordx4 v[8:9], v[18:21], off offset:-8
	s_waitcnt vmcnt(3)
	global_store_dwordx4 v[8:9], v[22:25], off offset:8
	s_waitcnt vmcnt(3)
	global_store_dwordx2 v[8:9], v[40:41], off offset:24
	v_subrev_co_u32_e32 v13, vcc, s18, v26
	v_subb_co_u32_e32 v27, vcc, v27, v12, vcc
	v_mad_u64_u32 v[28:29], s[2:3], v13, 7, s[12:13]
	v_mov_b32_e32 v30, v29
	v_add_co_u32_e32 v8, vcc, 0x700, v8
	v_mad_u64_u32 v[30:31], s[2:3], v27, 7, v[30:31]
	v_addc_co_u32_e32 v9, vcc, 0, v9, vcc
	v_mov_b32_e32 v26, v28
	v_mov_b32_e32 v13, v30
	v_add_co_u32_e64 v14, s[2:3], 2, v28
	v_add_co_u32_e64 v16, s[4:5], 3, v28
	v_add_co_u32_e64 v18, s[6:7], 4, v28
	v_add_co_u32_e64 v20, s[8:9], 5, v28
	v_add_co_u32_e64 v22, s[10:11], 6, v28
	v_add_co_u32_e32 v28, vcc, 1, v28
	v_mov_b32_e32 v27, v30
	v_addc_co_u32_e32 v29, vcc, 0, v13, vcc
	v_addc_co_u32_e64 v15, vcc, 0, v13, s[2:3]
	v_addc_co_u32_e64 v17, vcc, 0, v13, s[4:5]
	;; [unrolled: 1-line block ×5, first 2 shown]
	global_store_dwordx4 v[10:11], v[26:29], off offset:-24
	global_store_dwordx4 v[10:11], v[14:17], off offset:-8
	global_store_dwordx4 v[10:11], v[18:21], off offset:8
	global_store_dwordx2 v[10:11], v[22:23], off offset:24
	v_add_co_u32_e32 v10, vcc, 0x700, v10
	v_addc_co_u32_e32 v11, vcc, 0, v11, vcc
	s_andn2_b64 exec, exec, s[16:17]
	s_cbranch_execnz .LBB201_5
.LBB201_6:
	s_endpgm
	.section	.rodata,"a",@progbits
	.p2align	6, 0x0
	.amdhsa_kernel _ZN9rocsparseL32bsr2csr_block_per_row_2_7_kernelILj256ELj7E21rocsparse_complex_numIfEllEEv20rocsparse_direction_T3_S4_21rocsparse_index_base_PKT1_PKT2_PKS4_S4_S5_PS6_PS9_PS4_
		.amdhsa_group_segment_fixed_size 0
		.amdhsa_private_segment_fixed_size 0
		.amdhsa_kernarg_size 96
		.amdhsa_user_sgpr_count 6
		.amdhsa_user_sgpr_private_segment_buffer 1
		.amdhsa_user_sgpr_dispatch_ptr 0
		.amdhsa_user_sgpr_queue_ptr 0
		.amdhsa_user_sgpr_kernarg_segment_ptr 1
		.amdhsa_user_sgpr_dispatch_id 0
		.amdhsa_user_sgpr_flat_scratch_init 0
		.amdhsa_user_sgpr_kernarg_preload_length 0
		.amdhsa_user_sgpr_kernarg_preload_offset 0
		.amdhsa_user_sgpr_private_segment_size 0
		.amdhsa_uses_dynamic_stack 0
		.amdhsa_system_sgpr_private_segment_wavefront_offset 0
		.amdhsa_system_sgpr_workgroup_id_x 1
		.amdhsa_system_sgpr_workgroup_id_y 0
		.amdhsa_system_sgpr_workgroup_id_z 0
		.amdhsa_system_sgpr_workgroup_info 0
		.amdhsa_system_vgpr_workitem_id 0
		.amdhsa_next_free_vgpr 42
		.amdhsa_next_free_sgpr 26
		.amdhsa_accum_offset 44
		.amdhsa_reserve_vcc 1
		.amdhsa_reserve_flat_scratch 0
		.amdhsa_float_round_mode_32 0
		.amdhsa_float_round_mode_16_64 0
		.amdhsa_float_denorm_mode_32 3
		.amdhsa_float_denorm_mode_16_64 3
		.amdhsa_dx10_clamp 1
		.amdhsa_ieee_mode 1
		.amdhsa_fp16_overflow 0
		.amdhsa_tg_split 0
		.amdhsa_exception_fp_ieee_invalid_op 0
		.amdhsa_exception_fp_denorm_src 0
		.amdhsa_exception_fp_ieee_div_zero 0
		.amdhsa_exception_fp_ieee_overflow 0
		.amdhsa_exception_fp_ieee_underflow 0
		.amdhsa_exception_fp_ieee_inexact 0
		.amdhsa_exception_int_div_zero 0
	.end_amdhsa_kernel
	.section	.text._ZN9rocsparseL32bsr2csr_block_per_row_2_7_kernelILj256ELj7E21rocsparse_complex_numIfEllEEv20rocsparse_direction_T3_S4_21rocsparse_index_base_PKT1_PKT2_PKS4_S4_S5_PS6_PS9_PS4_,"axG",@progbits,_ZN9rocsparseL32bsr2csr_block_per_row_2_7_kernelILj256ELj7E21rocsparse_complex_numIfEllEEv20rocsparse_direction_T3_S4_21rocsparse_index_base_PKT1_PKT2_PKS4_S4_S5_PS6_PS9_PS4_,comdat
.Lfunc_end201:
	.size	_ZN9rocsparseL32bsr2csr_block_per_row_2_7_kernelILj256ELj7E21rocsparse_complex_numIfEllEEv20rocsparse_direction_T3_S4_21rocsparse_index_base_PKT1_PKT2_PKS4_S4_S5_PS6_PS9_PS4_, .Lfunc_end201-_ZN9rocsparseL32bsr2csr_block_per_row_2_7_kernelILj256ELj7E21rocsparse_complex_numIfEllEEv20rocsparse_direction_T3_S4_21rocsparse_index_base_PKT1_PKT2_PKS4_S4_S5_PS6_PS9_PS4_
                                        ; -- End function
	.section	.AMDGPU.csdata,"",@progbits
; Kernel info:
; codeLenInByte = 1104
; NumSgprs: 30
; NumVgprs: 42
; NumAgprs: 0
; TotalNumVgprs: 42
; ScratchSize: 0
; MemoryBound: 0
; FloatMode: 240
; IeeeMode: 1
; LDSByteSize: 0 bytes/workgroup (compile time only)
; SGPRBlocks: 3
; VGPRBlocks: 5
; NumSGPRsForWavesPerEU: 30
; NumVGPRsForWavesPerEU: 42
; AccumOffset: 44
; Occupancy: 8
; WaveLimiterHint : 0
; COMPUTE_PGM_RSRC2:SCRATCH_EN: 0
; COMPUTE_PGM_RSRC2:USER_SGPR: 6
; COMPUTE_PGM_RSRC2:TRAP_HANDLER: 0
; COMPUTE_PGM_RSRC2:TGID_X_EN: 1
; COMPUTE_PGM_RSRC2:TGID_Y_EN: 0
; COMPUTE_PGM_RSRC2:TGID_Z_EN: 0
; COMPUTE_PGM_RSRC2:TIDIG_COMP_CNT: 0
; COMPUTE_PGM_RSRC3_GFX90A:ACCUM_OFFSET: 10
; COMPUTE_PGM_RSRC3_GFX90A:TG_SPLIT: 0
	.section	.text._ZN9rocsparseL33bsr2csr_block_per_row_8_32_kernelILj1024ELj8E21rocsparse_complex_numIfEllEEv20rocsparse_direction_T3_S4_21rocsparse_index_base_PKT1_PKT2_PKS4_S4_S5_PS6_PS9_PS4_,"axG",@progbits,_ZN9rocsparseL33bsr2csr_block_per_row_8_32_kernelILj1024ELj8E21rocsparse_complex_numIfEllEEv20rocsparse_direction_T3_S4_21rocsparse_index_base_PKT1_PKT2_PKS4_S4_S5_PS6_PS9_PS4_,comdat
	.globl	_ZN9rocsparseL33bsr2csr_block_per_row_8_32_kernelILj1024ELj8E21rocsparse_complex_numIfEllEEv20rocsparse_direction_T3_S4_21rocsparse_index_base_PKT1_PKT2_PKS4_S4_S5_PS6_PS9_PS4_ ; -- Begin function _ZN9rocsparseL33bsr2csr_block_per_row_8_32_kernelILj1024ELj8E21rocsparse_complex_numIfEllEEv20rocsparse_direction_T3_S4_21rocsparse_index_base_PKT1_PKT2_PKS4_S4_S5_PS6_PS9_PS4_
	.p2align	8
	.type	_ZN9rocsparseL33bsr2csr_block_per_row_8_32_kernelILj1024ELj8E21rocsparse_complex_numIfEllEEv20rocsparse_direction_T3_S4_21rocsparse_index_base_PKT1_PKT2_PKS4_S4_S5_PS6_PS9_PS4_,@function
_ZN9rocsparseL33bsr2csr_block_per_row_8_32_kernelILj1024ELj8E21rocsparse_complex_numIfEllEEv20rocsparse_direction_T3_S4_21rocsparse_index_base_PKT1_PKT2_PKS4_S4_S5_PS6_PS9_PS4_: ; @_ZN9rocsparseL33bsr2csr_block_per_row_8_32_kernelILj1024ELj8E21rocsparse_complex_numIfEllEEv20rocsparse_direction_T3_S4_21rocsparse_index_base_PKT1_PKT2_PKS4_S4_S5_PS6_PS9_PS4_
; %bb.0:
	s_load_dwordx2 s[0:1], s[4:5], 0x28
	s_load_dword s16, s[4:5], 0x40
	s_load_dwordx2 s[2:3], s[4:5], 0x50
	s_mov_b32 s22, 0
	s_mov_b32 s7, s22
	s_lshl_b64 s[8:9], s[6:7], 3
	s_waitcnt lgkmcnt(0)
	s_add_u32 s10, s0, s8
	v_or_b32_e32 v1, s6, v0
	s_addc_u32 s11, s1, s9
	v_cmp_eq_u32_e32 vcc, 0, v1
	s_and_saveexec_b64 s[0:1], vcc
	s_cbranch_execz .LBB202_2
; %bb.1:
	v_mov_b32_e32 v2, s16
	v_mov_b32_e32 v3, 0
	global_store_dwordx2 v3, v[2:3], s[2:3]
.LBB202_2:
	s_or_b64 exec, exec, s[0:1]
	s_load_dwordx2 s[8:9], s[4:5], 0x38
	v_mov_b32_e32 v7, 0
	v_and_b32_e32 v6, 7, v0
	v_bfe_u32 v2, v0, 3, 3
	v_mov_b32_e32 v3, v7
	s_waitcnt lgkmcnt(0)
	v_cmp_gt_i64_e32 vcc, s[8:9], v[2:3]
	v_cmp_gt_i64_e64 s[0:1], s[8:9], v[6:7]
	s_and_b64 s[0:1], vcc, s[0:1]
	s_and_saveexec_b64 s[12:13], s[0:1]
	s_cbranch_execz .LBB202_6
; %bb.3:
	s_load_dwordx4 s[12:15], s[10:11], 0x0
	s_load_dword s23, s[4:5], 0x18
	s_mul_i32 s0, s8, s9
	s_mul_hi_u32 s1, s8, s8
	v_lshrrev_b32_e32 v8, 6, v0
	v_lshlrev_b32_e32 v3, 3, v2
	s_waitcnt lgkmcnt(0)
	s_sub_u32 s7, s12, s23
	s_subb_u32 s18, s13, 0
	s_sub_u32 s10, s14, s23
	s_subb_u32 s11, s15, 0
	s_add_i32 s1, s1, s0
	s_add_i32 s1, s1, s0
	s_mul_i32 s0, s8, s8
	s_mul_i32 s12, s7, s1
	s_mul_hi_u32 s13, s7, s0
	s_add_i32 s12, s13, s12
	s_mul_i32 s13, s18, s0
	s_add_i32 s13, s12, s13
	s_sub_u32 s20, s10, s7
	s_subb_u32 s19, s11, s18
	s_mul_i32 s14, s20, s9
	s_mul_hi_u32 s15, s20, s8
	s_add_i32 s14, s15, s14
	s_mul_i32 s15, s19, s8
	s_add_i32 s14, s14, s15
	s_mul_i32 s15, s20, s8
	s_add_u32 s21, s15, s16
	s_mul_i32 s12, s7, s0
	s_addc_u32 s24, s14, 0
	s_add_u32 s12, s21, s12
	s_addc_u32 s13, s24, s13
	v_pk_mov_b32 v[0:1], s[12:13], s[12:13] op_sel:[0,1]
	v_mad_u64_u32 v[0:1], s[12:13], s15, v2, v[0:1]
	v_mov_b32_e32 v4, v1
	v_mad_u64_u32 v[4:5], s[12:13], s14, v2, v[4:5]
	s_mul_i32 s12, s6, s9
	s_mul_hi_u32 s13, s6, s8
	s_add_i32 s13, s13, s12
	s_mul_i32 s12, s6, s8
	s_lshl_b64 s[12:13], s[12:13], 3
	s_add_u32 s2, s2, s12
	v_mov_b32_e32 v1, v4
	s_addc_u32 s3, s3, s13
	global_store_dwordx2 v3, v[0:1], s[2:3] offset:8
	v_mov_b32_e32 v1, s18
	v_add_co_u32_e32 v0, vcc, s7, v8
	v_addc_co_u32_e32 v1, vcc, 0, v1, vcc
	v_mov_b32_e32 v9, v7
	v_cmp_gt_i64_e32 vcc, s[10:11], v[0:1]
	s_and_b64 exec, exec, vcc
	s_cbranch_execz .LBB202_6
; %bb.4:
	s_load_dwordx2 s[2:3], s[4:5], 0x30
	s_load_dwordx2 s[12:13], s[4:5], 0x48
	;; [unrolled: 1-line block ×4, first 2 shown]
	s_load_dword s6, s[4:5], 0x0
	v_mad_u64_u32 v[10:11], s[4:5], v6, s8, 0
	v_mov_b32_e32 v12, v11
	v_mad_u64_u32 v[12:13], s[4:5], v6, s9, v[12:13]
	v_mov_b32_e32 v5, s22
	v_add_co_u32_e32 v4, vcc, s16, v6
	v_mov_b32_e32 v11, v12
	v_addc_co_u32_e32 v5, vcc, 0, v5, vcc
	v_lshlrev_b64 v[10:11], 3, v[10:11]
	s_waitcnt lgkmcnt(0)
	v_mov_b32_e32 v7, s25
	v_add_co_u32_e32 v10, vcc, s24, v10
	v_addc_co_u32_e32 v11, vcc, v7, v11, vcc
	v_add_co_u32_e32 v3, vcc, v10, v3
	v_addc_co_u32_e32 v14, vcc, 0, v11, vcc
	v_mad_u64_u32 v[10:11], s[4:5], v2, s8, 0
	v_mov_b32_e32 v12, v11
	v_mad_u64_u32 v[12:13], s[4:5], v2, s9, v[12:13]
	v_mov_b32_e32 v11, v12
	v_lshlrev_b64 v[10:11], 3, v[10:11]
	v_add_co_u32_e32 v10, vcc, s24, v10
	v_addc_co_u32_e32 v7, vcc, v7, v11, vcc
	v_lshlrev_b32_e32 v11, 3, v6
	v_add_co_u32_e32 v6, vcc, v10, v11
	s_cmp_eq_u32 s6, 0
	v_addc_co_u32_e32 v7, vcc, 0, v7, vcc
	s_cselect_b64 vcc, -1, 0
	v_cndmask_b32_e32 v10, v14, v7, vcc
	v_cndmask_b32_e32 v3, v3, v6, vcc
	v_mul_lo_u32 v12, s1, v0
	v_mul_lo_u32 v13, s0, v1
	v_mad_u64_u32 v[6:7], s[4:5], s0, v0, 0
	v_add3_u32 v7, v7, v13, v12
	v_lshlrev_b64 v[6:7], 3, v[6:7]
	v_add_co_u32_e32 v6, vcc, v3, v6
	s_lshl_b64 s[16:17], s[0:1], 7
	s_mul_i32 s0, s9, s7
	s_mul_i32 s1, s8, s18
	v_mov_b32_e32 v3, s7
	s_add_i32 s4, s1, s0
	v_mad_u64_u32 v[8:9], s[0:1], s8, v3, v[8:9]
	v_add_u32_e32 v9, s4, v9
	v_mad_u64_u32 v[8:9], s[0:1], s20, v2, v[8:9]
	v_addc_co_u32_e32 v7, vcc, v10, v7, vcc
	v_mov_b32_e32 v10, v9
	v_mad_u64_u32 v[2:3], s[0:1], s19, v2, v[10:11]
	v_mul_lo_u32 v9, s9, v8
	v_mul_lo_u32 v10, s8, v2
	v_mad_u64_u32 v[2:3], s[0:1], s8, v8, 0
	v_add3_u32 v3, v3, v10, v9
	v_lshlrev_b64 v[2:3], 3, v[2:3]
	v_add_co_u32_e32 v2, vcc, v2, v11
	v_addc_co_u32_e32 v3, vcc, 0, v3, vcc
	v_lshlrev_b64 v[8:9], 3, v[0:1]
	v_mov_b32_e32 v10, s3
	v_add_co_u32_e32 v8, vcc, s2, v8
	s_lshl_b64 s[18:19], s[8:9], 7
	v_addc_co_u32_e32 v9, vcc, v10, v9, vcc
	s_mov_b64 s[20:21], 0
.LBB202_5:                              ; =>This Inner Loop Header: Depth=1
	global_load_dwordx2 v[10:11], v[8:9], off
	global_load_dwordx2 v[12:13], v[6:7], off
	v_add_co_u32_e32 v0, vcc, 16, v0
	v_addc_co_u32_e32 v1, vcc, 0, v1, vcc
	v_add_co_u32_e32 v8, vcc, 0x80, v8
	v_addc_co_u32_e32 v9, vcc, 0, v9, vcc
	v_cmp_le_i64_e32 vcc, s[10:11], v[0:1]
	v_mov_b32_e32 v18, s22
	v_mov_b32_e32 v15, s15
	;; [unrolled: 1-line block ×3, first 2 shown]
	v_add_co_u32_e64 v14, s[0:1], s12, v2
	v_add_co_u32_e64 v16, s[4:5], s14, v2
	s_or_b64 s[20:21], vcc, s[20:21]
	v_addc_co_u32_e64 v17, s[4:5], v15, v3, s[4:5]
	v_addc_co_u32_e64 v15, s[0:1], v19, v3, s[0:1]
	v_mov_b32_e32 v20, s17
	v_add_co_u32_e64 v6, s[2:3], s16, v6
	v_mov_b32_e32 v21, s19
	v_add_co_u32_e64 v2, s[6:7], s18, v2
	v_addc_co_u32_e64 v7, s[0:1], v7, v20, s[2:3]
	v_addc_co_u32_e64 v3, s[0:1], v3, v21, s[6:7]
	s_waitcnt vmcnt(1)
	v_subrev_co_u32_e32 v10, vcc, s23, v10
	v_subb_co_u32_e32 v11, vcc, v11, v18, vcc
	s_waitcnt vmcnt(0)
	global_store_dwordx2 v[14:15], v[12:13], off
	v_mul_lo_u32 v12, v10, s9
	v_mul_lo_u32 v13, v11, s8
	v_mad_u64_u32 v[10:11], s[0:1], v10, s8, v[4:5]
	v_add3_u32 v11, v13, v11, v12
	global_store_dwordx2 v[16:17], v[10:11], off
	s_andn2_b64 exec, exec, s[20:21]
	s_cbranch_execnz .LBB202_5
.LBB202_6:
	s_endpgm
	.section	.rodata,"a",@progbits
	.p2align	6, 0x0
	.amdhsa_kernel _ZN9rocsparseL33bsr2csr_block_per_row_8_32_kernelILj1024ELj8E21rocsparse_complex_numIfEllEEv20rocsparse_direction_T3_S4_21rocsparse_index_base_PKT1_PKT2_PKS4_S4_S5_PS6_PS9_PS4_
		.amdhsa_group_segment_fixed_size 0
		.amdhsa_private_segment_fixed_size 0
		.amdhsa_kernarg_size 96
		.amdhsa_user_sgpr_count 6
		.amdhsa_user_sgpr_private_segment_buffer 1
		.amdhsa_user_sgpr_dispatch_ptr 0
		.amdhsa_user_sgpr_queue_ptr 0
		.amdhsa_user_sgpr_kernarg_segment_ptr 1
		.amdhsa_user_sgpr_dispatch_id 0
		.amdhsa_user_sgpr_flat_scratch_init 0
		.amdhsa_user_sgpr_kernarg_preload_length 0
		.amdhsa_user_sgpr_kernarg_preload_offset 0
		.amdhsa_user_sgpr_private_segment_size 0
		.amdhsa_uses_dynamic_stack 0
		.amdhsa_system_sgpr_private_segment_wavefront_offset 0
		.amdhsa_system_sgpr_workgroup_id_x 1
		.amdhsa_system_sgpr_workgroup_id_y 0
		.amdhsa_system_sgpr_workgroup_id_z 0
		.amdhsa_system_sgpr_workgroup_info 0
		.amdhsa_system_vgpr_workitem_id 0
		.amdhsa_next_free_vgpr 22
		.amdhsa_next_free_sgpr 26
		.amdhsa_accum_offset 24
		.amdhsa_reserve_vcc 1
		.amdhsa_reserve_flat_scratch 0
		.amdhsa_float_round_mode_32 0
		.amdhsa_float_round_mode_16_64 0
		.amdhsa_float_denorm_mode_32 3
		.amdhsa_float_denorm_mode_16_64 3
		.amdhsa_dx10_clamp 1
		.amdhsa_ieee_mode 1
		.amdhsa_fp16_overflow 0
		.amdhsa_tg_split 0
		.amdhsa_exception_fp_ieee_invalid_op 0
		.amdhsa_exception_fp_denorm_src 0
		.amdhsa_exception_fp_ieee_div_zero 0
		.amdhsa_exception_fp_ieee_overflow 0
		.amdhsa_exception_fp_ieee_underflow 0
		.amdhsa_exception_fp_ieee_inexact 0
		.amdhsa_exception_int_div_zero 0
	.end_amdhsa_kernel
	.section	.text._ZN9rocsparseL33bsr2csr_block_per_row_8_32_kernelILj1024ELj8E21rocsparse_complex_numIfEllEEv20rocsparse_direction_T3_S4_21rocsparse_index_base_PKT1_PKT2_PKS4_S4_S5_PS6_PS9_PS4_,"axG",@progbits,_ZN9rocsparseL33bsr2csr_block_per_row_8_32_kernelILj1024ELj8E21rocsparse_complex_numIfEllEEv20rocsparse_direction_T3_S4_21rocsparse_index_base_PKT1_PKT2_PKS4_S4_S5_PS6_PS9_PS4_,comdat
.Lfunc_end202:
	.size	_ZN9rocsparseL33bsr2csr_block_per_row_8_32_kernelILj1024ELj8E21rocsparse_complex_numIfEllEEv20rocsparse_direction_T3_S4_21rocsparse_index_base_PKT1_PKT2_PKS4_S4_S5_PS6_PS9_PS4_, .Lfunc_end202-_ZN9rocsparseL33bsr2csr_block_per_row_8_32_kernelILj1024ELj8E21rocsparse_complex_numIfEllEEv20rocsparse_direction_T3_S4_21rocsparse_index_base_PKT1_PKT2_PKS4_S4_S5_PS6_PS9_PS4_
                                        ; -- End function
	.section	.AMDGPU.csdata,"",@progbits
; Kernel info:
; codeLenInByte = 928
; NumSgprs: 30
; NumVgprs: 22
; NumAgprs: 0
; TotalNumVgprs: 22
; ScratchSize: 0
; MemoryBound: 0
; FloatMode: 240
; IeeeMode: 1
; LDSByteSize: 0 bytes/workgroup (compile time only)
; SGPRBlocks: 3
; VGPRBlocks: 2
; NumSGPRsForWavesPerEU: 30
; NumVGPRsForWavesPerEU: 22
; AccumOffset: 24
; Occupancy: 8
; WaveLimiterHint : 0
; COMPUTE_PGM_RSRC2:SCRATCH_EN: 0
; COMPUTE_PGM_RSRC2:USER_SGPR: 6
; COMPUTE_PGM_RSRC2:TRAP_HANDLER: 0
; COMPUTE_PGM_RSRC2:TGID_X_EN: 1
; COMPUTE_PGM_RSRC2:TGID_Y_EN: 0
; COMPUTE_PGM_RSRC2:TGID_Z_EN: 0
; COMPUTE_PGM_RSRC2:TIDIG_COMP_CNT: 0
; COMPUTE_PGM_RSRC3_GFX90A:ACCUM_OFFSET: 5
; COMPUTE_PGM_RSRC3_GFX90A:TG_SPLIT: 0
	.section	.text._ZN9rocsparseL33bsr2csr_block_per_row_8_32_kernelILj1024ELj16E21rocsparse_complex_numIfEllEEv20rocsparse_direction_T3_S4_21rocsparse_index_base_PKT1_PKT2_PKS4_S4_S5_PS6_PS9_PS4_,"axG",@progbits,_ZN9rocsparseL33bsr2csr_block_per_row_8_32_kernelILj1024ELj16E21rocsparse_complex_numIfEllEEv20rocsparse_direction_T3_S4_21rocsparse_index_base_PKT1_PKT2_PKS4_S4_S5_PS6_PS9_PS4_,comdat
	.globl	_ZN9rocsparseL33bsr2csr_block_per_row_8_32_kernelILj1024ELj16E21rocsparse_complex_numIfEllEEv20rocsparse_direction_T3_S4_21rocsparse_index_base_PKT1_PKT2_PKS4_S4_S5_PS6_PS9_PS4_ ; -- Begin function _ZN9rocsparseL33bsr2csr_block_per_row_8_32_kernelILj1024ELj16E21rocsparse_complex_numIfEllEEv20rocsparse_direction_T3_S4_21rocsparse_index_base_PKT1_PKT2_PKS4_S4_S5_PS6_PS9_PS4_
	.p2align	8
	.type	_ZN9rocsparseL33bsr2csr_block_per_row_8_32_kernelILj1024ELj16E21rocsparse_complex_numIfEllEEv20rocsparse_direction_T3_S4_21rocsparse_index_base_PKT1_PKT2_PKS4_S4_S5_PS6_PS9_PS4_,@function
_ZN9rocsparseL33bsr2csr_block_per_row_8_32_kernelILj1024ELj16E21rocsparse_complex_numIfEllEEv20rocsparse_direction_T3_S4_21rocsparse_index_base_PKT1_PKT2_PKS4_S4_S5_PS6_PS9_PS4_: ; @_ZN9rocsparseL33bsr2csr_block_per_row_8_32_kernelILj1024ELj16E21rocsparse_complex_numIfEllEEv20rocsparse_direction_T3_S4_21rocsparse_index_base_PKT1_PKT2_PKS4_S4_S5_PS6_PS9_PS4_
; %bb.0:
	s_load_dwordx2 s[0:1], s[4:5], 0x28
	s_load_dword s16, s[4:5], 0x40
	s_load_dwordx2 s[2:3], s[4:5], 0x50
	s_mov_b32 s22, 0
	s_mov_b32 s7, s22
	s_lshl_b64 s[8:9], s[6:7], 3
	s_waitcnt lgkmcnt(0)
	s_add_u32 s10, s0, s8
	v_or_b32_e32 v1, s6, v0
	s_addc_u32 s11, s1, s9
	v_cmp_eq_u32_e32 vcc, 0, v1
	s_and_saveexec_b64 s[0:1], vcc
	s_cbranch_execz .LBB203_2
; %bb.1:
	v_mov_b32_e32 v2, s16
	v_mov_b32_e32 v3, 0
	global_store_dwordx2 v3, v[2:3], s[2:3]
.LBB203_2:
	s_or_b64 exec, exec, s[0:1]
	s_load_dwordx2 s[8:9], s[4:5], 0x38
	v_mov_b32_e32 v7, 0
	v_and_b32_e32 v6, 15, v0
	v_bfe_u32 v2, v0, 4, 4
	v_mov_b32_e32 v3, v7
	s_waitcnt lgkmcnt(0)
	v_cmp_gt_i64_e32 vcc, s[8:9], v[2:3]
	v_cmp_gt_i64_e64 s[0:1], s[8:9], v[6:7]
	s_and_b64 s[0:1], vcc, s[0:1]
	s_and_saveexec_b64 s[12:13], s[0:1]
	s_cbranch_execz .LBB203_6
; %bb.3:
	s_load_dwordx4 s[12:15], s[10:11], 0x0
	s_load_dword s23, s[4:5], 0x18
	s_mul_i32 s0, s8, s9
	s_mul_hi_u32 s1, s8, s8
	v_lshrrev_b32_e32 v8, 8, v0
	v_lshlrev_b32_e32 v3, 3, v2
	s_waitcnt lgkmcnt(0)
	s_sub_u32 s7, s12, s23
	s_subb_u32 s18, s13, 0
	s_sub_u32 s10, s14, s23
	s_subb_u32 s11, s15, 0
	s_add_i32 s1, s1, s0
	s_add_i32 s1, s1, s0
	s_mul_i32 s0, s8, s8
	s_mul_i32 s12, s7, s1
	s_mul_hi_u32 s13, s7, s0
	s_add_i32 s12, s13, s12
	s_mul_i32 s13, s18, s0
	s_add_i32 s13, s12, s13
	s_sub_u32 s20, s10, s7
	s_subb_u32 s19, s11, s18
	s_mul_i32 s14, s20, s9
	s_mul_hi_u32 s15, s20, s8
	s_add_i32 s14, s15, s14
	s_mul_i32 s15, s19, s8
	s_add_i32 s14, s14, s15
	s_mul_i32 s15, s20, s8
	s_add_u32 s21, s15, s16
	s_mul_i32 s12, s7, s0
	s_addc_u32 s24, s14, 0
	s_add_u32 s12, s21, s12
	s_addc_u32 s13, s24, s13
	v_pk_mov_b32 v[0:1], s[12:13], s[12:13] op_sel:[0,1]
	v_mad_u64_u32 v[0:1], s[12:13], s15, v2, v[0:1]
	v_mov_b32_e32 v4, v1
	v_mad_u64_u32 v[4:5], s[12:13], s14, v2, v[4:5]
	s_mul_i32 s12, s6, s9
	s_mul_hi_u32 s13, s6, s8
	s_add_i32 s13, s13, s12
	s_mul_i32 s12, s6, s8
	s_lshl_b64 s[12:13], s[12:13], 3
	s_add_u32 s2, s2, s12
	v_mov_b32_e32 v1, v4
	s_addc_u32 s3, s3, s13
	global_store_dwordx2 v3, v[0:1], s[2:3] offset:8
	v_mov_b32_e32 v1, s18
	v_add_co_u32_e32 v0, vcc, s7, v8
	v_addc_co_u32_e32 v1, vcc, 0, v1, vcc
	v_mov_b32_e32 v9, v7
	v_cmp_gt_i64_e32 vcc, s[10:11], v[0:1]
	s_and_b64 exec, exec, vcc
	s_cbranch_execz .LBB203_6
; %bb.4:
	s_load_dwordx2 s[2:3], s[4:5], 0x30
	s_load_dwordx2 s[12:13], s[4:5], 0x48
	;; [unrolled: 1-line block ×4, first 2 shown]
	s_load_dword s6, s[4:5], 0x0
	v_mad_u64_u32 v[10:11], s[4:5], v6, s8, 0
	v_mov_b32_e32 v12, v11
	v_mad_u64_u32 v[12:13], s[4:5], v6, s9, v[12:13]
	v_mov_b32_e32 v5, s22
	v_add_co_u32_e32 v4, vcc, s16, v6
	v_mov_b32_e32 v11, v12
	v_addc_co_u32_e32 v5, vcc, 0, v5, vcc
	v_lshlrev_b64 v[10:11], 3, v[10:11]
	s_waitcnt lgkmcnt(0)
	v_mov_b32_e32 v7, s25
	v_add_co_u32_e32 v10, vcc, s24, v10
	v_addc_co_u32_e32 v11, vcc, v7, v11, vcc
	v_add_co_u32_e32 v3, vcc, v10, v3
	v_addc_co_u32_e32 v14, vcc, 0, v11, vcc
	v_mad_u64_u32 v[10:11], s[4:5], v2, s8, 0
	v_mov_b32_e32 v12, v11
	v_mad_u64_u32 v[12:13], s[4:5], v2, s9, v[12:13]
	v_mov_b32_e32 v11, v12
	v_lshlrev_b64 v[10:11], 3, v[10:11]
	v_add_co_u32_e32 v10, vcc, s24, v10
	v_addc_co_u32_e32 v7, vcc, v7, v11, vcc
	v_lshlrev_b32_e32 v11, 3, v6
	v_add_co_u32_e32 v6, vcc, v10, v11
	s_cmp_eq_u32 s6, 0
	v_addc_co_u32_e32 v7, vcc, 0, v7, vcc
	s_cselect_b64 vcc, -1, 0
	v_cndmask_b32_e32 v10, v14, v7, vcc
	v_cndmask_b32_e32 v3, v3, v6, vcc
	v_mul_lo_u32 v12, s1, v0
	v_mul_lo_u32 v13, s0, v1
	v_mad_u64_u32 v[6:7], s[4:5], s0, v0, 0
	v_add3_u32 v7, v7, v13, v12
	v_lshlrev_b64 v[6:7], 3, v[6:7]
	v_add_co_u32_e32 v6, vcc, v3, v6
	s_lshl_b64 s[16:17], s[0:1], 5
	s_mul_i32 s0, s9, s7
	s_mul_i32 s1, s8, s18
	v_mov_b32_e32 v3, s7
	s_add_i32 s4, s1, s0
	v_mad_u64_u32 v[8:9], s[0:1], s8, v3, v[8:9]
	v_add_u32_e32 v9, s4, v9
	v_mad_u64_u32 v[8:9], s[0:1], s20, v2, v[8:9]
	v_addc_co_u32_e32 v7, vcc, v10, v7, vcc
	v_mov_b32_e32 v10, v9
	v_mad_u64_u32 v[2:3], s[0:1], s19, v2, v[10:11]
	v_mul_lo_u32 v9, s9, v8
	v_mul_lo_u32 v10, s8, v2
	v_mad_u64_u32 v[2:3], s[0:1], s8, v8, 0
	v_add3_u32 v3, v3, v10, v9
	v_lshlrev_b64 v[2:3], 3, v[2:3]
	v_add_co_u32_e32 v2, vcc, v2, v11
	v_addc_co_u32_e32 v3, vcc, 0, v3, vcc
	v_lshlrev_b64 v[8:9], 3, v[0:1]
	v_mov_b32_e32 v10, s3
	v_add_co_u32_e32 v8, vcc, s2, v8
	s_lshl_b64 s[18:19], s[8:9], 5
	v_addc_co_u32_e32 v9, vcc, v10, v9, vcc
	s_mov_b64 s[20:21], 0
.LBB203_5:                              ; =>This Inner Loop Header: Depth=1
	global_load_dwordx2 v[10:11], v[8:9], off
	global_load_dwordx2 v[12:13], v[6:7], off
	v_add_co_u32_e64 v0, s[2:3], 4, v0
	v_addc_co_u32_e64 v1, s[2:3], 0, v1, s[2:3]
	v_mov_b32_e32 v15, s15
	v_add_co_u32_e32 v14, vcc, s14, v2
	v_mov_b32_e32 v17, s13
	v_add_co_u32_e64 v16, s[0:1], s12, v2
	v_mov_b32_e32 v19, s17
	v_add_co_u32_e64 v6, s[2:3], s16, v6
	;; [unrolled: 2-line block ×3, first 2 shown]
	v_addc_co_u32_e32 v15, vcc, v15, v3, vcc
	v_addc_co_u32_e64 v17, vcc, v17, v3, s[0:1]
	v_addc_co_u32_e64 v7, vcc, v7, v19, s[2:3]
	;; [unrolled: 1-line block ×3, first 2 shown]
	v_cmp_le_i64_e32 vcc, s[10:11], v[0:1]
	v_mov_b32_e32 v18, s22
	s_or_b64 s[20:21], vcc, s[20:21]
	v_add_co_u32_e64 v8, s[6:7], 32, v8
	v_addc_co_u32_e64 v9, s[6:7], 0, v9, s[6:7]
	s_waitcnt vmcnt(1)
	v_subrev_co_u32_e32 v10, vcc, s23, v10
	v_subb_co_u32_e32 v11, vcc, v11, v18, vcc
	s_waitcnt vmcnt(0)
	global_store_dwordx2 v[16:17], v[12:13], off
	v_mul_lo_u32 v12, v10, s9
	v_mul_lo_u32 v13, v11, s8
	v_mad_u64_u32 v[10:11], s[0:1], v10, s8, v[4:5]
	v_add3_u32 v11, v13, v11, v12
	global_store_dwordx2 v[14:15], v[10:11], off
	s_andn2_b64 exec, exec, s[20:21]
	s_cbranch_execnz .LBB203_5
.LBB203_6:
	s_endpgm
	.section	.rodata,"a",@progbits
	.p2align	6, 0x0
	.amdhsa_kernel _ZN9rocsparseL33bsr2csr_block_per_row_8_32_kernelILj1024ELj16E21rocsparse_complex_numIfEllEEv20rocsparse_direction_T3_S4_21rocsparse_index_base_PKT1_PKT2_PKS4_S4_S5_PS6_PS9_PS4_
		.amdhsa_group_segment_fixed_size 0
		.amdhsa_private_segment_fixed_size 0
		.amdhsa_kernarg_size 96
		.amdhsa_user_sgpr_count 6
		.amdhsa_user_sgpr_private_segment_buffer 1
		.amdhsa_user_sgpr_dispatch_ptr 0
		.amdhsa_user_sgpr_queue_ptr 0
		.amdhsa_user_sgpr_kernarg_segment_ptr 1
		.amdhsa_user_sgpr_dispatch_id 0
		.amdhsa_user_sgpr_flat_scratch_init 0
		.amdhsa_user_sgpr_kernarg_preload_length 0
		.amdhsa_user_sgpr_kernarg_preload_offset 0
		.amdhsa_user_sgpr_private_segment_size 0
		.amdhsa_uses_dynamic_stack 0
		.amdhsa_system_sgpr_private_segment_wavefront_offset 0
		.amdhsa_system_sgpr_workgroup_id_x 1
		.amdhsa_system_sgpr_workgroup_id_y 0
		.amdhsa_system_sgpr_workgroup_id_z 0
		.amdhsa_system_sgpr_workgroup_info 0
		.amdhsa_system_vgpr_workitem_id 0
		.amdhsa_next_free_vgpr 21
		.amdhsa_next_free_sgpr 26
		.amdhsa_accum_offset 24
		.amdhsa_reserve_vcc 1
		.amdhsa_reserve_flat_scratch 0
		.amdhsa_float_round_mode_32 0
		.amdhsa_float_round_mode_16_64 0
		.amdhsa_float_denorm_mode_32 3
		.amdhsa_float_denorm_mode_16_64 3
		.amdhsa_dx10_clamp 1
		.amdhsa_ieee_mode 1
		.amdhsa_fp16_overflow 0
		.amdhsa_tg_split 0
		.amdhsa_exception_fp_ieee_invalid_op 0
		.amdhsa_exception_fp_denorm_src 0
		.amdhsa_exception_fp_ieee_div_zero 0
		.amdhsa_exception_fp_ieee_overflow 0
		.amdhsa_exception_fp_ieee_underflow 0
		.amdhsa_exception_fp_ieee_inexact 0
		.amdhsa_exception_int_div_zero 0
	.end_amdhsa_kernel
	.section	.text._ZN9rocsparseL33bsr2csr_block_per_row_8_32_kernelILj1024ELj16E21rocsparse_complex_numIfEllEEv20rocsparse_direction_T3_S4_21rocsparse_index_base_PKT1_PKT2_PKS4_S4_S5_PS6_PS9_PS4_,"axG",@progbits,_ZN9rocsparseL33bsr2csr_block_per_row_8_32_kernelILj1024ELj16E21rocsparse_complex_numIfEllEEv20rocsparse_direction_T3_S4_21rocsparse_index_base_PKT1_PKT2_PKS4_S4_S5_PS6_PS9_PS4_,comdat
.Lfunc_end203:
	.size	_ZN9rocsparseL33bsr2csr_block_per_row_8_32_kernelILj1024ELj16E21rocsparse_complex_numIfEllEEv20rocsparse_direction_T3_S4_21rocsparse_index_base_PKT1_PKT2_PKS4_S4_S5_PS6_PS9_PS4_, .Lfunc_end203-_ZN9rocsparseL33bsr2csr_block_per_row_8_32_kernelILj1024ELj16E21rocsparse_complex_numIfEllEEv20rocsparse_direction_T3_S4_21rocsparse_index_base_PKT1_PKT2_PKS4_S4_S5_PS6_PS9_PS4_
                                        ; -- End function
	.section	.AMDGPU.csdata,"",@progbits
; Kernel info:
; codeLenInByte = 932
; NumSgprs: 30
; NumVgprs: 21
; NumAgprs: 0
; TotalNumVgprs: 21
; ScratchSize: 0
; MemoryBound: 0
; FloatMode: 240
; IeeeMode: 1
; LDSByteSize: 0 bytes/workgroup (compile time only)
; SGPRBlocks: 3
; VGPRBlocks: 2
; NumSGPRsForWavesPerEU: 30
; NumVGPRsForWavesPerEU: 21
; AccumOffset: 24
; Occupancy: 8
; WaveLimiterHint : 0
; COMPUTE_PGM_RSRC2:SCRATCH_EN: 0
; COMPUTE_PGM_RSRC2:USER_SGPR: 6
; COMPUTE_PGM_RSRC2:TRAP_HANDLER: 0
; COMPUTE_PGM_RSRC2:TGID_X_EN: 1
; COMPUTE_PGM_RSRC2:TGID_Y_EN: 0
; COMPUTE_PGM_RSRC2:TGID_Z_EN: 0
; COMPUTE_PGM_RSRC2:TIDIG_COMP_CNT: 0
; COMPUTE_PGM_RSRC3_GFX90A:ACCUM_OFFSET: 5
; COMPUTE_PGM_RSRC3_GFX90A:TG_SPLIT: 0
	.section	.text._ZN9rocsparseL33bsr2csr_block_per_row_8_32_kernelILj1024ELj32E21rocsparse_complex_numIfEllEEv20rocsparse_direction_T3_S4_21rocsparse_index_base_PKT1_PKT2_PKS4_S4_S5_PS6_PS9_PS4_,"axG",@progbits,_ZN9rocsparseL33bsr2csr_block_per_row_8_32_kernelILj1024ELj32E21rocsparse_complex_numIfEllEEv20rocsparse_direction_T3_S4_21rocsparse_index_base_PKT1_PKT2_PKS4_S4_S5_PS6_PS9_PS4_,comdat
	.globl	_ZN9rocsparseL33bsr2csr_block_per_row_8_32_kernelILj1024ELj32E21rocsparse_complex_numIfEllEEv20rocsparse_direction_T3_S4_21rocsparse_index_base_PKT1_PKT2_PKS4_S4_S5_PS6_PS9_PS4_ ; -- Begin function _ZN9rocsparseL33bsr2csr_block_per_row_8_32_kernelILj1024ELj32E21rocsparse_complex_numIfEllEEv20rocsparse_direction_T3_S4_21rocsparse_index_base_PKT1_PKT2_PKS4_S4_S5_PS6_PS9_PS4_
	.p2align	8
	.type	_ZN9rocsparseL33bsr2csr_block_per_row_8_32_kernelILj1024ELj32E21rocsparse_complex_numIfEllEEv20rocsparse_direction_T3_S4_21rocsparse_index_base_PKT1_PKT2_PKS4_S4_S5_PS6_PS9_PS4_,@function
_ZN9rocsparseL33bsr2csr_block_per_row_8_32_kernelILj1024ELj32E21rocsparse_complex_numIfEllEEv20rocsparse_direction_T3_S4_21rocsparse_index_base_PKT1_PKT2_PKS4_S4_S5_PS6_PS9_PS4_: ; @_ZN9rocsparseL33bsr2csr_block_per_row_8_32_kernelILj1024ELj32E21rocsparse_complex_numIfEllEEv20rocsparse_direction_T3_S4_21rocsparse_index_base_PKT1_PKT2_PKS4_S4_S5_PS6_PS9_PS4_
; %bb.0:
	s_load_dwordx2 s[0:1], s[4:5], 0x28
	s_load_dword s22, s[4:5], 0x40
	s_load_dwordx2 s[16:17], s[4:5], 0x50
	s_mov_b32 s9, 0
	s_mov_b32 s7, s9
	s_lshl_b64 s[2:3], s[6:7], 3
	s_waitcnt lgkmcnt(0)
	s_add_u32 s12, s0, s2
	v_or_b32_e32 v1, s6, v0
	s_addc_u32 s13, s1, s3
	v_cmp_eq_u32_e32 vcc, 0, v1
	s_and_saveexec_b64 s[0:1], vcc
	s_cbranch_execz .LBB204_2
; %bb.1:
	v_mov_b32_e32 v2, s22
	v_mov_b32_e32 v3, 0
	global_store_dwordx2 v3, v[2:3], s[16:17]
.LBB204_2:
	s_or_b64 exec, exec, s[0:1]
	s_load_dwordx2 s[10:11], s[4:5], 0x38
	v_mov_b32_e32 v5, 0
	v_and_b32_e32 v4, 31, v0
	v_lshrrev_b32_e32 v0, 5, v0
	v_mov_b32_e32 v1, v5
	s_waitcnt lgkmcnt(0)
	v_cmp_gt_i64_e32 vcc, s[10:11], v[0:1]
	v_cmp_gt_i64_e64 s[0:1], s[10:11], v[4:5]
	s_and_b64 s[0:1], vcc, s[0:1]
	s_and_saveexec_b64 s[2:3], s[0:1]
	s_cbranch_execz .LBB204_6
; %bb.3:
	s_load_dwordx4 s[0:3], s[12:13], 0x0
	s_load_dword s8, s[4:5], 0x18
	s_mul_i32 s7, s10, s11
	s_mul_hi_u32 s18, s10, s10
	v_lshlrev_b32_e32 v1, 3, v0
	s_waitcnt lgkmcnt(0)
	s_sub_u32 s12, s0, s8
	s_subb_u32 s13, s1, 0
	s_sub_u32 s14, s2, s8
	s_subb_u32 s15, s3, 0
	s_add_i32 s18, s18, s7
	s_add_i32 s19, s18, s7
	s_mul_i32 s18, s10, s10
	s_mul_i32 s7, s12, s19
	s_mul_hi_u32 s20, s12, s18
	s_add_i32 s7, s20, s7
	s_mul_i32 s20, s13, s18
	s_add_i32 s21, s7, s20
	s_sub_u32 s24, s14, s12
	s_subb_u32 s23, s15, s13
	s_mul_i32 s7, s24, s11
	s_mul_hi_u32 s25, s24, s10
	s_add_i32 s7, s25, s7
	s_mul_i32 s25, s23, s10
	s_add_i32 s7, s7, s25
	s_mul_i32 s28, s24, s10
	s_add_u32 s26, s28, s22
	s_mul_i32 s20, s12, s18
	s_addc_u32 s27, s7, 0
	s_add_u32 s26, s26, s20
	s_addc_u32 s27, s27, s21
	v_pk_mov_b32 v[2:3], s[26:27], s[26:27] op_sel:[0,1]
	v_mad_u64_u32 v[2:3], s[26:27], s28, v0, v[2:3]
	v_mov_b32_e32 v6, v3
	v_mad_u64_u32 v[6:7], s[26:27], s7, v0, v[6:7]
	s_mul_i32 s7, s6, s11
	s_mul_hi_u32 s26, s6, s10
	s_add_i32 s7, s26, s7
	s_mul_i32 s6, s6, s10
	s_lshl_b64 s[6:7], s[6:7], 3
	s_add_u32 s6, s16, s6
	v_mov_b32_e32 v3, v6
	s_addc_u32 s7, s17, s7
	global_store_dwordx2 v1, v[2:3], s[6:7] offset:8
	v_pk_mov_b32 v[2:3], s[2:3], s[2:3] op_sel:[0,1]
	v_cmp_ge_i64_e32 vcc, s[0:1], v[2:3]
	s_cbranch_vccnz .LBB204_6
; %bb.4:
	s_load_dwordx2 s[26:27], s[4:5], 0x30
	s_load_dwordx2 s[2:3], s[4:5], 0x48
	;; [unrolled: 1-line block ×4, first 2 shown]
	s_load_dword s28, s[4:5], 0x0
	v_mad_u64_u32 v[6:7], s[4:5], v4, s10, 0
	v_mov_b32_e32 v8, v7
	v_mad_u64_u32 v[8:9], s[4:5], v4, s11, v[8:9]
	v_mov_b32_e32 v3, s9
	v_add_co_u32_e32 v2, vcc, s22, v4
	v_mov_b32_e32 v7, v8
	v_addc_co_u32_e32 v3, vcc, 0, v3, vcc
	v_lshlrev_b64 v[6:7], 3, v[6:7]
	s_waitcnt lgkmcnt(0)
	v_mov_b32_e32 v5, s17
	v_add_co_u32_e32 v6, vcc, s16, v6
	v_addc_co_u32_e32 v7, vcc, v5, v7, vcc
	v_add_co_u32_e32 v1, vcc, v6, v1
	v_addc_co_u32_e32 v10, vcc, 0, v7, vcc
	v_mad_u64_u32 v[6:7], s[4:5], v0, s10, 0
	v_mov_b32_e32 v8, v7
	v_mad_u64_u32 v[8:9], s[4:5], v0, s11, v[8:9]
	v_mov_b32_e32 v7, v8
	v_lshlrev_b64 v[6:7], 3, v[6:7]
	v_add_co_u32_e32 v6, vcc, s16, v6
	v_addc_co_u32_e32 v5, vcc, v5, v7, vcc
	v_lshlrev_b32_e32 v9, 3, v4
	v_add_co_u32_e32 v4, vcc, v6, v9
	s_cmp_eq_u32 s28, 0
	v_addc_co_u32_e32 v5, vcc, 0, v5, vcc
	s_cselect_b64 vcc, -1, 0
	s_mul_i32 s16, s10, s13
	s_mul_hi_u32 s17, s10, s12
	v_cndmask_b32_e32 v1, v1, v4, vcc
	s_lshl_b64 s[4:5], s[20:21], 3
	s_add_i32 s16, s17, s16
	s_mul_i32 s17, s11, s12
	v_cndmask_b32_e32 v5, v10, v5, vcc
	v_mov_b32_e32 v6, s5
	v_add_co_u32_e32 v4, vcc, s4, v1
	s_add_i32 s16, s16, s17
	s_mul_i32 s17, s10, s12
	v_addc_co_u32_e32 v5, vcc, v5, v6, vcc
	v_mov_b32_e32 v6, s17
	v_mov_b32_e32 v7, s16
	v_mad_u64_u32 v[6:7], s[16:17], v0, s24, v[6:7]
	v_mov_b32_e32 v8, v7
	v_mad_u64_u32 v[0:1], s[16:17], v0, s23, v[8:9]
	v_mul_lo_u32 v8, s10, v0
	v_mad_u64_u32 v[0:1], s[16:17], s10, v6, 0
	s_lshl_b64 s[4:5], s[18:19], 3
	v_mul_lo_u32 v7, s11, v6
	s_lshl_b64 s[16:17], s[10:11], 3
	s_lshl_b64 s[0:1], s[0:1], 3
	;; [unrolled: 1-line block ×3, first 2 shown]
	v_add3_u32 v1, v1, v8, v7
	s_sub_u32 s0, s0, s18
	v_lshlrev_b64 v[0:1], 3, v[0:1]
	s_subb_u32 s1, s1, s19
	v_add_co_u32_e32 v0, vcc, v0, v9
	s_add_u32 s0, s26, s0
	v_addc_co_u32_e32 v1, vcc, 0, v1, vcc
	s_addc_u32 s1, s27, s1
	v_mov_b32_e32 v8, s10
	v_mov_b32_e32 v9, s7
	;; [unrolled: 1-line block ×5, first 2 shown]
	v_pk_mov_b32 v[6:7], s[14:15], s[14:15] op_sel:[0,1]
.LBB204_5:                              ; =>This Inner Loop Header: Depth=1
	global_load_dwordx2 v[14:15], v[4:5], off
	s_load_dwordx2 s[14:15], s[0:1], 0x0
	v_add_co_u32_e32 v16, vcc, s6, v0
	v_addc_co_u32_e32 v17, vcc, v9, v1, vcc
	v_add_co_u32_e32 v18, vcc, s2, v0
	s_waitcnt lgkmcnt(0)
	s_sub_u32 s3, s14, s8
	v_addc_co_u32_e32 v19, vcc, v10, v1, vcc
	s_subb_u32 s5, s15, 0
	v_add_co_u32_e32 v4, vcc, s4, v4
	s_mul_i32 s7, s3, s11
	s_mul_i32 s5, s5, s10
	v_addc_co_u32_e32 v5, vcc, v5, v11, vcc
	s_add_i32 s7, s7, s5
	v_add_co_u32_e32 v0, vcc, s16, v0
	s_add_u32 s12, s12, 1
	v_addc_co_u32_e32 v1, vcc, v1, v12, vcc
	s_addc_u32 s13, s13, 0
	v_mad_u64_u32 v[20:21], s[14:15], s3, v8, v[2:3]
	s_add_u32 s0, s0, 8
	v_cmp_lt_i64_e32 vcc, s[12:13], v[6:7]
	v_add_u32_e32 v21, s7, v21
	s_addc_u32 s1, s1, 0
	global_store_dwordx2 v[16:17], v[20:21], off
	s_waitcnt vmcnt(1)
	global_store_dwordx2 v[18:19], v[14:15], off
	s_cbranch_vccnz .LBB204_5
.LBB204_6:
	s_endpgm
	.section	.rodata,"a",@progbits
	.p2align	6, 0x0
	.amdhsa_kernel _ZN9rocsparseL33bsr2csr_block_per_row_8_32_kernelILj1024ELj32E21rocsparse_complex_numIfEllEEv20rocsparse_direction_T3_S4_21rocsparse_index_base_PKT1_PKT2_PKS4_S4_S5_PS6_PS9_PS4_
		.amdhsa_group_segment_fixed_size 0
		.amdhsa_private_segment_fixed_size 0
		.amdhsa_kernarg_size 96
		.amdhsa_user_sgpr_count 6
		.amdhsa_user_sgpr_private_segment_buffer 1
		.amdhsa_user_sgpr_dispatch_ptr 0
		.amdhsa_user_sgpr_queue_ptr 0
		.amdhsa_user_sgpr_kernarg_segment_ptr 1
		.amdhsa_user_sgpr_dispatch_id 0
		.amdhsa_user_sgpr_flat_scratch_init 0
		.amdhsa_user_sgpr_kernarg_preload_length 0
		.amdhsa_user_sgpr_kernarg_preload_offset 0
		.amdhsa_user_sgpr_private_segment_size 0
		.amdhsa_uses_dynamic_stack 0
		.amdhsa_system_sgpr_private_segment_wavefront_offset 0
		.amdhsa_system_sgpr_workgroup_id_x 1
		.amdhsa_system_sgpr_workgroup_id_y 0
		.amdhsa_system_sgpr_workgroup_id_z 0
		.amdhsa_system_sgpr_workgroup_info 0
		.amdhsa_system_vgpr_workitem_id 0
		.amdhsa_next_free_vgpr 22
		.amdhsa_next_free_sgpr 29
		.amdhsa_accum_offset 24
		.amdhsa_reserve_vcc 1
		.amdhsa_reserve_flat_scratch 0
		.amdhsa_float_round_mode_32 0
		.amdhsa_float_round_mode_16_64 0
		.amdhsa_float_denorm_mode_32 3
		.amdhsa_float_denorm_mode_16_64 3
		.amdhsa_dx10_clamp 1
		.amdhsa_ieee_mode 1
		.amdhsa_fp16_overflow 0
		.amdhsa_tg_split 0
		.amdhsa_exception_fp_ieee_invalid_op 0
		.amdhsa_exception_fp_denorm_src 0
		.amdhsa_exception_fp_ieee_div_zero 0
		.amdhsa_exception_fp_ieee_overflow 0
		.amdhsa_exception_fp_ieee_underflow 0
		.amdhsa_exception_fp_ieee_inexact 0
		.amdhsa_exception_int_div_zero 0
	.end_amdhsa_kernel
	.section	.text._ZN9rocsparseL33bsr2csr_block_per_row_8_32_kernelILj1024ELj32E21rocsparse_complex_numIfEllEEv20rocsparse_direction_T3_S4_21rocsparse_index_base_PKT1_PKT2_PKS4_S4_S5_PS6_PS9_PS4_,"axG",@progbits,_ZN9rocsparseL33bsr2csr_block_per_row_8_32_kernelILj1024ELj32E21rocsparse_complex_numIfEllEEv20rocsparse_direction_T3_S4_21rocsparse_index_base_PKT1_PKT2_PKS4_S4_S5_PS6_PS9_PS4_,comdat
.Lfunc_end204:
	.size	_ZN9rocsparseL33bsr2csr_block_per_row_8_32_kernelILj1024ELj32E21rocsparse_complex_numIfEllEEv20rocsparse_direction_T3_S4_21rocsparse_index_base_PKT1_PKT2_PKS4_S4_S5_PS6_PS9_PS4_, .Lfunc_end204-_ZN9rocsparseL33bsr2csr_block_per_row_8_32_kernelILj1024ELj32E21rocsparse_complex_numIfEllEEv20rocsparse_direction_T3_S4_21rocsparse_index_base_PKT1_PKT2_PKS4_S4_S5_PS6_PS9_PS4_
                                        ; -- End function
	.section	.AMDGPU.csdata,"",@progbits
; Kernel info:
; codeLenInByte = 836
; NumSgprs: 33
; NumVgprs: 22
; NumAgprs: 0
; TotalNumVgprs: 22
; ScratchSize: 0
; MemoryBound: 0
; FloatMode: 240
; IeeeMode: 1
; LDSByteSize: 0 bytes/workgroup (compile time only)
; SGPRBlocks: 4
; VGPRBlocks: 2
; NumSGPRsForWavesPerEU: 33
; NumVGPRsForWavesPerEU: 22
; AccumOffset: 24
; Occupancy: 8
; WaveLimiterHint : 0
; COMPUTE_PGM_RSRC2:SCRATCH_EN: 0
; COMPUTE_PGM_RSRC2:USER_SGPR: 6
; COMPUTE_PGM_RSRC2:TRAP_HANDLER: 0
; COMPUTE_PGM_RSRC2:TGID_X_EN: 1
; COMPUTE_PGM_RSRC2:TGID_Y_EN: 0
; COMPUTE_PGM_RSRC2:TGID_Z_EN: 0
; COMPUTE_PGM_RSRC2:TIDIG_COMP_CNT: 0
; COMPUTE_PGM_RSRC3_GFX90A:ACCUM_OFFSET: 5
; COMPUTE_PGM_RSRC3_GFX90A:TG_SPLIT: 0
	.section	.text._ZN9rocsparseL35bsr2csr_block_per_row_33_256_kernelILj1024ELj64ELj32E21rocsparse_complex_numIfEllEEv20rocsparse_direction_T4_S4_21rocsparse_index_base_PKT2_PKT3_PKS4_S4_S5_PS6_PS9_PS4_,"axG",@progbits,_ZN9rocsparseL35bsr2csr_block_per_row_33_256_kernelILj1024ELj64ELj32E21rocsparse_complex_numIfEllEEv20rocsparse_direction_T4_S4_21rocsparse_index_base_PKT2_PKT3_PKS4_S4_S5_PS6_PS9_PS4_,comdat
	.globl	_ZN9rocsparseL35bsr2csr_block_per_row_33_256_kernelILj1024ELj64ELj32E21rocsparse_complex_numIfEllEEv20rocsparse_direction_T4_S4_21rocsparse_index_base_PKT2_PKT3_PKS4_S4_S5_PS6_PS9_PS4_ ; -- Begin function _ZN9rocsparseL35bsr2csr_block_per_row_33_256_kernelILj1024ELj64ELj32E21rocsparse_complex_numIfEllEEv20rocsparse_direction_T4_S4_21rocsparse_index_base_PKT2_PKT3_PKS4_S4_S5_PS6_PS9_PS4_
	.p2align	8
	.type	_ZN9rocsparseL35bsr2csr_block_per_row_33_256_kernelILj1024ELj64ELj32E21rocsparse_complex_numIfEllEEv20rocsparse_direction_T4_S4_21rocsparse_index_base_PKT2_PKT3_PKS4_S4_S5_PS6_PS9_PS4_,@function
_ZN9rocsparseL35bsr2csr_block_per_row_33_256_kernelILj1024ELj64ELj32E21rocsparse_complex_numIfEllEEv20rocsparse_direction_T4_S4_21rocsparse_index_base_PKT2_PKT3_PKS4_S4_S5_PS6_PS9_PS4_: ; @_ZN9rocsparseL35bsr2csr_block_per_row_33_256_kernelILj1024ELj64ELj32E21rocsparse_complex_numIfEllEEv20rocsparse_direction_T4_S4_21rocsparse_index_base_PKT2_PKT3_PKS4_S4_S5_PS6_PS9_PS4_
; %bb.0:
	s_load_dwordx2 s[2:3], s[4:5], 0x28
	s_load_dword s12, s[4:5], 0x40
	s_load_dwordx2 s[0:1], s[4:5], 0x50
	s_mov_b32 s15, 0
	s_mov_b32 s7, s15
	s_lshl_b64 s[8:9], s[6:7], 3
	s_waitcnt lgkmcnt(0)
	s_add_u32 s2, s2, s8
	s_addc_u32 s3, s3, s9
	s_load_dwordx4 s[8:11], s[2:3], 0x0
	v_or_b32_e32 v1, s6, v0
	v_cmp_eq_u32_e32 vcc, 0, v1
	s_and_saveexec_b64 s[2:3], vcc
	s_cbranch_execz .LBB205_2
; %bb.1:
	s_mov_b32 s13, s15
	v_mov_b32_e32 v1, 0
	v_pk_mov_b32 v[2:3], s[12:13], s[12:13] op_sel:[0,1]
	global_store_dwordx2 v1, v[2:3], s[0:1]
.LBB205_2:
	s_or_b64 exec, exec, s[2:3]
	s_load_dword s14, s[4:5], 0x18
	s_load_dwordx2 s[16:17], s[4:5], 0x38
	v_mov_b32_e32 v15, 0
	v_lshrrev_b32_e32 v14, 5, v0
	v_lshlrev_b32_e32 v12, 3, v14
	s_waitcnt lgkmcnt(0)
	s_sub_u32 s18, s8, s14
	s_subb_u32 s19, s9, 0
	s_mul_i32 s2, s18, s17
	s_sub_u32 s20, s10, s14
	s_mul_hi_u32 s3, s18, s16
	s_subb_u32 s21, s11, 0
	s_add_i32 s2, s3, s2
	s_mul_i32 s3, s19, s16
	s_mul_i32 s30, s18, s16
	s_add_i32 s31, s2, s3
	s_mul_i32 s2, s30, s17
	s_mul_hi_u32 s3, s30, s16
	s_add_i32 s2, s3, s2
	s_mul_i32 s3, s31, s16
	s_add_i32 s2, s2, s3
	s_sub_u32 s33, s20, s18
	s_subb_u32 s13, s21, s19
	s_mul_i32 s7, s33, s17
	s_mul_hi_u32 s22, s33, s16
	s_add_i32 s7, s22, s7
	s_mul_i32 s22, s13, s16
	s_mul_i32 s3, s30, s16
	s_add_i32 s26, s7, s22
	s_add_u32 s3, s3, s12
	s_mul_i32 s27, s33, s16
	s_addc_u32 s2, s2, 0
	s_add_u32 s22, s3, s27
	s_addc_u32 s23, s2, s26
	s_mul_i32 s2, s6, s17
	s_mul_hi_u32 s3, s6, s16
	s_add_i32 s3, s3, s2
	s_mul_i32 s2, s6, s16
	s_lshl_b64 s[2:3], s[2:3], 3
	s_add_u32 s0, s0, s2
	s_addc_u32 s1, s1, s3
	v_cmp_gt_i64_e64 s[2:3], s[16:17], v[14:15]
	s_and_saveexec_b64 s[6:7], s[2:3]
	s_cbranch_execz .LBB205_4
; %bb.3:
	v_pk_mov_b32 v[2:3], s[22:23], s[22:23] op_sel:[0,1]
	v_mad_u64_u32 v[2:3], s[24:25], v14, s27, v[2:3]
	v_mov_b32_e32 v4, v3
	v_mad_u64_u32 v[4:5], s[24:25], v14, s26, v[4:5]
	v_mov_b32_e32 v3, v4
	global_store_dwordx2 v12, v[2:3], s[0:1] offset:8
.LBB205_4:
	s_or_b64 exec, exec, s[6:7]
	v_or_b32_e32 v2, 32, v14
	v_mov_b32_e32 v3, v15
	v_cmp_gt_i64_e64 s[6:7], s[16:17], v[2:3]
	s_and_saveexec_b64 s[24:25], s[6:7]
	s_cbranch_execz .LBB205_6
; %bb.5:
	v_pk_mov_b32 v[4:5], s[22:23], s[22:23] op_sel:[0,1]
	v_mad_u64_u32 v[4:5], s[22:23], v2, s27, v[4:5]
	v_mov_b32_e32 v6, v5
	s_add_u32 s0, s0, 8
	v_mad_u64_u32 v[2:3], s[22:23], v2, s26, v[6:7]
	s_addc_u32 s1, s1, 0
	v_mov_b32_e32 v5, v2
	global_store_dwordx2 v12, v[4:5], s[0:1] offset:256
.LBB205_6:
	s_or_b64 exec, exec, s[24:25]
	v_pk_mov_b32 v[2:3], s[10:11], s[10:11] op_sel:[0,1]
	v_cmp_lt_i64_e32 vcc, s[8:9], v[2:3]
	s_cbranch_vccz .LBB205_17
; %bb.7:
	s_load_dwordx2 s[28:29], s[4:5], 0x30
	s_load_dwordx2 s[34:35], s[4:5], 0x48
	s_load_dword s0, s[4:5], 0x0
	s_load_dwordx2 s[22:23], s[4:5], 0x20
	s_load_dwordx2 s[36:37], s[4:5], 0x58
	v_and_b32_e32 v0, 31, v0
	v_mov_b32_e32 v1, 0
	s_waitcnt lgkmcnt(0)
	s_cmp_eq_u32 s0, 0
	s_cselect_b64 s[0:1], -1, 0
	v_cmp_gt_i64_e32 vcc, s[16:17], v[0:1]
	v_or_b32_e32 v2, 32, v0
	v_mov_b32_e32 v3, v1
	s_lshl_b64 s[38:39], s[30:31], 3
	s_and_b64 s[24:25], s[2:3], vcc
	v_cmp_gt_i64_e64 s[4:5], s[16:17], v[2:3]
	s_and_b64 s[26:27], s[6:7], vcc
	v_mov_b32_e32 v13, v1
	v_mov_b32_e32 v1, s39
	v_add_co_u32_e32 v3, vcc, s38, v12
	v_addc_co_u32_e32 v5, vcc, 0, v1, vcc
	s_movk_i32 s42, 0x100
	v_add_co_u32_e32 v6, vcc, s42, v3
	v_addc_co_u32_e32 v7, vcc, 0, v5, vcc
	v_pk_mov_b32 v[8:9], s[22:23], s[22:23] op_sel:[0,1]
	s_and_b64 s[2:3], s[2:3], s[4:5]
	s_and_b64 s[4:5], s[6:7], s[4:5]
	v_lshlrev_b32_e32 v4, 3, v0
	v_mul_lo_u32 v10, s16, v7
	v_mul_lo_u32 v11, s17, v6
	v_mad_u64_u32 v[6:7], s[6:7], s16, v6, v[8:9]
	v_add3_u32 v7, v11, v7, v10
	v_mul_lo_u32 v10, s17, v3
	v_mad_u64_u32 v[8:9], s[40:41], s16, v3, v[8:9]
	v_add_co_u32_e32 v3, vcc, s38, v4
	v_mul_lo_u32 v5, s16, v5
	v_addc_co_u32_e32 v1, vcc, 0, v1, vcc
	v_add3_u32 v9, v10, v9, v5
	v_add_co_u32_e32 v5, vcc, s42, v3
	v_addc_co_u32_e32 v10, vcc, 0, v1, vcc
	v_mul_lo_u32 v15, s16, v10
	v_mul_lo_u32 v16, s17, v5
	v_mad_u64_u32 v[10:11], s[38:39], s16, v5, v[12:13]
	v_add3_u32 v11, v16, v11, v15
	v_pk_mov_b32 v[16:17], s[30:31], s[30:31] op_sel:[0,1]
	v_mad_u64_u32 v[16:17], s[30:31], v14, s33, v[16:17]
	v_mov_b32_e32 v18, v17
	s_mul_i32 s6, s16, s17
	s_mul_hi_u32 s7, s16, s16
	v_mul_lo_u32 v1, s16, v1
	v_mul_lo_u32 v5, s17, v3
	v_mad_u64_u32 v[12:13], s[38:39], s16, v3, v[12:13]
	v_mad_u64_u32 v[14:15], s[30:31], v14, s13, v[18:19]
	s_add_i32 s7, s7, s6
	v_add3_u32 v13, v5, v13, v1
	v_mov_b32_e32 v3, v14
	v_mul_lo_u32 v1, s17, v16
	v_mul_lo_u32 v5, s16, v14
	v_mad_u64_u32 v[14:15], s[30:31], s16, v16, 0
	s_add_i32 s7, s7, s6
	s_mul_i32 s6, s16, s16
	v_add3_u32 v15, v15, v5, v1
	s_lshl_b64 s[6:7], s[6:7], 3
	s_lshl_b64 s[38:39], s[8:9], 3
	;; [unrolled: 1-line block ×3, first 2 shown]
	v_lshlrev_b64 v[14:15], 3, v[14:15]
	s_sub_u32 s15, s38, s40
	v_add_co_u32_e32 v20, vcc, s42, v14
	s_subb_u32 s38, s39, s41
	v_addc_co_u32_e32 v15, vcc, 0, v15, vcc
	s_add_u32 s28, s28, s15
	v_mov_b32_e32 v5, s37
	v_add_co_u32_e32 v14, vcc, s36, v20
	s_addc_u32 s29, s29, s38
	v_addc_co_u32_e32 v1, vcc, v5, v15, vcc
	s_lshl_b64 s[10:11], s[10:11], 5
	v_mov_b32_e32 v17, s11
	v_add_co_u32_e32 v16, vcc, s10, v16
	v_addc_co_u32_e32 v3, vcc, v3, v17, vcc
	s_lshl_b64 s[8:9], s[8:9], 5
	v_mov_b32_e32 v17, s9
	v_subrev_co_u32_e32 v16, vcc, s8, v16
	v_subb_co_u32_e32 v3, vcc, v3, v17, vcc
	v_mul_lo_u32 v18, s17, v16
	v_mul_lo_u32 v3, s16, v3
	v_mad_u64_u32 v[16:17], s[8:9], s16, v16, 0
	v_add3_u32 v17, v17, v3, v18
	v_lshlrev_b64 v[18:19], 3, v[16:17]
	v_mov_b32_e32 v17, s35
	v_add_co_u32_e32 v16, vcc, s34, v18
	v_addc_co_u32_e32 v3, vcc, v17, v19, vcc
	v_add_co_u32_e32 v18, vcc, s36, v18
	v_addc_co_u32_e32 v5, vcc, v5, v19, vcc
	v_add_co_u32_e32 v20, vcc, s34, v20
	s_lshl_b64 s[30:31], s[16:17], 3
	v_addc_co_u32_e32 v15, vcc, v17, v15, vcc
	s_branch .LBB205_9
.LBB205_8:                              ;   in Loop: Header=BB205_9 Depth=1
	s_or_b64 exec, exec, s[8:9]
	v_mov_b32_e32 v17, s7
	v_add_co_u32_e32 v6, vcc, s6, v6
	v_addc_co_u32_e32 v7, vcc, v7, v17, vcc
	v_add_co_u32_e32 v8, vcc, s6, v8
	v_addc_co_u32_e32 v9, vcc, v9, v17, vcc
	v_mov_b32_e32 v17, s31
	v_add_co_u32_e32 v14, vcc, s30, v14
	v_addc_co_u32_e32 v1, vcc, v1, v17, vcc
	v_add_co_u32_e32 v16, vcc, s30, v16
	v_addc_co_u32_e32 v3, vcc, v3, v17, vcc
	s_add_u32 s18, s18, 1
	v_add_co_u32_e32 v18, vcc, s30, v18
	s_addc_u32 s19, s19, 0
	v_addc_co_u32_e32 v5, vcc, v5, v17, vcc
	s_add_u32 s22, s22, s6
	v_add_co_u32_e32 v20, vcc, s30, v20
	s_addc_u32 s23, s23, s7
	v_addc_co_u32_e32 v15, vcc, v15, v17, vcc
	v_pk_mov_b32 v[22:23], s[20:21], s[20:21] op_sel:[0,1]
	s_add_u32 s28, s28, 8
	v_cmp_ge_i64_e32 vcc, s[18:19], v[22:23]
	s_addc_u32 s29, s29, 0
	s_cbranch_vccnz .LBB205_17
.LBB205_9:                              ; =>This Inner Loop Header: Depth=1
	s_load_dwordx2 s[8:9], s[28:29], 0x0
	s_waitcnt lgkmcnt(0)
	s_sub_u32 s8, s8, s14
	s_subb_u32 s9, s9, 0
	s_mul_i32 s10, s8, s17
	s_mul_hi_u32 s11, s8, s16
	s_add_i32 s10, s11, s10
	s_mul_i32 s9, s9, s16
	s_add_i32 s9, s10, s9
	s_mul_i32 s8, s8, s16
	s_add_u32 s10, s8, s12
	s_addc_u32 s11, s9, 0
	s_and_saveexec_b64 s[8:9], s[24:25]
	s_cbranch_execnz .LBB205_13
; %bb.10:                               ;   in Loop: Header=BB205_9 Depth=1
	s_or_b64 exec, exec, s[8:9]
	s_and_saveexec_b64 s[8:9], s[2:3]
	s_cbranch_execnz .LBB205_14
.LBB205_11:                             ;   in Loop: Header=BB205_9 Depth=1
	s_or_b64 exec, exec, s[8:9]
	s_and_saveexec_b64 s[8:9], s[26:27]
	s_cbranch_execnz .LBB205_15
.LBB205_12:                             ;   in Loop: Header=BB205_9 Depth=1
	s_or_b64 exec, exec, s[8:9]
	s_and_saveexec_b64 s[8:9], s[4:5]
	s_cbranch_execz .LBB205_8
	s_branch .LBB205_16
.LBB205_13:                             ;   in Loop: Header=BB205_9 Depth=1
	v_add_co_u32_e32 v17, vcc, v8, v4
	v_addc_co_u32_e32 v19, vcc, 0, v9, vcc
	v_mov_b32_e32 v21, s23
	v_add_co_u32_e32 v22, vcc, s22, v12
	v_addc_co_u32_e32 v21, vcc, v21, v13, vcc
	v_cndmask_b32_e64 v23, v21, v19, s[0:1]
	v_cndmask_b32_e64 v22, v22, v17, s[0:1]
	global_load_dwordx2 v[22:23], v[22:23], off
	v_mov_b32_e32 v17, s11
	v_add_co_u32_e32 v24, vcc, s10, v0
	v_addc_co_u32_e32 v25, vcc, 0, v17, vcc
	v_add_co_u32_e32 v26, vcc, v14, v4
	v_addc_co_u32_e32 v27, vcc, 0, v1, vcc
	global_store_dwordx2 v[26:27], v[24:25], off offset:-256
	v_add_co_u32_e32 v24, vcc, v20, v4
	v_addc_co_u32_e32 v25, vcc, 0, v15, vcc
	s_waitcnt vmcnt(1)
	global_store_dwordx2 v[24:25], v[22:23], off offset:-256
	s_or_b64 exec, exec, s[8:9]
	s_and_saveexec_b64 s[8:9], s[2:3]
	s_cbranch_execz .LBB205_11
.LBB205_14:                             ;   in Loop: Header=BB205_9 Depth=1
	v_add_co_u32_e32 v17, vcc, v8, v4
	v_addc_co_u32_e32 v19, vcc, 0, v9, vcc
	v_add_co_u32_e32 v17, vcc, 0x100, v17
	v_addc_co_u32_e32 v19, vcc, 0, v19, vcc
	v_mov_b32_e32 v21, s23
	v_add_co_u32_e32 v22, vcc, s22, v10
	v_addc_co_u32_e32 v21, vcc, v21, v11, vcc
	v_cndmask_b32_e64 v23, v21, v19, s[0:1]
	v_cndmask_b32_e64 v22, v22, v17, s[0:1]
	global_load_dwordx2 v[22:23], v[22:23], off
	v_mov_b32_e32 v17, s11
	v_add_co_u32_e32 v24, vcc, s10, v2
	v_addc_co_u32_e32 v25, vcc, 0, v17, vcc
	v_add_co_u32_e32 v26, vcc, v14, v4
	v_addc_co_u32_e32 v27, vcc, 0, v1, vcc
	global_store_dwordx2 v[26:27], v[24:25], off
	v_add_co_u32_e32 v24, vcc, v20, v4
	v_addc_co_u32_e32 v25, vcc, 0, v15, vcc
	s_waitcnt vmcnt(1)
	global_store_dwordx2 v[24:25], v[22:23], off
	s_or_b64 exec, exec, s[8:9]
	s_and_saveexec_b64 s[8:9], s[26:27]
	s_cbranch_execz .LBB205_12
.LBB205_15:                             ;   in Loop: Header=BB205_9 Depth=1
	v_add_co_u32_e32 v17, vcc, v6, v4
	v_addc_co_u32_e32 v19, vcc, 0, v7, vcc
	v_mov_b32_e32 v21, s23
	v_add_co_u32_e32 v22, vcc, s22, v12
	v_addc_co_u32_e32 v21, vcc, v21, v13, vcc
	v_add_co_u32_e32 v22, vcc, 0x100, v22
	v_addc_co_u32_e32 v21, vcc, 0, v21, vcc
	v_cndmask_b32_e64 v23, v21, v19, s[0:1]
	v_cndmask_b32_e64 v22, v22, v17, s[0:1]
	global_load_dwordx2 v[22:23], v[22:23], off
	v_mov_b32_e32 v17, s11
	v_add_co_u32_e32 v24, vcc, s10, v0
	v_addc_co_u32_e32 v25, vcc, 0, v17, vcc
	v_add_co_u32_e32 v26, vcc, v18, v4
	v_addc_co_u32_e32 v27, vcc, 0, v5, vcc
	global_store_dwordx2 v[26:27], v[24:25], off
	v_add_co_u32_e32 v24, vcc, v16, v4
	v_addc_co_u32_e32 v25, vcc, 0, v3, vcc
	s_waitcnt vmcnt(1)
	global_store_dwordx2 v[24:25], v[22:23], off
	s_or_b64 exec, exec, s[8:9]
	s_and_saveexec_b64 s[8:9], s[4:5]
	s_cbranch_execz .LBB205_8
.LBB205_16:                             ;   in Loop: Header=BB205_9 Depth=1
	v_add_co_u32_e32 v17, vcc, v6, v4
	v_addc_co_u32_e32 v19, vcc, 0, v7, vcc
	v_mov_b32_e32 v21, s23
	v_add_co_u32_e32 v22, vcc, s22, v10
	v_addc_co_u32_e32 v21, vcc, v21, v11, vcc
	v_cndmask_b32_e64 v23, v21, v19, s[0:1]
	v_cndmask_b32_e64 v22, v22, v17, s[0:1]
	global_load_dwordx2 v[22:23], v[22:23], off offset:256
	v_mov_b32_e32 v17, s11
	v_add_co_u32_e32 v24, vcc, s10, v2
	v_addc_co_u32_e32 v25, vcc, 0, v17, vcc
	v_add_co_u32_e32 v26, vcc, v18, v4
	v_addc_co_u32_e32 v27, vcc, 0, v5, vcc
	global_store_dwordx2 v[26:27], v[24:25], off offset:256
	v_add_co_u32_e32 v24, vcc, v16, v4
	v_addc_co_u32_e32 v25, vcc, 0, v3, vcc
	s_waitcnt vmcnt(1)
	global_store_dwordx2 v[24:25], v[22:23], off offset:256
	s_branch .LBB205_8
.LBB205_17:
	s_endpgm
	.section	.rodata,"a",@progbits
	.p2align	6, 0x0
	.amdhsa_kernel _ZN9rocsparseL35bsr2csr_block_per_row_33_256_kernelILj1024ELj64ELj32E21rocsparse_complex_numIfEllEEv20rocsparse_direction_T4_S4_21rocsparse_index_base_PKT2_PKT3_PKS4_S4_S5_PS6_PS9_PS4_
		.amdhsa_group_segment_fixed_size 0
		.amdhsa_private_segment_fixed_size 0
		.amdhsa_kernarg_size 96
		.amdhsa_user_sgpr_count 6
		.amdhsa_user_sgpr_private_segment_buffer 1
		.amdhsa_user_sgpr_dispatch_ptr 0
		.amdhsa_user_sgpr_queue_ptr 0
		.amdhsa_user_sgpr_kernarg_segment_ptr 1
		.amdhsa_user_sgpr_dispatch_id 0
		.amdhsa_user_sgpr_flat_scratch_init 0
		.amdhsa_user_sgpr_kernarg_preload_length 0
		.amdhsa_user_sgpr_kernarg_preload_offset 0
		.amdhsa_user_sgpr_private_segment_size 0
		.amdhsa_uses_dynamic_stack 0
		.amdhsa_system_sgpr_private_segment_wavefront_offset 0
		.amdhsa_system_sgpr_workgroup_id_x 1
		.amdhsa_system_sgpr_workgroup_id_y 0
		.amdhsa_system_sgpr_workgroup_id_z 0
		.amdhsa_system_sgpr_workgroup_info 0
		.amdhsa_system_vgpr_workitem_id 0
		.amdhsa_next_free_vgpr 28
		.amdhsa_next_free_sgpr 43
		.amdhsa_accum_offset 28
		.amdhsa_reserve_vcc 1
		.amdhsa_reserve_flat_scratch 0
		.amdhsa_float_round_mode_32 0
		.amdhsa_float_round_mode_16_64 0
		.amdhsa_float_denorm_mode_32 3
		.amdhsa_float_denorm_mode_16_64 3
		.amdhsa_dx10_clamp 1
		.amdhsa_ieee_mode 1
		.amdhsa_fp16_overflow 0
		.amdhsa_tg_split 0
		.amdhsa_exception_fp_ieee_invalid_op 0
		.amdhsa_exception_fp_denorm_src 0
		.amdhsa_exception_fp_ieee_div_zero 0
		.amdhsa_exception_fp_ieee_overflow 0
		.amdhsa_exception_fp_ieee_underflow 0
		.amdhsa_exception_fp_ieee_inexact 0
		.amdhsa_exception_int_div_zero 0
	.end_amdhsa_kernel
	.section	.text._ZN9rocsparseL35bsr2csr_block_per_row_33_256_kernelILj1024ELj64ELj32E21rocsparse_complex_numIfEllEEv20rocsparse_direction_T4_S4_21rocsparse_index_base_PKT2_PKT3_PKS4_S4_S5_PS6_PS9_PS4_,"axG",@progbits,_ZN9rocsparseL35bsr2csr_block_per_row_33_256_kernelILj1024ELj64ELj32E21rocsparse_complex_numIfEllEEv20rocsparse_direction_T4_S4_21rocsparse_index_base_PKT2_PKT3_PKS4_S4_S5_PS6_PS9_PS4_,comdat
.Lfunc_end205:
	.size	_ZN9rocsparseL35bsr2csr_block_per_row_33_256_kernelILj1024ELj64ELj32E21rocsparse_complex_numIfEllEEv20rocsparse_direction_T4_S4_21rocsparse_index_base_PKT2_PKT3_PKS4_S4_S5_PS6_PS9_PS4_, .Lfunc_end205-_ZN9rocsparseL35bsr2csr_block_per_row_33_256_kernelILj1024ELj64ELj32E21rocsparse_complex_numIfEllEEv20rocsparse_direction_T4_S4_21rocsparse_index_base_PKT2_PKT3_PKS4_S4_S5_PS6_PS9_PS4_
                                        ; -- End function
	.section	.AMDGPU.csdata,"",@progbits
; Kernel info:
; codeLenInByte = 1592
; NumSgprs: 47
; NumVgprs: 28
; NumAgprs: 0
; TotalNumVgprs: 28
; ScratchSize: 0
; MemoryBound: 0
; FloatMode: 240
; IeeeMode: 1
; LDSByteSize: 0 bytes/workgroup (compile time only)
; SGPRBlocks: 5
; VGPRBlocks: 3
; NumSGPRsForWavesPerEU: 47
; NumVGPRsForWavesPerEU: 28
; AccumOffset: 28
; Occupancy: 8
; WaveLimiterHint : 1
; COMPUTE_PGM_RSRC2:SCRATCH_EN: 0
; COMPUTE_PGM_RSRC2:USER_SGPR: 6
; COMPUTE_PGM_RSRC2:TRAP_HANDLER: 0
; COMPUTE_PGM_RSRC2:TGID_X_EN: 1
; COMPUTE_PGM_RSRC2:TGID_Y_EN: 0
; COMPUTE_PGM_RSRC2:TGID_Z_EN: 0
; COMPUTE_PGM_RSRC2:TIDIG_COMP_CNT: 0
; COMPUTE_PGM_RSRC3_GFX90A:ACCUM_OFFSET: 6
; COMPUTE_PGM_RSRC3_GFX90A:TG_SPLIT: 0
	.section	.text._ZN9rocsparseL35bsr2csr_block_per_row_33_256_kernelILj1024ELj128ELj32E21rocsparse_complex_numIfEllEEv20rocsparse_direction_T4_S4_21rocsparse_index_base_PKT2_PKT3_PKS4_S4_S5_PS6_PS9_PS4_,"axG",@progbits,_ZN9rocsparseL35bsr2csr_block_per_row_33_256_kernelILj1024ELj128ELj32E21rocsparse_complex_numIfEllEEv20rocsparse_direction_T4_S4_21rocsparse_index_base_PKT2_PKT3_PKS4_S4_S5_PS6_PS9_PS4_,comdat
	.globl	_ZN9rocsparseL35bsr2csr_block_per_row_33_256_kernelILj1024ELj128ELj32E21rocsparse_complex_numIfEllEEv20rocsparse_direction_T4_S4_21rocsparse_index_base_PKT2_PKT3_PKS4_S4_S5_PS6_PS9_PS4_ ; -- Begin function _ZN9rocsparseL35bsr2csr_block_per_row_33_256_kernelILj1024ELj128ELj32E21rocsparse_complex_numIfEllEEv20rocsparse_direction_T4_S4_21rocsparse_index_base_PKT2_PKT3_PKS4_S4_S5_PS6_PS9_PS4_
	.p2align	8
	.type	_ZN9rocsparseL35bsr2csr_block_per_row_33_256_kernelILj1024ELj128ELj32E21rocsparse_complex_numIfEllEEv20rocsparse_direction_T4_S4_21rocsparse_index_base_PKT2_PKT3_PKS4_S4_S5_PS6_PS9_PS4_,@function
_ZN9rocsparseL35bsr2csr_block_per_row_33_256_kernelILj1024ELj128ELj32E21rocsparse_complex_numIfEllEEv20rocsparse_direction_T4_S4_21rocsparse_index_base_PKT2_PKT3_PKS4_S4_S5_PS6_PS9_PS4_: ; @_ZN9rocsparseL35bsr2csr_block_per_row_33_256_kernelILj1024ELj128ELj32E21rocsparse_complex_numIfEllEEv20rocsparse_direction_T4_S4_21rocsparse_index_base_PKT2_PKT3_PKS4_S4_S5_PS6_PS9_PS4_
; %bb.0:
	s_load_dwordx2 s[2:3], s[4:5], 0x28
	s_load_dword s20, s[4:5], 0x40
	s_load_dwordx2 s[0:1], s[4:5], 0x50
	s_mov_b32 s23, 0
	s_mov_b32 s7, s23
	s_lshl_b64 s[8:9], s[6:7], 3
	s_waitcnt lgkmcnt(0)
	s_add_u32 s2, s2, s8
	s_addc_u32 s3, s3, s9
	s_load_dwordx4 s[16:19], s[2:3], 0x0
	v_or_b32_e32 v1, s6, v0
	v_cmp_eq_u32_e32 vcc, 0, v1
	s_and_saveexec_b64 s[2:3], vcc
	s_cbranch_execz .LBB206_2
; %bb.1:
	s_mov_b32 s21, s23
	v_mov_b32_e32 v1, 0
	v_pk_mov_b32 v[2:3], s[20:21], s[20:21] op_sel:[0,1]
	global_store_dwordx2 v1, v[2:3], s[0:1]
.LBB206_2:
	s_or_b64 exec, exec, s[2:3]
	s_load_dword s22, s[4:5], 0x18
	s_load_dwordx2 s[24:25], s[4:5], 0x38
	v_mov_b32_e32 v27, 0
	v_lshrrev_b32_e32 v26, 5, v0
	v_lshlrev_b32_e32 v24, 3, v26
	s_waitcnt lgkmcnt(0)
	s_sub_u32 s26, s16, s22
	s_subb_u32 s27, s17, 0
	s_mul_i32 s2, s26, s25
	s_sub_u32 s28, s18, s22
	s_mul_hi_u32 s3, s26, s24
	s_subb_u32 s29, s19, 0
	s_add_i32 s2, s3, s2
	s_mul_i32 s3, s27, s24
	s_mul_i32 s56, s26, s24
	s_add_i32 s57, s2, s3
	s_mul_i32 s2, s56, s25
	s_mul_hi_u32 s3, s56, s24
	s_add_i32 s2, s3, s2
	s_mul_i32 s3, s57, s24
	s_add_i32 s2, s2, s3
	s_sub_u32 s33, s28, s26
	s_subb_u32 s21, s29, s27
	s_mul_i32 s7, s33, s25
	s_mul_hi_u32 s8, s33, s24
	s_add_i32 s7, s8, s7
	s_mul_i32 s8, s21, s24
	s_mul_i32 s3, s56, s24
	s_add_i32 s30, s7, s8
	s_add_u32 s3, s3, s20
	s_mul_i32 s31, s33, s24
	s_addc_u32 s2, s2, 0
	s_add_u32 s12, s3, s31
	s_addc_u32 s13, s2, s30
	s_mul_i32 s2, s6, s25
	s_mul_hi_u32 s3, s6, s24
	s_add_i32 s3, s3, s2
	s_mul_i32 s2, s6, s24
	s_lshl_b64 s[2:3], s[2:3], 3
	s_add_u32 s0, s0, s2
	s_addc_u32 s1, s1, s3
	v_cmp_gt_i64_e64 s[2:3], s[24:25], v[26:27]
	s_and_saveexec_b64 s[6:7], s[2:3]
	s_cbranch_execz .LBB206_4
; %bb.3:
	v_pk_mov_b32 v[2:3], s[12:13], s[12:13] op_sel:[0,1]
	v_mad_u64_u32 v[2:3], s[8:9], v26, s31, v[2:3]
	v_mov_b32_e32 v4, v3
	v_mad_u64_u32 v[4:5], s[8:9], v26, s30, v[4:5]
	v_mov_b32_e32 v3, v4
	global_store_dwordx2 v24, v[2:3], s[0:1] offset:8
.LBB206_4:
	s_or_b64 exec, exec, s[6:7]
	s_add_u32 s0, s0, 8
	v_or_b32_e32 v2, 32, v26
	v_mov_b32_e32 v3, v27
	s_addc_u32 s1, s1, 0
	v_cmp_gt_i64_e64 s[6:7], s[24:25], v[2:3]
	s_and_saveexec_b64 s[8:9], s[6:7]
	s_cbranch_execz .LBB206_6
; %bb.5:
	v_pk_mov_b32 v[4:5], s[12:13], s[12:13] op_sel:[0,1]
	v_mad_u64_u32 v[4:5], s[10:11], v2, s31, v[4:5]
	v_mov_b32_e32 v6, v5
	v_mad_u64_u32 v[2:3], s[10:11], v2, s30, v[6:7]
	v_mov_b32_e32 v5, v2
	global_store_dwordx2 v24, v[4:5], s[0:1] offset:256
.LBB206_6:
	s_or_b64 exec, exec, s[8:9]
	v_or_b32_e32 v2, 64, v26
	v_mov_b32_e32 v3, v27
	v_cmp_gt_i64_e64 s[8:9], s[24:25], v[2:3]
	s_and_saveexec_b64 s[10:11], s[8:9]
	s_cbranch_execz .LBB206_8
; %bb.7:
	v_pk_mov_b32 v[4:5], s[12:13], s[12:13] op_sel:[0,1]
	v_mad_u64_u32 v[4:5], s[14:15], v2, s31, v[4:5]
	v_mov_b32_e32 v6, v5
	v_mad_u64_u32 v[2:3], s[14:15], v2, s30, v[6:7]
	v_mov_b32_e32 v5, v2
	global_store_dwordx2 v24, v[4:5], s[0:1] offset:512
.LBB206_8:
	s_or_b64 exec, exec, s[10:11]
	v_or_b32_e32 v2, 0x60, v26
	v_mov_b32_e32 v3, v27
	v_cmp_gt_i64_e64 s[10:11], s[24:25], v[2:3]
	s_and_saveexec_b64 s[14:15], s[10:11]
	s_cbranch_execz .LBB206_10
; %bb.9:
	v_pk_mov_b32 v[4:5], s[12:13], s[12:13] op_sel:[0,1]
	v_mad_u64_u32 v[4:5], s[12:13], v2, s31, v[4:5]
	v_mov_b32_e32 v6, v5
	v_mad_u64_u32 v[2:3], s[12:13], v2, s30, v[6:7]
	v_mov_b32_e32 v5, v2
	global_store_dwordx2 v24, v[4:5], s[0:1] offset:768
.LBB206_10:
	s_or_b64 exec, exec, s[14:15]
	v_pk_mov_b32 v[2:3], s[18:19], s[18:19] op_sel:[0,1]
	v_cmp_lt_i64_e32 vcc, s[16:17], v[2:3]
	s_cbranch_vccz .LBB206_45
; %bb.11:
	s_load_dwordx2 s[54:55], s[4:5], 0x30
	s_load_dwordx2 s[58:59], s[4:5], 0x48
	s_load_dword s0, s[4:5], 0x0
	s_load_dwordx2 s[30:31], s[4:5], 0x20
	s_load_dwordx2 s[60:61], s[4:5], 0x58
	v_and_b32_e32 v0, 31, v0
	v_mov_b32_e32 v1, 0
	s_waitcnt lgkmcnt(0)
	s_cmp_eq_u32 s0, 0
	s_cselect_b64 s[0:1], -1, 0
	v_cmp_gt_i64_e32 vcc, s[24:25], v[0:1]
	v_or_b32_e32 v2, 32, v0
	v_mov_b32_e32 v3, v1
	s_lshl_b64 s[62:63], s[56:57], 3
	s_and_b64 s[34:35], s[2:3], vcc
	v_cmp_gt_i64_e64 s[4:5], s[24:25], v[2:3]
	v_or_b32_e32 v4, 64, v0
	v_mov_b32_e32 v5, v1
	v_mov_b32_e32 v7, v1
	s_and_b64 s[40:41], s[6:7], vcc
	s_and_b64 s[46:47], s[8:9], vcc
	;; [unrolled: 1-line block ×3, first 2 shown]
	v_mov_b32_e32 v25, v1
	v_mov_b32_e32 v1, s63
	v_add_co_u32_e32 v3, vcc, s62, v24
	v_cmp_gt_i64_e64 s[12:13], s[24:25], v[4:5]
	v_or_b32_e32 v6, 0x60, v0
	v_addc_co_u32_e32 v5, vcc, 0, v1, vcc
	s_movk_i32 s66, 0x300
	v_cmp_gt_i64_e64 s[14:15], s[24:25], v[6:7]
	v_add_co_u32_e32 v7, vcc, s66, v3
	v_addc_co_u32_e32 v9, vcc, 0, v5, vcc
	v_pk_mov_b32 v[16:17], s[30:31], s[30:31] op_sel:[0,1]
	s_movk_i32 s67, 0x200
	s_and_b64 s[36:37], s[2:3], s[4:5]
	s_and_b64 s[38:39], s[2:3], s[12:13]
	;; [unrolled: 1-line block ×12, first 2 shown]
	v_mul_lo_u32 v9, s24, v9
	v_mul_lo_u32 v12, s25, v7
	v_mad_u64_u32 v[10:11], s[14:15], s24, v7, v[16:17]
	v_add_co_u32_e32 v7, vcc, s67, v3
	v_add3_u32 v11, v12, v11, v9
	v_addc_co_u32_e32 v9, vcc, 0, v5, vcc
	s_movk_i32 s68, 0x100
	v_mul_lo_u32 v9, s24, v9
	v_mul_lo_u32 v14, s25, v7
	v_mad_u64_u32 v[12:13], s[64:65], s24, v7, v[16:17]
	v_add_co_u32_e32 v7, vcc, s68, v3
	v_lshlrev_b32_e32 v8, 3, v0
	v_add3_u32 v13, v14, v13, v9
	v_addc_co_u32_e32 v9, vcc, 0, v5, vcc
	v_mul_lo_u32 v18, s25, v7
	v_mad_u64_u32 v[14:15], s[64:65], s24, v7, v[16:17]
	v_mul_lo_u32 v7, s25, v3
	v_mad_u64_u32 v[16:17], s[64:65], s24, v3, v[16:17]
	v_add_co_u32_e32 v3, vcc, s62, v8
	v_mul_lo_u32 v9, s24, v9
	v_mul_lo_u32 v5, s24, v5
	v_addc_co_u32_e32 v1, vcc, 0, v1, vcc
	v_add3_u32 v15, v18, v15, v9
	v_add3_u32 v17, v7, v17, v5
	v_mul_lo_u32 v5, s24, v1
	v_mul_lo_u32 v7, s25, v3
	v_mad_u64_u32 v[18:19], s[62:63], s24, v3, v[24:25]
	v_add3_u32 v19, v7, v19, v5
	v_add_co_u32_e32 v5, vcc, s68, v3
	v_addc_co_u32_e32 v7, vcc, 0, v1, vcc
	v_mul_lo_u32 v7, s24, v7
	v_mul_lo_u32 v9, s25, v5
	v_mad_u64_u32 v[20:21], s[62:63], s24, v5, v[24:25]
	v_add_co_u32_e32 v5, vcc, s67, v3
	v_add3_u32 v21, v9, v21, v7
	v_addc_co_u32_e32 v7, vcc, 0, v1, vcc
	v_pk_mov_b32 v[28:29], s[56:57], s[56:57] op_sel:[0,1]
	v_add_co_u32_e32 v3, vcc, s66, v3
	v_mad_u64_u32 v[38:39], s[56:57], v26, s33, v[28:29]
	v_addc_co_u32_e32 v1, vcc, 0, v1, vcc
	v_mov_b32_e32 v28, v39
	s_mul_i32 s14, s24, s25
	s_mul_hi_u32 s15, s24, s24
	v_mul_lo_u32 v9, s25, v5
	v_mad_u64_u32 v[22:23], s[62:63], s24, v5, v[24:25]
	v_mul_lo_u32 v1, s24, v1
	v_mul_lo_u32 v5, s25, v3
	v_mad_u64_u32 v[24:25], s[62:63], s24, v3, v[24:25]
	v_mad_u64_u32 v[26:27], s[56:57], v26, s21, v[28:29]
	s_add_i32 s15, s15, s14
	v_add3_u32 v25, v5, v25, v1
	v_mov_b32_e32 v39, v26
	v_mul_lo_u32 v1, s25, v38
	v_mul_lo_u32 v3, s24, v26
	v_mad_u64_u32 v[26:27], s[56:57], s24, v38, 0
	s_add_i32 s15, s15, s14
	s_mul_i32 s14, s24, s24
	v_add3_u32 v27, v27, v3, v1
	s_lshl_b64 s[14:15], s[14:15], 3
	s_lshl_b64 s[62:63], s[16:17], 3
	;; [unrolled: 1-line block ×3, first 2 shown]
	v_lshlrev_b64 v[28:29], 3, v[26:27]
	s_sub_u32 s23, s62, s64
	v_mov_b32_e32 v42, s61
	v_add_co_u32_e32 v26, vcc, s60, v28
	s_subb_u32 s62, s63, s65
	v_addc_co_u32_e32 v1, vcc, v42, v29, vcc
	s_add_u32 s54, s54, s23
	v_mov_b32_e32 v43, s59
	v_add_co_u32_e32 v28, vcc, s58, v28
	v_mul_lo_u32 v7, s24, v7
	s_addc_u32 s55, s55, s62
	v_addc_co_u32_e32 v3, vcc, v43, v29, vcc
	s_lshl_b64 s[62:63], s[18:19], 5
	v_add3_u32 v23, v9, v23, v7
	v_mov_b32_e32 v5, s63
	v_add_co_u32_e32 v7, vcc, s62, v38
	v_addc_co_u32_e32 v5, vcc, v39, v5, vcc
	s_lshl_b64 s[62:63], s[16:17], 5
	v_mov_b32_e32 v9, s63
	v_subrev_co_u32_e32 v7, vcc, s62, v7
	v_subb_co_u32_e32 v5, vcc, v5, v9, vcc
	v_mul_lo_u32 v9, s25, v7
	v_mul_lo_u32 v5, s24, v5
	v_mad_u64_u32 v[30:31], s[62:63], s24, v7, 0
	v_add3_u32 v31, v31, v5, v9
	v_lshlrev_b64 v[32:33], 3, v[30:31]
	v_add_co_u32_e32 v30, vcc, s58, v32
	v_mov_b32_e32 v9, 0x60
	v_addc_co_u32_e32 v5, vcc, v43, v33, vcc
	v_mad_u64_u32 v[34:35], s[62:63], s18, v9, v[38:39]
	s_mul_i32 s21, s19, 0x60
	v_add_co_u32_e32 v32, vcc, s60, v32
	v_add_u32_e32 v9, s21, v35
	s_mul_i32 s21, s17, 0x60
	s_mul_hi_u32 s23, s16, 0x60
	v_addc_co_u32_e32 v7, vcc, v42, v33, vcc
	s_add_i32 s21, s23, s21
	s_mul_i32 s23, s16, 0x60
	v_mov_b32_e32 v27, s21
	v_subrev_co_u32_e32 v29, vcc, s23, v34
	v_subb_co_u32_e32 v9, vcc, v9, v27, vcc
	v_mul_lo_u32 v27, s25, v29
	v_mul_lo_u32 v9, s24, v9
	v_mad_u64_u32 v[34:35], s[62:63], s24, v29, 0
	v_add3_u32 v35, v35, v9, v27
	v_lshlrev_b64 v[36:37], 3, v[34:35]
	v_add_co_u32_e32 v34, vcc, s60, v36
	v_addc_co_u32_e32 v9, vcc, v42, v37, vcc
	v_add_co_u32_e32 v36, vcc, s58, v36
	v_addc_co_u32_e32 v27, vcc, v43, v37, vcc
	s_lshl_b64 s[18:19], s[18:19], 6
	v_mov_b32_e32 v29, s19
	v_add_co_u32_e32 v31, vcc, s18, v38
	v_addc_co_u32_e32 v29, vcc, v39, v29, vcc
	s_lshl_b64 s[16:17], s[16:17], 6
	v_mov_b32_e32 v33, s17
	v_subrev_co_u32_e32 v31, vcc, s16, v31
	v_subb_co_u32_e32 v29, vcc, v29, v33, vcc
	v_mul_lo_u32 v33, s25, v31
	v_mul_lo_u32 v29, s24, v29
	v_mad_u64_u32 v[38:39], s[16:17], s24, v31, 0
	v_add3_u32 v39, v39, v29, v33
	v_lshlrev_b64 v[40:41], 3, v[38:39]
	v_add_co_u32_e32 v38, vcc, s58, v40
	v_addc_co_u32_e32 v29, vcc, v43, v41, vcc
	v_add_co_u32_e32 v40, vcc, s60, v40
	s_lshl_b64 s[56:57], s[24:25], 3
	v_addc_co_u32_e32 v31, vcc, v42, v41, vcc
	s_branch .LBB206_13
.LBB206_12:                             ;   in Loop: Header=BB206_13 Depth=1
	s_or_b64 exec, exec, s[16:17]
	v_mov_b32_e32 v33, s15
	v_add_co_u32_e32 v10, vcc, s14, v10
	v_addc_co_u32_e32 v11, vcc, v11, v33, vcc
	v_add_co_u32_e32 v12, vcc, s14, v12
	v_addc_co_u32_e32 v13, vcc, v13, v33, vcc
	;; [unrolled: 2-line block ×4, first 2 shown]
	v_mov_b32_e32 v33, s57
	v_add_co_u32_e32 v26, vcc, s56, v26
	v_addc_co_u32_e32 v1, vcc, v1, v33, vcc
	v_add_co_u32_e32 v28, vcc, s56, v28
	v_addc_co_u32_e32 v3, vcc, v3, v33, vcc
	;; [unrolled: 2-line block ×6, first 2 shown]
	s_add_u32 s26, s26, 1
	v_add_co_u32_e32 v38, vcc, s56, v38
	s_addc_u32 s27, s27, 0
	v_addc_co_u32_e32 v29, vcc, v29, v33, vcc
	s_add_u32 s30, s30, s14
	v_add_co_u32_e32 v40, vcc, s56, v40
	s_addc_u32 s31, s31, s15
	v_addc_co_u32_e32 v31, vcc, v31, v33, vcc
	v_pk_mov_b32 v[42:43], s[28:29], s[28:29] op_sel:[0,1]
	s_add_u32 s54, s54, 8
	v_cmp_ge_i64_e32 vcc, s[26:27], v[42:43]
	s_addc_u32 s55, s55, 0
	s_cbranch_vccnz .LBB206_45
.LBB206_13:                             ; =>This Inner Loop Header: Depth=1
	s_load_dwordx2 s[16:17], s[54:55], 0x0
	s_waitcnt lgkmcnt(0)
	s_sub_u32 s16, s16, s22
	s_subb_u32 s17, s17, 0
	s_mul_i32 s18, s16, s25
	s_mul_hi_u32 s19, s16, s24
	s_add_i32 s18, s19, s18
	s_mul_i32 s17, s17, s24
	s_add_i32 s17, s18, s17
	s_mul_i32 s16, s16, s24
	s_add_u32 s18, s16, s20
	s_addc_u32 s19, s17, 0
	s_and_saveexec_b64 s[16:17], s[34:35]
	s_cbranch_execnz .LBB206_29
; %bb.14:                               ;   in Loop: Header=BB206_13 Depth=1
	s_or_b64 exec, exec, s[16:17]
	s_and_saveexec_b64 s[16:17], s[36:37]
	s_cbranch_execnz .LBB206_30
.LBB206_15:                             ;   in Loop: Header=BB206_13 Depth=1
	s_or_b64 exec, exec, s[16:17]
	s_and_saveexec_b64 s[16:17], s[38:39]
	s_cbranch_execnz .LBB206_31
.LBB206_16:                             ;   in Loop: Header=BB206_13 Depth=1
	s_or_b64 exec, exec, s[16:17]
	s_and_saveexec_b64 s[16:17], s[2:3]
	s_cbranch_execnz .LBB206_32
.LBB206_17:                             ;   in Loop: Header=BB206_13 Depth=1
	s_or_b64 exec, exec, s[16:17]
	s_and_saveexec_b64 s[16:17], s[40:41]
	s_cbranch_execnz .LBB206_33
.LBB206_18:                             ;   in Loop: Header=BB206_13 Depth=1
	s_or_b64 exec, exec, s[16:17]
	s_and_saveexec_b64 s[16:17], s[42:43]
	s_cbranch_execnz .LBB206_34
.LBB206_19:                             ;   in Loop: Header=BB206_13 Depth=1
	s_or_b64 exec, exec, s[16:17]
	s_and_saveexec_b64 s[16:17], s[44:45]
	s_cbranch_execnz .LBB206_35
.LBB206_20:                             ;   in Loop: Header=BB206_13 Depth=1
	s_or_b64 exec, exec, s[16:17]
	s_and_saveexec_b64 s[16:17], s[6:7]
	s_cbranch_execnz .LBB206_36
.LBB206_21:                             ;   in Loop: Header=BB206_13 Depth=1
	s_or_b64 exec, exec, s[16:17]
	s_and_saveexec_b64 s[16:17], s[46:47]
	s_cbranch_execnz .LBB206_37
.LBB206_22:                             ;   in Loop: Header=BB206_13 Depth=1
	s_or_b64 exec, exec, s[16:17]
	s_and_saveexec_b64 s[16:17], s[48:49]
	s_cbranch_execnz .LBB206_38
.LBB206_23:                             ;   in Loop: Header=BB206_13 Depth=1
	s_or_b64 exec, exec, s[16:17]
	s_and_saveexec_b64 s[16:17], s[50:51]
	s_cbranch_execnz .LBB206_39
.LBB206_24:                             ;   in Loop: Header=BB206_13 Depth=1
	s_or_b64 exec, exec, s[16:17]
	s_and_saveexec_b64 s[16:17], s[8:9]
	s_cbranch_execnz .LBB206_40
.LBB206_25:                             ;   in Loop: Header=BB206_13 Depth=1
	s_or_b64 exec, exec, s[16:17]
	s_and_saveexec_b64 s[16:17], s[52:53]
	s_cbranch_execnz .LBB206_41
.LBB206_26:                             ;   in Loop: Header=BB206_13 Depth=1
	s_or_b64 exec, exec, s[16:17]
	s_and_saveexec_b64 s[16:17], s[4:5]
	s_cbranch_execnz .LBB206_42
.LBB206_27:                             ;   in Loop: Header=BB206_13 Depth=1
	s_or_b64 exec, exec, s[16:17]
	s_and_saveexec_b64 s[16:17], s[12:13]
	s_cbranch_execnz .LBB206_43
.LBB206_28:                             ;   in Loop: Header=BB206_13 Depth=1
	s_or_b64 exec, exec, s[16:17]
	s_and_saveexec_b64 s[16:17], s[10:11]
	s_cbranch_execz .LBB206_12
	s_branch .LBB206_44
.LBB206_29:                             ;   in Loop: Header=BB206_13 Depth=1
	v_add_co_u32_e32 v33, vcc, v16, v8
	v_addc_co_u32_e32 v35, vcc, 0, v17, vcc
	v_mov_b32_e32 v37, s31
	v_add_co_u32_e32 v39, vcc, s30, v18
	v_addc_co_u32_e32 v37, vcc, v37, v19, vcc
	v_cndmask_b32_e64 v43, v37, v35, s[0:1]
	v_cndmask_b32_e64 v42, v39, v33, s[0:1]
	global_load_dwordx2 v[42:43], v[42:43], off
	v_mov_b32_e32 v33, s19
	v_add_co_u32_e32 v44, vcc, s18, v0
	v_addc_co_u32_e32 v45, vcc, 0, v33, vcc
	v_add_co_u32_e32 v46, vcc, v26, v8
	v_addc_co_u32_e32 v47, vcc, 0, v1, vcc
	global_store_dwordx2 v[46:47], v[44:45], off
	v_add_co_u32_e32 v44, vcc, v28, v8
	v_addc_co_u32_e32 v45, vcc, 0, v3, vcc
	s_waitcnt vmcnt(1)
	global_store_dwordx2 v[44:45], v[42:43], off
	s_or_b64 exec, exec, s[16:17]
	s_and_saveexec_b64 s[16:17], s[36:37]
	s_cbranch_execz .LBB206_15
.LBB206_30:                             ;   in Loop: Header=BB206_13 Depth=1
	v_add_co_u32_e32 v33, vcc, v16, v8
	v_addc_co_u32_e32 v35, vcc, 0, v17, vcc
	v_add_co_u32_e32 v33, vcc, 0x100, v33
	v_addc_co_u32_e32 v35, vcc, 0, v35, vcc
	v_mov_b32_e32 v37, s31
	v_add_co_u32_e32 v39, vcc, s30, v20
	v_addc_co_u32_e32 v37, vcc, v37, v21, vcc
	v_cndmask_b32_e64 v43, v37, v35, s[0:1]
	v_cndmask_b32_e64 v42, v39, v33, s[0:1]
	global_load_dwordx2 v[42:43], v[42:43], off
	v_mov_b32_e32 v33, s19
	v_add_co_u32_e32 v44, vcc, s18, v2
	v_addc_co_u32_e32 v45, vcc, 0, v33, vcc
	v_add_co_u32_e32 v46, vcc, v26, v8
	v_addc_co_u32_e32 v47, vcc, 0, v1, vcc
	global_store_dwordx2 v[46:47], v[44:45], off offset:256
	v_add_co_u32_e32 v44, vcc, v28, v8
	v_addc_co_u32_e32 v45, vcc, 0, v3, vcc
	s_waitcnt vmcnt(1)
	global_store_dwordx2 v[44:45], v[42:43], off offset:256
	s_or_b64 exec, exec, s[16:17]
	s_and_saveexec_b64 s[16:17], s[38:39]
	s_cbranch_execz .LBB206_16
.LBB206_31:                             ;   in Loop: Header=BB206_13 Depth=1
	v_add_co_u32_e32 v33, vcc, v16, v8
	v_addc_co_u32_e32 v35, vcc, 0, v17, vcc
	v_add_co_u32_e32 v33, vcc, 0x200, v33
	v_addc_co_u32_e32 v35, vcc, 0, v35, vcc
	v_mov_b32_e32 v37, s31
	v_add_co_u32_e32 v39, vcc, s30, v22
	v_addc_co_u32_e32 v37, vcc, v37, v23, vcc
	v_cndmask_b32_e64 v43, v37, v35, s[0:1]
	v_cndmask_b32_e64 v42, v39, v33, s[0:1]
	global_load_dwordx2 v[42:43], v[42:43], off
	v_mov_b32_e32 v33, s19
	v_add_co_u32_e32 v44, vcc, s18, v4
	v_addc_co_u32_e32 v45, vcc, 0, v33, vcc
	v_add_co_u32_e32 v46, vcc, v26, v8
	v_addc_co_u32_e32 v47, vcc, 0, v1, vcc
	global_store_dwordx2 v[46:47], v[44:45], off offset:512
	v_add_co_u32_e32 v44, vcc, v28, v8
	v_addc_co_u32_e32 v45, vcc, 0, v3, vcc
	s_waitcnt vmcnt(1)
	global_store_dwordx2 v[44:45], v[42:43], off offset:512
	s_or_b64 exec, exec, s[16:17]
	s_and_saveexec_b64 s[16:17], s[2:3]
	s_cbranch_execz .LBB206_17
.LBB206_32:                             ;   in Loop: Header=BB206_13 Depth=1
	v_add_co_u32_e32 v33, vcc, v16, v8
	v_addc_co_u32_e32 v35, vcc, 0, v17, vcc
	v_add_co_u32_e32 v33, vcc, 0x300, v33
	v_addc_co_u32_e32 v35, vcc, 0, v35, vcc
	v_mov_b32_e32 v37, s31
	v_add_co_u32_e32 v39, vcc, s30, v24
	v_addc_co_u32_e32 v37, vcc, v37, v25, vcc
	v_cndmask_b32_e64 v43, v37, v35, s[0:1]
	v_cndmask_b32_e64 v42, v39, v33, s[0:1]
	global_load_dwordx2 v[42:43], v[42:43], off
	v_mov_b32_e32 v33, s19
	v_add_co_u32_e32 v44, vcc, s18, v6
	v_addc_co_u32_e32 v45, vcc, 0, v33, vcc
	v_add_co_u32_e32 v46, vcc, v26, v8
	v_addc_co_u32_e32 v47, vcc, 0, v1, vcc
	global_store_dwordx2 v[46:47], v[44:45], off offset:768
	v_add_co_u32_e32 v44, vcc, v28, v8
	v_addc_co_u32_e32 v45, vcc, 0, v3, vcc
	s_waitcnt vmcnt(1)
	global_store_dwordx2 v[44:45], v[42:43], off offset:768
	s_or_b64 exec, exec, s[16:17]
	s_and_saveexec_b64 s[16:17], s[40:41]
	s_cbranch_execz .LBB206_18
.LBB206_33:                             ;   in Loop: Header=BB206_13 Depth=1
	v_add_co_u32_e32 v33, vcc, v14, v8
	v_addc_co_u32_e32 v35, vcc, 0, v15, vcc
	v_mov_b32_e32 v37, s31
	v_add_co_u32_e32 v39, vcc, s30, v18
	v_addc_co_u32_e32 v37, vcc, v37, v19, vcc
	v_add_co_u32_e32 v39, vcc, 0x100, v39
	v_addc_co_u32_e32 v37, vcc, 0, v37, vcc
	v_cndmask_b32_e64 v43, v37, v35, s[0:1]
	v_cndmask_b32_e64 v42, v39, v33, s[0:1]
	global_load_dwordx2 v[42:43], v[42:43], off
	v_mov_b32_e32 v33, s19
	v_add_co_u32_e32 v44, vcc, s18, v0
	v_addc_co_u32_e32 v45, vcc, 0, v33, vcc
	v_add_co_u32_e32 v46, vcc, v32, v8
	v_addc_co_u32_e32 v47, vcc, 0, v7, vcc
	global_store_dwordx2 v[46:47], v[44:45], off
	v_add_co_u32_e32 v44, vcc, v30, v8
	v_addc_co_u32_e32 v45, vcc, 0, v5, vcc
	s_waitcnt vmcnt(1)
	global_store_dwordx2 v[44:45], v[42:43], off
	s_or_b64 exec, exec, s[16:17]
	s_and_saveexec_b64 s[16:17], s[42:43]
	s_cbranch_execz .LBB206_19
.LBB206_34:                             ;   in Loop: Header=BB206_13 Depth=1
	v_add_co_u32_e32 v33, vcc, v14, v8
	v_addc_co_u32_e32 v35, vcc, 0, v15, vcc
	v_mov_b32_e32 v37, s31
	v_add_co_u32_e32 v39, vcc, s30, v20
	v_addc_co_u32_e32 v37, vcc, v37, v21, vcc
	v_cndmask_b32_e64 v43, v37, v35, s[0:1]
	v_cndmask_b32_e64 v42, v39, v33, s[0:1]
	global_load_dwordx2 v[42:43], v[42:43], off offset:256
	v_mov_b32_e32 v33, s19
	v_add_co_u32_e32 v44, vcc, s18, v2
	v_addc_co_u32_e32 v45, vcc, 0, v33, vcc
	v_add_co_u32_e32 v46, vcc, v32, v8
	v_addc_co_u32_e32 v47, vcc, 0, v7, vcc
	global_store_dwordx2 v[46:47], v[44:45], off offset:256
	v_add_co_u32_e32 v44, vcc, v30, v8
	v_addc_co_u32_e32 v45, vcc, 0, v5, vcc
	s_waitcnt vmcnt(1)
	global_store_dwordx2 v[44:45], v[42:43], off offset:256
	s_or_b64 exec, exec, s[16:17]
	s_and_saveexec_b64 s[16:17], s[44:45]
	s_cbranch_execz .LBB206_20
.LBB206_35:                             ;   in Loop: Header=BB206_13 Depth=1
	v_add_co_u32_e32 v33, vcc, v14, v8
	v_addc_co_u32_e32 v35, vcc, 0, v15, vcc
	v_add_co_u32_e32 v33, vcc, 0x200, v33
	v_addc_co_u32_e32 v35, vcc, 0, v35, vcc
	v_mov_b32_e32 v37, s31
	v_add_co_u32_e32 v39, vcc, s30, v22
	v_addc_co_u32_e32 v37, vcc, v37, v23, vcc
	v_add_co_u32_e32 v39, vcc, 0x100, v39
	v_addc_co_u32_e32 v37, vcc, 0, v37, vcc
	v_cndmask_b32_e64 v43, v37, v35, s[0:1]
	v_cndmask_b32_e64 v42, v39, v33, s[0:1]
	global_load_dwordx2 v[42:43], v[42:43], off
	v_mov_b32_e32 v33, s19
	v_add_co_u32_e32 v44, vcc, s18, v4
	v_addc_co_u32_e32 v45, vcc, 0, v33, vcc
	v_add_co_u32_e32 v46, vcc, v32, v8
	v_addc_co_u32_e32 v47, vcc, 0, v7, vcc
	global_store_dwordx2 v[46:47], v[44:45], off offset:512
	v_add_co_u32_e32 v44, vcc, v30, v8
	v_addc_co_u32_e32 v45, vcc, 0, v5, vcc
	s_waitcnt vmcnt(1)
	global_store_dwordx2 v[44:45], v[42:43], off offset:512
	s_or_b64 exec, exec, s[16:17]
	s_and_saveexec_b64 s[16:17], s[6:7]
	s_cbranch_execz .LBB206_21
.LBB206_36:                             ;   in Loop: Header=BB206_13 Depth=1
	v_add_co_u32_e32 v33, vcc, v14, v8
	v_addc_co_u32_e32 v35, vcc, 0, v15, vcc
	v_add_co_u32_e32 v33, vcc, 0x300, v33
	v_addc_co_u32_e32 v35, vcc, 0, v35, vcc
	v_mov_b32_e32 v37, s31
	v_add_co_u32_e32 v39, vcc, s30, v24
	v_addc_co_u32_e32 v37, vcc, v37, v25, vcc
	v_add_co_u32_e32 v39, vcc, 0x100, v39
	v_addc_co_u32_e32 v37, vcc, 0, v37, vcc
	v_cndmask_b32_e64 v43, v37, v35, s[0:1]
	v_cndmask_b32_e64 v42, v39, v33, s[0:1]
	global_load_dwordx2 v[42:43], v[42:43], off
	v_mov_b32_e32 v33, s19
	v_add_co_u32_e32 v44, vcc, s18, v6
	v_addc_co_u32_e32 v45, vcc, 0, v33, vcc
	v_add_co_u32_e32 v46, vcc, v32, v8
	v_addc_co_u32_e32 v47, vcc, 0, v7, vcc
	global_store_dwordx2 v[46:47], v[44:45], off offset:768
	v_add_co_u32_e32 v44, vcc, v30, v8
	v_addc_co_u32_e32 v45, vcc, 0, v5, vcc
	s_waitcnt vmcnt(1)
	global_store_dwordx2 v[44:45], v[42:43], off offset:768
	s_or_b64 exec, exec, s[16:17]
	s_and_saveexec_b64 s[16:17], s[46:47]
	s_cbranch_execz .LBB206_22
.LBB206_37:                             ;   in Loop: Header=BB206_13 Depth=1
	v_add_co_u32_e32 v33, vcc, v12, v8
	v_addc_co_u32_e32 v35, vcc, 0, v13, vcc
	v_mov_b32_e32 v37, s31
	v_add_co_u32_e32 v39, vcc, s30, v18
	v_addc_co_u32_e32 v37, vcc, v37, v19, vcc
	v_add_co_u32_e32 v39, vcc, 0x200, v39
	v_addc_co_u32_e32 v37, vcc, 0, v37, vcc
	v_cndmask_b32_e64 v43, v37, v35, s[0:1]
	v_cndmask_b32_e64 v42, v39, v33, s[0:1]
	global_load_dwordx2 v[42:43], v[42:43], off
	v_mov_b32_e32 v33, s19
	v_add_co_u32_e32 v44, vcc, s18, v0
	v_addc_co_u32_e32 v45, vcc, 0, v33, vcc
	v_add_co_u32_e32 v46, vcc, v40, v8
	v_addc_co_u32_e32 v47, vcc, 0, v31, vcc
	global_store_dwordx2 v[46:47], v[44:45], off
	v_add_co_u32_e32 v44, vcc, v38, v8
	v_addc_co_u32_e32 v45, vcc, 0, v29, vcc
	s_waitcnt vmcnt(1)
	global_store_dwordx2 v[44:45], v[42:43], off
	s_or_b64 exec, exec, s[16:17]
	s_and_saveexec_b64 s[16:17], s[48:49]
	s_cbranch_execz .LBB206_23
.LBB206_38:                             ;   in Loop: Header=BB206_13 Depth=1
	v_add_co_u32_e32 v33, vcc, v12, v8
	v_addc_co_u32_e32 v35, vcc, 0, v13, vcc
	v_add_co_u32_e32 v33, vcc, 0x100, v33
	v_addc_co_u32_e32 v35, vcc, 0, v35, vcc
	v_mov_b32_e32 v37, s31
	v_add_co_u32_e32 v39, vcc, s30, v20
	v_addc_co_u32_e32 v37, vcc, v37, v21, vcc
	v_add_co_u32_e32 v39, vcc, 0x200, v39
	v_addc_co_u32_e32 v37, vcc, 0, v37, vcc
	v_cndmask_b32_e64 v43, v37, v35, s[0:1]
	v_cndmask_b32_e64 v42, v39, v33, s[0:1]
	global_load_dwordx2 v[42:43], v[42:43], off
	v_mov_b32_e32 v33, s19
	v_add_co_u32_e32 v44, vcc, s18, v2
	v_addc_co_u32_e32 v45, vcc, 0, v33, vcc
	v_add_co_u32_e32 v46, vcc, v40, v8
	v_addc_co_u32_e32 v47, vcc, 0, v31, vcc
	global_store_dwordx2 v[46:47], v[44:45], off offset:256
	v_add_co_u32_e32 v44, vcc, v38, v8
	v_addc_co_u32_e32 v45, vcc, 0, v29, vcc
	s_waitcnt vmcnt(1)
	global_store_dwordx2 v[44:45], v[42:43], off offset:256
	s_or_b64 exec, exec, s[16:17]
	s_and_saveexec_b64 s[16:17], s[50:51]
	s_cbranch_execz .LBB206_24
.LBB206_39:                             ;   in Loop: Header=BB206_13 Depth=1
	v_add_co_u32_e32 v33, vcc, v12, v8
	v_addc_co_u32_e32 v35, vcc, 0, v13, vcc
	v_mov_b32_e32 v37, s31
	v_add_co_u32_e32 v39, vcc, s30, v22
	v_addc_co_u32_e32 v37, vcc, v37, v23, vcc
	v_cndmask_b32_e64 v43, v37, v35, s[0:1]
	v_cndmask_b32_e64 v42, v39, v33, s[0:1]
	global_load_dwordx2 v[42:43], v[42:43], off offset:512
	v_mov_b32_e32 v33, s19
	v_add_co_u32_e32 v44, vcc, s18, v4
	v_addc_co_u32_e32 v45, vcc, 0, v33, vcc
	v_add_co_u32_e32 v46, vcc, v40, v8
	v_addc_co_u32_e32 v47, vcc, 0, v31, vcc
	global_store_dwordx2 v[46:47], v[44:45], off offset:512
	v_add_co_u32_e32 v44, vcc, v38, v8
	v_addc_co_u32_e32 v45, vcc, 0, v29, vcc
	s_waitcnt vmcnt(1)
	global_store_dwordx2 v[44:45], v[42:43], off offset:512
	s_or_b64 exec, exec, s[16:17]
	s_and_saveexec_b64 s[16:17], s[8:9]
	s_cbranch_execz .LBB206_25
.LBB206_40:                             ;   in Loop: Header=BB206_13 Depth=1
	v_add_co_u32_e32 v33, vcc, v12, v8
	v_addc_co_u32_e32 v35, vcc, 0, v13, vcc
	v_add_co_u32_e32 v33, vcc, 0x300, v33
	v_addc_co_u32_e32 v35, vcc, 0, v35, vcc
	v_mov_b32_e32 v37, s31
	v_add_co_u32_e32 v39, vcc, s30, v24
	v_addc_co_u32_e32 v37, vcc, v37, v25, vcc
	v_add_co_u32_e32 v39, vcc, 0x200, v39
	v_addc_co_u32_e32 v37, vcc, 0, v37, vcc
	v_cndmask_b32_e64 v43, v37, v35, s[0:1]
	v_cndmask_b32_e64 v42, v39, v33, s[0:1]
	global_load_dwordx2 v[42:43], v[42:43], off
	v_mov_b32_e32 v33, s19
	v_add_co_u32_e32 v44, vcc, s18, v6
	v_addc_co_u32_e32 v45, vcc, 0, v33, vcc
	v_add_co_u32_e32 v46, vcc, v40, v8
	v_addc_co_u32_e32 v47, vcc, 0, v31, vcc
	global_store_dwordx2 v[46:47], v[44:45], off offset:768
	v_add_co_u32_e32 v44, vcc, v38, v8
	v_addc_co_u32_e32 v45, vcc, 0, v29, vcc
	s_waitcnt vmcnt(1)
	global_store_dwordx2 v[44:45], v[42:43], off offset:768
	s_or_b64 exec, exec, s[16:17]
	s_and_saveexec_b64 s[16:17], s[52:53]
	s_cbranch_execz .LBB206_26
.LBB206_41:                             ;   in Loop: Header=BB206_13 Depth=1
	v_add_co_u32_e32 v33, vcc, v10, v8
	v_addc_co_u32_e32 v35, vcc, 0, v11, vcc
	v_mov_b32_e32 v37, s31
	v_add_co_u32_e32 v39, vcc, s30, v18
	v_addc_co_u32_e32 v37, vcc, v37, v19, vcc
	v_add_co_u32_e32 v39, vcc, 0x300, v39
	v_addc_co_u32_e32 v37, vcc, 0, v37, vcc
	v_cndmask_b32_e64 v43, v37, v35, s[0:1]
	v_cndmask_b32_e64 v42, v39, v33, s[0:1]
	global_load_dwordx2 v[42:43], v[42:43], off
	v_mov_b32_e32 v33, s19
	v_add_co_u32_e32 v44, vcc, s18, v0
	v_addc_co_u32_e32 v45, vcc, 0, v33, vcc
	v_add_co_u32_e32 v46, vcc, v34, v8
	v_addc_co_u32_e32 v47, vcc, 0, v9, vcc
	global_store_dwordx2 v[46:47], v[44:45], off
	v_add_co_u32_e32 v44, vcc, v36, v8
	v_addc_co_u32_e32 v45, vcc, 0, v27, vcc
	s_waitcnt vmcnt(1)
	global_store_dwordx2 v[44:45], v[42:43], off
	s_or_b64 exec, exec, s[16:17]
	s_and_saveexec_b64 s[16:17], s[4:5]
	s_cbranch_execz .LBB206_27
.LBB206_42:                             ;   in Loop: Header=BB206_13 Depth=1
	v_add_co_u32_e32 v33, vcc, v10, v8
	v_addc_co_u32_e32 v35, vcc, 0, v11, vcc
	v_add_co_u32_e32 v33, vcc, 0x100, v33
	v_addc_co_u32_e32 v35, vcc, 0, v35, vcc
	v_mov_b32_e32 v37, s31
	v_add_co_u32_e32 v39, vcc, s30, v20
	v_addc_co_u32_e32 v37, vcc, v37, v21, vcc
	v_add_co_u32_e32 v39, vcc, 0x300, v39
	v_addc_co_u32_e32 v37, vcc, 0, v37, vcc
	v_cndmask_b32_e64 v43, v37, v35, s[0:1]
	v_cndmask_b32_e64 v42, v39, v33, s[0:1]
	global_load_dwordx2 v[42:43], v[42:43], off
	v_mov_b32_e32 v33, s19
	v_add_co_u32_e32 v44, vcc, s18, v2
	v_addc_co_u32_e32 v45, vcc, 0, v33, vcc
	v_add_co_u32_e32 v46, vcc, v34, v8
	v_addc_co_u32_e32 v47, vcc, 0, v9, vcc
	global_store_dwordx2 v[46:47], v[44:45], off offset:256
	v_add_co_u32_e32 v44, vcc, v36, v8
	v_addc_co_u32_e32 v45, vcc, 0, v27, vcc
	s_waitcnt vmcnt(1)
	global_store_dwordx2 v[44:45], v[42:43], off offset:256
	s_or_b64 exec, exec, s[16:17]
	s_and_saveexec_b64 s[16:17], s[12:13]
	s_cbranch_execz .LBB206_28
.LBB206_43:                             ;   in Loop: Header=BB206_13 Depth=1
	v_add_co_u32_e32 v33, vcc, v10, v8
	v_addc_co_u32_e32 v35, vcc, 0, v11, vcc
	v_add_co_u32_e32 v33, vcc, 0x200, v33
	v_addc_co_u32_e32 v35, vcc, 0, v35, vcc
	v_mov_b32_e32 v37, s31
	v_add_co_u32_e32 v39, vcc, s30, v22
	v_addc_co_u32_e32 v37, vcc, v37, v23, vcc
	v_add_co_u32_e32 v39, vcc, 0x300, v39
	v_addc_co_u32_e32 v37, vcc, 0, v37, vcc
	v_cndmask_b32_e64 v43, v37, v35, s[0:1]
	v_cndmask_b32_e64 v42, v39, v33, s[0:1]
	global_load_dwordx2 v[42:43], v[42:43], off
	v_mov_b32_e32 v33, s19
	v_add_co_u32_e32 v44, vcc, s18, v4
	v_addc_co_u32_e32 v45, vcc, 0, v33, vcc
	v_add_co_u32_e32 v46, vcc, v34, v8
	v_addc_co_u32_e32 v47, vcc, 0, v9, vcc
	global_store_dwordx2 v[46:47], v[44:45], off offset:512
	v_add_co_u32_e32 v44, vcc, v36, v8
	v_addc_co_u32_e32 v45, vcc, 0, v27, vcc
	s_waitcnt vmcnt(1)
	global_store_dwordx2 v[44:45], v[42:43], off offset:512
	s_or_b64 exec, exec, s[16:17]
	s_and_saveexec_b64 s[16:17], s[10:11]
	s_cbranch_execz .LBB206_12
.LBB206_44:                             ;   in Loop: Header=BB206_13 Depth=1
	v_add_co_u32_e32 v33, vcc, v10, v8
	v_addc_co_u32_e32 v35, vcc, 0, v11, vcc
	v_mov_b32_e32 v37, s31
	v_add_co_u32_e32 v39, vcc, s30, v24
	v_addc_co_u32_e32 v37, vcc, v37, v25, vcc
	v_cndmask_b32_e64 v43, v37, v35, s[0:1]
	v_cndmask_b32_e64 v42, v39, v33, s[0:1]
	global_load_dwordx2 v[42:43], v[42:43], off offset:768
	v_mov_b32_e32 v33, s19
	v_add_co_u32_e32 v44, vcc, s18, v6
	v_addc_co_u32_e32 v45, vcc, 0, v33, vcc
	v_add_co_u32_e32 v46, vcc, v34, v8
	v_addc_co_u32_e32 v47, vcc, 0, v9, vcc
	global_store_dwordx2 v[46:47], v[44:45], off offset:768
	v_add_co_u32_e32 v44, vcc, v36, v8
	v_addc_co_u32_e32 v45, vcc, 0, v27, vcc
	s_waitcnt vmcnt(1)
	global_store_dwordx2 v[44:45], v[42:43], off offset:768
	s_branch .LBB206_12
.LBB206_45:
	s_endpgm
	.section	.rodata,"a",@progbits
	.p2align	6, 0x0
	.amdhsa_kernel _ZN9rocsparseL35bsr2csr_block_per_row_33_256_kernelILj1024ELj128ELj32E21rocsparse_complex_numIfEllEEv20rocsparse_direction_T4_S4_21rocsparse_index_base_PKT2_PKT3_PKS4_S4_S5_PS6_PS9_PS4_
		.amdhsa_group_segment_fixed_size 0
		.amdhsa_private_segment_fixed_size 0
		.amdhsa_kernarg_size 96
		.amdhsa_user_sgpr_count 6
		.amdhsa_user_sgpr_private_segment_buffer 1
		.amdhsa_user_sgpr_dispatch_ptr 0
		.amdhsa_user_sgpr_queue_ptr 0
		.amdhsa_user_sgpr_kernarg_segment_ptr 1
		.amdhsa_user_sgpr_dispatch_id 0
		.amdhsa_user_sgpr_flat_scratch_init 0
		.amdhsa_user_sgpr_kernarg_preload_length 0
		.amdhsa_user_sgpr_kernarg_preload_offset 0
		.amdhsa_user_sgpr_private_segment_size 0
		.amdhsa_uses_dynamic_stack 0
		.amdhsa_system_sgpr_private_segment_wavefront_offset 0
		.amdhsa_system_sgpr_workgroup_id_x 1
		.amdhsa_system_sgpr_workgroup_id_y 0
		.amdhsa_system_sgpr_workgroup_id_z 0
		.amdhsa_system_sgpr_workgroup_info 0
		.amdhsa_system_vgpr_workitem_id 0
		.amdhsa_next_free_vgpr 48
		.amdhsa_next_free_sgpr 69
		.amdhsa_accum_offset 48
		.amdhsa_reserve_vcc 1
		.amdhsa_reserve_flat_scratch 0
		.amdhsa_float_round_mode_32 0
		.amdhsa_float_round_mode_16_64 0
		.amdhsa_float_denorm_mode_32 3
		.amdhsa_float_denorm_mode_16_64 3
		.amdhsa_dx10_clamp 1
		.amdhsa_ieee_mode 1
		.amdhsa_fp16_overflow 0
		.amdhsa_tg_split 0
		.amdhsa_exception_fp_ieee_invalid_op 0
		.amdhsa_exception_fp_denorm_src 0
		.amdhsa_exception_fp_ieee_div_zero 0
		.amdhsa_exception_fp_ieee_overflow 0
		.amdhsa_exception_fp_ieee_underflow 0
		.amdhsa_exception_fp_ieee_inexact 0
		.amdhsa_exception_int_div_zero 0
	.end_amdhsa_kernel
	.section	.text._ZN9rocsparseL35bsr2csr_block_per_row_33_256_kernelILj1024ELj128ELj32E21rocsparse_complex_numIfEllEEv20rocsparse_direction_T4_S4_21rocsparse_index_base_PKT2_PKT3_PKS4_S4_S5_PS6_PS9_PS4_,"axG",@progbits,_ZN9rocsparseL35bsr2csr_block_per_row_33_256_kernelILj1024ELj128ELj32E21rocsparse_complex_numIfEllEEv20rocsparse_direction_T4_S4_21rocsparse_index_base_PKT2_PKT3_PKS4_S4_S5_PS6_PS9_PS4_,comdat
.Lfunc_end206:
	.size	_ZN9rocsparseL35bsr2csr_block_per_row_33_256_kernelILj1024ELj128ELj32E21rocsparse_complex_numIfEllEEv20rocsparse_direction_T4_S4_21rocsparse_index_base_PKT2_PKT3_PKS4_S4_S5_PS6_PS9_PS4_, .Lfunc_end206-_ZN9rocsparseL35bsr2csr_block_per_row_33_256_kernelILj1024ELj128ELj32E21rocsparse_complex_numIfEllEEv20rocsparse_direction_T4_S4_21rocsparse_index_base_PKT2_PKT3_PKS4_S4_S5_PS6_PS9_PS4_
                                        ; -- End function
	.section	.AMDGPU.csdata,"",@progbits
; Kernel info:
; codeLenInByte = 3820
; NumSgprs: 73
; NumVgprs: 48
; NumAgprs: 0
; TotalNumVgprs: 48
; ScratchSize: 0
; MemoryBound: 0
; FloatMode: 240
; IeeeMode: 1
; LDSByteSize: 0 bytes/workgroup (compile time only)
; SGPRBlocks: 9
; VGPRBlocks: 5
; NumSGPRsForWavesPerEU: 73
; NumVGPRsForWavesPerEU: 48
; AccumOffset: 48
; Occupancy: 8
; WaveLimiterHint : 1
; COMPUTE_PGM_RSRC2:SCRATCH_EN: 0
; COMPUTE_PGM_RSRC2:USER_SGPR: 6
; COMPUTE_PGM_RSRC2:TRAP_HANDLER: 0
; COMPUTE_PGM_RSRC2:TGID_X_EN: 1
; COMPUTE_PGM_RSRC2:TGID_Y_EN: 0
; COMPUTE_PGM_RSRC2:TGID_Z_EN: 0
; COMPUTE_PGM_RSRC2:TIDIG_COMP_CNT: 0
; COMPUTE_PGM_RSRC3_GFX90A:ACCUM_OFFSET: 11
; COMPUTE_PGM_RSRC3_GFX90A:TG_SPLIT: 0
	.section	.text._ZN9rocsparseL35bsr2csr_block_per_row_33_256_kernelILj1024ELj256ELj32E21rocsparse_complex_numIfEllEEv20rocsparse_direction_T4_S4_21rocsparse_index_base_PKT2_PKT3_PKS4_S4_S5_PS6_PS9_PS4_,"axG",@progbits,_ZN9rocsparseL35bsr2csr_block_per_row_33_256_kernelILj1024ELj256ELj32E21rocsparse_complex_numIfEllEEv20rocsparse_direction_T4_S4_21rocsparse_index_base_PKT2_PKT3_PKS4_S4_S5_PS6_PS9_PS4_,comdat
	.globl	_ZN9rocsparseL35bsr2csr_block_per_row_33_256_kernelILj1024ELj256ELj32E21rocsparse_complex_numIfEllEEv20rocsparse_direction_T4_S4_21rocsparse_index_base_PKT2_PKT3_PKS4_S4_S5_PS6_PS9_PS4_ ; -- Begin function _ZN9rocsparseL35bsr2csr_block_per_row_33_256_kernelILj1024ELj256ELj32E21rocsparse_complex_numIfEllEEv20rocsparse_direction_T4_S4_21rocsparse_index_base_PKT2_PKT3_PKS4_S4_S5_PS6_PS9_PS4_
	.p2align	8
	.type	_ZN9rocsparseL35bsr2csr_block_per_row_33_256_kernelILj1024ELj256ELj32E21rocsparse_complex_numIfEllEEv20rocsparse_direction_T4_S4_21rocsparse_index_base_PKT2_PKT3_PKS4_S4_S5_PS6_PS9_PS4_,@function
_ZN9rocsparseL35bsr2csr_block_per_row_33_256_kernelILj1024ELj256ELj32E21rocsparse_complex_numIfEllEEv20rocsparse_direction_T4_S4_21rocsparse_index_base_PKT2_PKT3_PKS4_S4_S5_PS6_PS9_PS4_: ; @_ZN9rocsparseL35bsr2csr_block_per_row_33_256_kernelILj1024ELj256ELj32E21rocsparse_complex_numIfEllEEv20rocsparse_direction_T4_S4_21rocsparse_index_base_PKT2_PKT3_PKS4_S4_S5_PS6_PS9_PS4_
; %bb.0:
	s_load_dwordx2 s[0:1], s[4:5], 0x28
	s_load_dword s10, s[4:5], 0x40
	s_load_dwordx2 s[2:3], s[4:5], 0x50
	s_mov_b32 s11, 0
	s_mov_b32 s7, s11
	s_lshl_b64 s[8:9], s[6:7], 3
	s_waitcnt lgkmcnt(0)
	s_add_u32 s0, s0, s8
	s_addc_u32 s1, s1, s9
	s_load_dwordx4 s[20:23], s[0:1], 0x0
	v_or_b32_e32 v1, s6, v0
	v_cmp_eq_u32_e32 vcc, 0, v1
	s_and_saveexec_b64 s[0:1], vcc
	s_cbranch_execz .LBB207_2
; %bb.1:
	v_mov_b32_e32 v1, 0
	v_pk_mov_b32 v[2:3], s[10:11], s[10:11] op_sel:[0,1]
	global_store_dwordx2 v1, v[2:3], s[2:3]
.LBB207_2:
	s_or_b64 exec, exec, s[0:1]
	s_load_dword s1, s[4:5], 0x18
	s_load_dwordx2 s[40:41], s[4:5], 0x38
                                        ; implicit-def: $vgpr77 : SGPR spill to VGPR lane
	v_mov_b32_e32 v23, 0
	v_lshrrev_b32_e32 v22, 5, v0
	v_lshlrev_b32_e32 v58, 3, v22
	s_waitcnt lgkmcnt(0)
	s_sub_u32 s50, s20, s1
	s_subb_u32 s51, s21, 0
	s_mul_i32 s0, s50, s41
	v_writelane_b32 v77, s1, 0
	s_sub_u32 s44, s22, s1
	s_mul_hi_u32 s1, s50, s40
	s_subb_u32 s45, s23, 0
	s_add_i32 s0, s1, s0
	s_mul_i32 s1, s51, s40
	s_add_i32 s0, s0, s1
	s_mul_i32 s1, s50, s40
	s_mul_i32 s7, s1, s41
	s_mul_hi_u32 s8, s1, s40
	s_add_i32 s7, s8, s7
	s_mul_i32 s0, s0, s40
	s_add_i32 s7, s7, s0
	s_sub_u32 s38, s44, s50
	s_subb_u32 s39, s45, s51
	s_mul_i32 s0, s38, s41
	s_mul_hi_u32 s8, s38, s40
	s_add_i32 s0, s8, s0
	s_mul_i32 s8, s39, s40
	s_mul_i32 s1, s1, s40
	s_add_i32 s28, s0, s8
	s_mov_b32 s0, s10
	v_writelane_b32 v77, s0, 1
	v_writelane_b32 v77, s1, 2
	s_add_u32 s0, s1, s10
	s_mul_i32 s29, s38, s40
	s_addc_u32 s1, s7, 0
	s_add_u32 s0, s0, s29
	s_mul_i32 s7, s6, s41
	s_mul_hi_u32 s8, s6, s40
	s_addc_u32 s1, s1, s28
	s_add_i32 s7, s8, s7
	s_mul_i32 s6, s6, s40
	s_lshl_b64 s[6:7], s[6:7], 3
	s_add_u32 s2, s2, s6
	s_addc_u32 s3, s3, s7
	v_cmp_gt_i64_e64 s[6:7], s[40:41], v[22:23]
	s_and_saveexec_b64 s[8:9], s[6:7]
	s_cbranch_execz .LBB207_4
; %bb.3:
	v_pk_mov_b32 v[2:3], s[0:1], s[0:1] op_sel:[0,1]
	v_mad_u64_u32 v[2:3], s[10:11], v22, s29, v[2:3]
	v_mov_b32_e32 v4, v3
	v_mad_u64_u32 v[4:5], s[10:11], v22, s28, v[4:5]
	v_mov_b32_e32 v3, v4
	global_store_dwordx2 v58, v[2:3], s[2:3] offset:8
.LBB207_4:
	s_or_b64 exec, exec, s[8:9]
	s_add_u32 s24, s2, 8
	v_or_b32_e32 v2, 32, v22
	v_mov_b32_e32 v3, v23
	s_addc_u32 s25, s3, 0
	v_cmp_gt_i64_e64 s[2:3], s[40:41], v[2:3]
	s_and_saveexec_b64 s[8:9], s[2:3]
	s_cbranch_execz .LBB207_6
; %bb.5:
	v_pk_mov_b32 v[4:5], s[0:1], s[0:1] op_sel:[0,1]
	v_mad_u64_u32 v[4:5], s[10:11], v2, s29, v[4:5]
	v_mov_b32_e32 v6, v5
	v_mad_u64_u32 v[2:3], s[10:11], v2, s28, v[6:7]
	v_mov_b32_e32 v5, v2
	global_store_dwordx2 v58, v[4:5], s[24:25] offset:256
.LBB207_6:
	s_or_b64 exec, exec, s[8:9]
	v_or_b32_e32 v2, 64, v22
	v_mov_b32_e32 v3, v23
	v_cmp_gt_i64_e64 s[8:9], s[40:41], v[2:3]
	s_and_saveexec_b64 s[10:11], s[8:9]
	s_cbranch_execz .LBB207_8
; %bb.7:
	v_pk_mov_b32 v[4:5], s[0:1], s[0:1] op_sel:[0,1]
	v_mad_u64_u32 v[4:5], s[12:13], v2, s29, v[4:5]
	v_mov_b32_e32 v6, v5
	v_mad_u64_u32 v[2:3], s[12:13], v2, s28, v[6:7]
	v_mov_b32_e32 v5, v2
	global_store_dwordx2 v58, v[4:5], s[24:25] offset:512
.LBB207_8:
	s_or_b64 exec, exec, s[10:11]
	v_or_b32_e32 v2, 0x60, v22
	v_mov_b32_e32 v3, v23
	;; [unrolled: 14-line block ×6, first 2 shown]
	v_cmp_gt_i64_e64 s[18:19], s[40:41], v[2:3]
	s_and_saveexec_b64 s[26:27], s[18:19]
	s_cbranch_execz .LBB207_18
; %bb.17:
	v_pk_mov_b32 v[4:5], s[0:1], s[0:1] op_sel:[0,1]
	v_mad_u64_u32 v[4:5], s[0:1], v2, s29, v[4:5]
	v_mov_b32_e32 v6, v5
	v_mad_u64_u32 v[2:3], s[0:1], v2, s28, v[6:7]
	v_mov_b32_e32 v5, v2
	global_store_dwordx2 v58, v[4:5], s[24:25] offset:1792
.LBB207_18:
	s_or_b64 exec, exec, s[26:27]
	v_pk_mov_b32 v[2:3], s[22:23], s[22:23] op_sel:[0,1]
	v_cmp_lt_i64_e32 vcc, s[20:21], v[2:3]
	s_cbranch_vccz .LBB207_149
; %bb.19:
	s_mul_i32 s1, s40, s41
	s_mul_hi_u32 s20, s40, s40
	s_add_i32 s20, s20, s1
	s_load_dword s0, s[4:5], 0x0
	s_add_i32 s1, s20, s1
	s_mul_i32 s33, s40, s40
	v_writelane_b32 v77, s1, 3
	s_mul_i32 s1, s50, s1
	s_mul_hi_u32 s20, s50, s33
	s_add_i32 s1, s20, s1
	s_mul_i32 s20, s51, s33
	s_add_i32 s47, s1, s20
	s_load_dwordx2 s[48:49], s[4:5], 0x48
	s_load_dwordx2 s[20:21], s[4:5], 0x20
	s_waitcnt lgkmcnt(0)
	s_cmp_eq_u32 s0, 0
	s_cselect_b64 s[0:1], -1, 0
	s_lshl_b64 s[52:53], s[40:41], 5
	v_and_b32_e32 v0, 31, v0
	v_mov_b32_e32 v1, 0
	v_pk_mov_b32 v[4:5], s[52:53], s[52:53] op_sel:[0,1]
	v_writelane_b32 v77, s20, 4
	v_mul_lo_u32 v23, v0, s41
	v_or_b32_e32 v2, 32, v0
	v_mov_b32_e32 v3, v1
	v_mad_u64_u32 v[4:5], s[22:23], v0, s40, v[4:5]
	v_writelane_b32 v77, s21, 5
	v_cmp_gt_i64_e64 s[20:21], s[40:41], v[2:3]
	v_add_u32_e32 v5, v23, v5
	v_mov_b32_e32 v3, s53
	v_add_co_u32_e64 v26, s[24:25], s52, v4
	v_addc_co_u32_e64 v27, s[24:25], v5, v3, s[24:25]
	v_add_co_u32_e64 v28, s[26:27], s52, v26
	v_addc_co_u32_e64 v29, s[26:27], v27, v3, s[26:27]
	;; [unrolled: 2-line block ×5, first 2 shown]
	v_add_co_u32_e64 v36, s[36:37], s52, v34
	v_cmp_gt_i64_e32 vcc, s[40:41], v[0:1]
	v_addc_co_u32_e64 v37, s[36:37], v35, v3, s[36:37]
	v_mad_u64_u32 v[18:19], s[36:37], v22, s38, 0
	s_and_b64 s[36:37], s[6:7], vcc
	v_writelane_b32 v77, s36, 6
	v_or_b32_e32 v6, 64, v0
	v_mov_b32_e32 v7, v1
	v_writelane_b32 v77, s37, 7
	s_and_b64 s[36:37], s[6:7], s[20:21]
	v_cmp_gt_i64_e64 s[22:23], s[40:41], v[6:7]
	v_writelane_b32 v77, s36, 8
	v_or_b32_e32 v8, 0x60, v0
	v_mov_b32_e32 v9, v1
	v_writelane_b32 v77, s37, 9
	s_and_b64 s[36:37], s[6:7], s[22:23]
	v_cmp_gt_i64_e64 s[24:25], s[40:41], v[8:9]
	;; [unrolled: 6-line block ×6, first 2 shown]
	v_writelane_b32 v77, s36, 18
	v_writelane_b32 v77, s37, 19
	s_and_b64 s[6:7], s[6:7], s[34:35]
	s_lshl_b64 s[36:37], s[38:39], 5
	v_writelane_b32 v77, s6, 20
	v_pk_mov_b32 v[20:21], s[36:37], s[36:37] op_sel:[0,1]
	v_writelane_b32 v77, s7, 21
	v_mad_u64_u32 v[20:21], s[6:7], v22, s38, v[20:21]
	s_and_b64 s[6:7], s[2:3], vcc
	v_writelane_b32 v77, s6, 22
	v_writelane_b32 v77, s7, 23
	s_and_b64 s[6:7], s[2:3], s[20:21]
	v_writelane_b32 v77, s6, 24
	v_writelane_b32 v77, s7, 25
	s_and_b64 s[6:7], s[2:3], s[22:23]
	;; [unrolled: 3-line block ×3, first 2 shown]
	v_mul_lo_u32 v38, v22, s39
	v_writelane_b32 v77, s6, 28
	v_add_u32_e32 v21, v38, v21
	v_writelane_b32 v77, s7, 29
	v_mov_b32_e32 v24, s37
	v_add_co_u32_e64 v1, s[6:7], s36, v20
	v_addc_co_u32_e64 v3, s[6:7], v21, v24, s[6:7]
	v_add_co_u32_e64 v7, s[6:7], s36, v1
	v_addc_co_u32_e64 v9, s[6:7], v3, v24, s[6:7]
	;; [unrolled: 2-line block ×5, first 2 shown]
	s_and_b64 s[6:7], s[2:3], s[26:27]
	v_writelane_b32 v77, s6, 30
	v_writelane_b32 v77, s7, 31
	v_add_co_u32_e64 v61, s[6:7], s36, v59
	v_addc_co_u32_e64 v62, s[6:7], v60, v24, s[6:7]
	s_and_b64 s[6:7], s[2:3], s[28:29]
	v_writelane_b32 v77, s6, 32
	v_writelane_b32 v77, s7, 33
	s_and_b64 s[6:7], s[2:3], s[30:31]
	v_writelane_b32 v77, s6, 34
	v_writelane_b32 v77, s7, 35
	;; [unrolled: 3-line block ×3, first 2 shown]
	s_and_b64 s[2:3], s[8:9], vcc
	v_writelane_b32 v77, s2, 38
	v_writelane_b32 v77, s3, 39
	s_and_b64 s[2:3], s[8:9], s[20:21]
	v_writelane_b32 v77, s2, 40
	v_writelane_b32 v77, s3, 41
	s_and_b64 s[2:3], s[8:9], s[22:23]
	;; [unrolled: 3-line block ×7, first 2 shown]
	v_writelane_b32 v77, s2, 52
	v_writelane_b32 v77, s3, 53
	s_and_b64 s[2:3], s[10:11], vcc
	v_writelane_b32 v77, s2, 54
	v_writelane_b32 v77, s3, 55
	s_and_b64 s[2:3], s[10:11], s[20:21]
	v_writelane_b32 v77, s2, 56
	v_writelane_b32 v77, s3, 57
	s_and_b64 s[2:3], s[10:11], s[22:23]
	;; [unrolled: 3-line block ×5, first 2 shown]
                                        ; implicit-def: $vgpr76 : SGPR spill to VGPR lane
	s_and_b64 s[84:85], s[16:17], vcc
	v_writelane_b32 v76, s2, 0
	v_writelane_b32 v76, s3, 1
	s_and_b64 s[2:3], s[10:11], s[30:31]
	v_writelane_b32 v76, s2, 2
	v_writelane_b32 v76, s3, 3
	s_and_b64 s[2:3], s[10:11], s[34:35]
	v_writelane_b32 v76, s2, 4
	v_writelane_b32 v76, s3, 5
	s_and_b64 s[2:3], s[12:13], vcc
	v_writelane_b32 v76, s2, 6
	v_writelane_b32 v76, s3, 7
	s_and_b64 s[2:3], s[12:13], s[20:21]
	v_writelane_b32 v76, s2, 8
	v_writelane_b32 v76, s3, 9
	s_and_b64 s[2:3], s[12:13], s[22:23]
	;; [unrolled: 3-line block ×7, first 2 shown]
	v_writelane_b32 v76, s2, 20
	v_writelane_b32 v76, s3, 21
	s_and_b64 s[2:3], s[14:15], vcc
	v_writelane_b32 v76, s2, 22
	v_writelane_b32 v76, s3, 23
	s_and_b64 s[2:3], s[14:15], s[20:21]
	v_writelane_b32 v76, s2, 24
	v_writelane_b32 v76, s3, 25
	s_and_b64 s[2:3], s[14:15], s[22:23]
	;; [unrolled: 3-line block ×7, first 2 shown]
	v_writelane_b32 v76, s2, 36
	v_writelane_b32 v76, s3, 37
	s_load_dwordx2 s[2:3], s[4:5], 0x30
	s_and_b64 s[86:87], s[16:17], s[20:21]
	s_load_dwordx2 s[4:5], s[4:5], 0x58
	s_and_b64 s[88:89], s[16:17], s[22:23]
	s_and_b64 s[90:91], s[16:17], s[24:25]
	;; [unrolled: 1-line block ×6, first 2 shown]
	s_and_b64 s[38:39], s[18:19], vcc
	s_and_b64 s[20:21], s[18:19], s[20:21]
	s_and_b64 s[22:23], s[18:19], s[22:23]
	;; [unrolled: 1-line block ×7, first 2 shown]
	s_waitcnt lgkmcnt(0)
	s_add_u32 s54, s4, 0x100
	s_addc_u32 s55, s5, 0
	s_add_u32 s56, s48, 0x100
	s_addc_u32 s57, s49, 0
	;; [unrolled: 2-line block ×11, first 2 shown]
	v_writelane_b32 v76, s2, 38
	s_add_u32 s12, s48, 0x600
	v_writelane_b32 v76, s3, 39
	v_add_u32_e32 v19, v19, v38
	v_mad_u64_u32 v[38:39], s[2:3], v22, s40, 0
	s_addc_u32 s13, s49, 0
	v_mad_u64_u32 v[24:25], s[2:3], v0, s40, 0
	v_mov_b32_e32 v40, v39
	s_add_u32 s74, s4, 0x700
	v_add_u32_e32 v25, v25, v23
	v_mad_u64_u32 v[22:23], s[2:3], v22, s41, v[40:41]
	s_addc_u32 s75, s5, 0
	v_mov_b32_e32 v39, v22
	s_add_u32 s76, s48, 0x700
	s_mul_i32 s46, s50, s33
	v_lshlrev_b64 v[22:23], 3, v[38:39]
	v_lshlrev_b64 v[24:25], 3, v[24:25]
	;; [unrolled: 1-line block ×8, first 2 shown]
	s_addc_u32 s77, s49, 0
	s_movk_i32 s6, 0x100
	s_movk_i32 s7, 0x200
	;; [unrolled: 1-line block ×7, first 2 shown]
	s_mov_b64 s[42:43], s[50:51]
	s_branch .LBB207_21
.LBB207_20:                             ;   in Loop: Header=BB207_21 Depth=1
	s_or_b64 exec, exec, s[34:35]
	s_add_u32 s42, s42, 1
	s_addc_u32 s43, s43, 0
	v_pk_mov_b32 v[38:39], s[44:45], s[44:45] op_sel:[0,1]
	v_cmp_ge_i64_e32 vcc, s[42:43], v[38:39]
	s_cbranch_vccnz .LBB207_149
.LBB207_21:                             ; =>This Inner Loop Header: Depth=1
	s_lshl_b64 s[34:35], s[42:43], 3
	v_readlane_b32 s14, v76, 38
	v_readlane_b32 s15, v76, 39
	s_add_u32 s34, s14, s34
	s_addc_u32 s35, s15, s35
	s_load_dwordx2 s[34:35], s[34:35], 0x0
	v_readlane_b32 s14, v77, 0
	v_lshlrev_b32_e32 v65, 3, v0
	s_waitcnt lgkmcnt(0)
	s_sub_u32 s34, s34, s14
	s_subb_u32 s35, s35, 0
	s_mul_i32 s36, s34, s41
	s_mul_hi_u32 s37, s34, s40
	s_sub_u32 s81, s42, s50
	s_mul_i32 s35, s35, s40
	s_subb_u32 s82, s43, s51
	s_add_i32 s36, s37, s36
	s_add_i32 s35, s36, s35
	s_mul_i32 s34, s34, s40
	v_readlane_b32 s14, v77, 1
	s_add_u32 s36, s34, s14
	v_readlane_b32 s14, v77, 3
	s_addc_u32 s37, s35, 0
	s_mul_i32 s34, s42, s14
	s_mul_hi_u32 s35, s42, s33
	s_add_i32 s34, s35, s34
	s_mul_i32 s35, s43, s33
	v_mov_b32_e32 v39, s37
	v_add_co_u32_e32 v38, vcc, s36, v0
	v_readlane_b32 s15, v77, 2
	s_add_i32 s35, s34, s35
	s_mul_i32 s34, s42, s33
	v_addc_co_u32_e32 v39, vcc, 0, v39, vcc
	s_lshl_b64 s[34:35], s[34:35], 3
	v_readlane_b32 s14, v77, 4
	v_mov_b32_e32 v40, s82
	v_add_co_u32_e32 v42, vcc, s81, v18
	v_readlane_b32 s15, v77, 5
	s_add_u32 s83, s14, s34
	v_addc_co_u32_e32 v40, vcc, v19, v40, vcc
	s_addc_u32 s14, s15, s35
	v_mul_lo_u32 v44, v40, s40
	v_pk_mov_b32 v[40:41], s[46:47], s[46:47] op_sel:[0,1]
	v_mad_u64_u32 v[56:57], s[34:35], v42, s40, v[40:41]
	v_mov_b32_e32 v40, s14
	v_add_co_u32_e32 v63, vcc, s83, v58
	v_addc_co_u32_e32 v64, vcc, 0, v40, vcc
	v_mul_lo_u32 v43, v42, s41
	v_add_co_u32_e32 v66, vcc, s83, v22
	v_readlane_b32 s14, v77, 6
	v_add3_u32 v57, v44, v57, v43
	v_addc_co_u32_e32 v67, vcc, v40, v23, vcc
	v_readlane_b32 s15, v77, 7
	s_and_saveexec_b64 s[34:35], s[14:15]
	s_cbranch_execz .LBB207_23
; %bb.22:                               ;   in Loop: Header=BB207_21 Depth=1
	v_add_co_u32_e32 v40, vcc, v66, v65
	v_addc_co_u32_e32 v41, vcc, 0, v67, vcc
	v_add_co_u32_e32 v42, vcc, v63, v24
	v_addc_co_u32_e32 v43, vcc, v64, v25, vcc
	v_cndmask_b32_e64 v41, v43, v41, s[0:1]
	v_cndmask_b32_e64 v40, v42, v40, s[0:1]
	global_load_dwordx2 v[40:41], v[40:41], off
	v_add_co_u32_e32 v42, vcc, v56, v0
	v_addc_co_u32_e32 v43, vcc, 0, v57, vcc
	v_lshlrev_b64 v[42:43], 3, v[42:43]
	v_mov_b32_e32 v45, s5
	v_add_co_u32_e32 v44, vcc, s4, v42
	v_addc_co_u32_e32 v45, vcc, v45, v43, vcc
	global_store_dwordx2 v[44:45], v[38:39], off
	v_mov_b32_e32 v44, s49
	v_add_co_u32_e32 v42, vcc, s48, v42
	v_addc_co_u32_e32 v43, vcc, v44, v43, vcc
	s_waitcnt vmcnt(1)
	global_store_dwordx2 v[42:43], v[40:41], off
.LBB207_23:                             ;   in Loop: Header=BB207_21 Depth=1
	s_or_b64 exec, exec, s[34:35]
	v_mov_b32_e32 v41, s37
	v_add_co_u32_e32 v40, vcc, s36, v2
	v_readlane_b32 s14, v77, 8
	v_addc_co_u32_e32 v41, vcc, 0, v41, vcc
	v_lshlrev_b64 v[50:51], 3, v[4:5]
	v_readlane_b32 s15, v77, 9
	s_and_saveexec_b64 s[34:35], s[14:15]
	s_cbranch_execz .LBB207_25
; %bb.24:                               ;   in Loop: Header=BB207_21 Depth=1
	v_add_co_u32_e32 v42, vcc, v66, v65
	v_addc_co_u32_e32 v43, vcc, 0, v67, vcc
	v_add_co_u32_e32 v42, vcc, s6, v42
	v_addc_co_u32_e32 v43, vcc, 0, v43, vcc
	v_add_co_u32_e32 v44, vcc, v63, v50
	v_addc_co_u32_e32 v45, vcc, v64, v51, vcc
	v_cndmask_b32_e64 v43, v45, v43, s[0:1]
	v_cndmask_b32_e64 v42, v44, v42, s[0:1]
	global_load_dwordx2 v[42:43], v[42:43], off
	v_add_co_u32_e32 v44, vcc, v56, v0
	v_addc_co_u32_e32 v45, vcc, 0, v57, vcc
	v_lshlrev_b64 v[44:45], 3, v[44:45]
	v_mov_b32_e32 v47, s55
	v_add_co_u32_e32 v46, vcc, s54, v44
	v_addc_co_u32_e32 v47, vcc, v47, v45, vcc
	global_store_dwordx2 v[46:47], v[40:41], off
	v_mov_b32_e32 v46, s57
	v_add_co_u32_e32 v44, vcc, s56, v44
	v_addc_co_u32_e32 v45, vcc, v46, v45, vcc
	s_waitcnt vmcnt(1)
	global_store_dwordx2 v[44:45], v[42:43], off
.LBB207_25:                             ;   in Loop: Header=BB207_21 Depth=1
	s_or_b64 exec, exec, s[34:35]
	v_mov_b32_e32 v43, s37
	v_add_co_u32_e32 v42, vcc, s36, v6
	v_readlane_b32 s14, v77, 10
	v_addc_co_u32_e32 v43, vcc, 0, v43, vcc
	v_readlane_b32 s15, v77, 11
	s_and_saveexec_b64 s[34:35], s[14:15]
	s_cbranch_execz .LBB207_27
; %bb.26:                               ;   in Loop: Header=BB207_21 Depth=1
	v_add_co_u32_e32 v44, vcc, v66, v65
	v_addc_co_u32_e32 v45, vcc, 0, v67, vcc
	v_add_co_u32_e32 v44, vcc, s7, v44
	v_addc_co_u32_e32 v45, vcc, 0, v45, vcc
	v_add_co_u32_e32 v46, vcc, v63, v26
	v_addc_co_u32_e32 v47, vcc, v64, v27, vcc
	v_cndmask_b32_e64 v45, v47, v45, s[0:1]
	v_cndmask_b32_e64 v44, v46, v44, s[0:1]
	global_load_dwordx2 v[44:45], v[44:45], off
	v_add_co_u32_e32 v46, vcc, v56, v0
	v_addc_co_u32_e32 v47, vcc, 0, v57, vcc
	v_lshlrev_b64 v[46:47], 3, v[46:47]
	v_mov_b32_e32 v49, s59
	v_add_co_u32_e32 v48, vcc, s58, v46
	v_addc_co_u32_e32 v49, vcc, v49, v47, vcc
	global_store_dwordx2 v[48:49], v[42:43], off
	v_mov_b32_e32 v48, s11
	v_add_co_u32_e32 v46, vcc, s10, v46
	v_addc_co_u32_e32 v47, vcc, v48, v47, vcc
	s_waitcnt vmcnt(1)
	global_store_dwordx2 v[46:47], v[44:45], off
.LBB207_27:                             ;   in Loop: Header=BB207_21 Depth=1
	s_or_b64 exec, exec, s[34:35]
	v_mov_b32_e32 v45, s37
	v_add_co_u32_e32 v44, vcc, s36, v8
	v_readlane_b32 s14, v77, 12
	v_addc_co_u32_e32 v45, vcc, 0, v45, vcc
	;; [unrolled: 31-line block ×6, first 2 shown]
	v_readlane_b32 s15, v77, 21
	s_and_saveexec_b64 s[34:35], s[14:15]
	s_cbranch_execz .LBB207_37
; %bb.36:                               ;   in Loop: Header=BB207_21 Depth=1
	v_add_co_u32_e32 v68, vcc, v66, v65
	v_addc_co_u32_e32 v69, vcc, 0, v67, vcc
	v_add_co_u32_e32 v68, vcc, s80, v68
	v_addc_co_u32_e32 v69, vcc, 0, v69, vcc
	;; [unrolled: 2-line block ×3, first 2 shown]
	v_cndmask_b32_e64 v69, v71, v69, s[0:1]
	v_cndmask_b32_e64 v68, v70, v68, s[0:1]
	global_load_dwordx2 v[68:69], v[68:69], off
	v_add_co_u32_e32 v56, vcc, v56, v0
	v_addc_co_u32_e32 v57, vcc, 0, v57, vcc
	v_lshlrev_b64 v[56:57], 3, v[56:57]
	v_mov_b32_e32 v71, s75
	v_add_co_u32_e32 v70, vcc, s74, v56
	v_addc_co_u32_e32 v71, vcc, v71, v57, vcc
	global_store_dwordx2 v[70:71], v[54:55], off
	v_mov_b32_e32 v70, s77
	v_add_co_u32_e32 v56, vcc, s76, v56
	v_addc_co_u32_e32 v57, vcc, v70, v57, vcc
	s_waitcnt vmcnt(1)
	global_store_dwordx2 v[56:57], v[68:69], off
.LBB207_37:                             ;   in Loop: Header=BB207_21 Depth=1
	s_or_b64 exec, exec, s[34:35]
	v_mov_b32_e32 v56, s82
	v_add_co_u32_e32 v68, vcc, s81, v20
	v_addc_co_u32_e32 v56, vcc, v21, v56, vcc
	v_mul_lo_u32 v70, v56, s40
	v_pk_mov_b32 v[56:57], s[46:47], s[46:47] op_sel:[0,1]
	v_mad_u64_u32 v[56:57], s[34:35], v68, s40, v[56:57]
	s_lshl_b64 s[34:35], s[52:53], 3
	v_mul_lo_u32 v69, v68, s41
	v_mov_b32_e32 v68, s35
	v_add_co_u32_e32 v66, vcc, s34, v66
	v_readlane_b32 s14, v77, 22
	v_add3_u32 v57, v70, v57, v69
	v_addc_co_u32_e32 v67, vcc, v67, v68, vcc
	v_readlane_b32 s15, v77, 23
	s_and_saveexec_b64 s[36:37], s[14:15]
	s_cbranch_execz .LBB207_39
; %bb.38:                               ;   in Loop: Header=BB207_21 Depth=1
	v_add_co_u32_e32 v68, vcc, v66, v65
	v_addc_co_u32_e32 v69, vcc, 0, v67, vcc
	v_add_co_u32_e32 v70, vcc, v63, v24
	v_addc_co_u32_e32 v71, vcc, v64, v25, vcc
	;; [unrolled: 2-line block ×3, first 2 shown]
	v_cndmask_b32_e64 v69, v71, v69, s[0:1]
	v_cndmask_b32_e64 v68, v70, v68, s[0:1]
	global_load_dwordx2 v[68:69], v[68:69], off
	v_add_co_u32_e32 v70, vcc, v56, v0
	v_addc_co_u32_e32 v71, vcc, 0, v57, vcc
	v_lshlrev_b64 v[70:71], 3, v[70:71]
	v_mov_b32_e32 v73, s5
	v_add_co_u32_e32 v72, vcc, s4, v70
	v_addc_co_u32_e32 v73, vcc, v73, v71, vcc
	global_store_dwordx2 v[72:73], v[38:39], off
	v_mov_b32_e32 v72, s49
	v_add_co_u32_e32 v70, vcc, s48, v70
	v_addc_co_u32_e32 v71, vcc, v72, v71, vcc
	s_waitcnt vmcnt(1)
	global_store_dwordx2 v[70:71], v[68:69], off
.LBB207_39:                             ;   in Loop: Header=BB207_21 Depth=1
	s_or_b64 exec, exec, s[36:37]
	v_readlane_b32 s14, v77, 24
	v_readlane_b32 s15, v77, 25
	s_and_saveexec_b64 s[36:37], s[14:15]
	s_cbranch_execz .LBB207_41
; %bb.40:                               ;   in Loop: Header=BB207_21 Depth=1
	v_add_co_u32_e32 v68, vcc, v66, v65
	v_addc_co_u32_e32 v69, vcc, 0, v67, vcc
	v_add_co_u32_e32 v70, vcc, v63, v50
	v_addc_co_u32_e32 v71, vcc, v64, v51, vcc
	v_cndmask_b32_e64 v69, v71, v69, s[0:1]
	v_cndmask_b32_e64 v68, v70, v68, s[0:1]
	global_load_dwordx2 v[68:69], v[68:69], off offset:256
	v_add_co_u32_e32 v70, vcc, v56, v0
	v_addc_co_u32_e32 v71, vcc, 0, v57, vcc
	v_lshlrev_b64 v[70:71], 3, v[70:71]
	v_mov_b32_e32 v73, s55
	v_add_co_u32_e32 v72, vcc, s54, v70
	v_addc_co_u32_e32 v73, vcc, v73, v71, vcc
	global_store_dwordx2 v[72:73], v[40:41], off
	v_mov_b32_e32 v72, s57
	v_add_co_u32_e32 v70, vcc, s56, v70
	v_addc_co_u32_e32 v71, vcc, v72, v71, vcc
	s_waitcnt vmcnt(1)
	global_store_dwordx2 v[70:71], v[68:69], off
.LBB207_41:                             ;   in Loop: Header=BB207_21 Depth=1
	s_or_b64 exec, exec, s[36:37]
	v_readlane_b32 s14, v77, 26
	v_readlane_b32 s15, v77, 27
	s_and_saveexec_b64 s[36:37], s[14:15]
	s_cbranch_execz .LBB207_43
; %bb.42:                               ;   in Loop: Header=BB207_21 Depth=1
	v_add_co_u32_e32 v68, vcc, v66, v65
	v_addc_co_u32_e32 v69, vcc, 0, v67, vcc
	v_add_co_u32_e32 v68, vcc, s7, v68
	v_addc_co_u32_e32 v69, vcc, 0, v69, vcc
	v_add_co_u32_e32 v70, vcc, v63, v26
	v_addc_co_u32_e32 v71, vcc, v64, v27, vcc
	v_add_co_u32_e32 v70, vcc, 0x100, v70
	v_addc_co_u32_e32 v71, vcc, 0, v71, vcc
	v_cndmask_b32_e64 v69, v71, v69, s[0:1]
	v_cndmask_b32_e64 v68, v70, v68, s[0:1]
	global_load_dwordx2 v[68:69], v[68:69], off
	v_add_co_u32_e32 v70, vcc, v56, v0
	v_addc_co_u32_e32 v71, vcc, 0, v57, vcc
	v_lshlrev_b64 v[70:71], 3, v[70:71]
	v_mov_b32_e32 v73, s59
	v_add_co_u32_e32 v72, vcc, s58, v70
	v_addc_co_u32_e32 v73, vcc, v73, v71, vcc
	global_store_dwordx2 v[72:73], v[42:43], off
	v_mov_b32_e32 v72, s11
	v_add_co_u32_e32 v70, vcc, s10, v70
	v_addc_co_u32_e32 v71, vcc, v72, v71, vcc
	s_waitcnt vmcnt(1)
	global_store_dwordx2 v[70:71], v[68:69], off
.LBB207_43:                             ;   in Loop: Header=BB207_21 Depth=1
	s_or_b64 exec, exec, s[36:37]
	v_readlane_b32 s14, v77, 28
	v_readlane_b32 s15, v77, 29
	s_and_saveexec_b64 s[36:37], s[14:15]
	s_cbranch_execz .LBB207_45
; %bb.44:                               ;   in Loop: Header=BB207_21 Depth=1
	v_add_co_u32_e32 v68, vcc, v66, v65
	v_addc_co_u32_e32 v69, vcc, 0, v67, vcc
	v_add_co_u32_e32 v68, vcc, s78, v68
	v_addc_co_u32_e32 v69, vcc, 0, v69, vcc
	v_add_co_u32_e32 v70, vcc, v63, v28
	v_addc_co_u32_e32 v71, vcc, v64, v29, vcc
	v_add_co_u32_e32 v70, vcc, 0x100, v70
	v_addc_co_u32_e32 v71, vcc, 0, v71, vcc
	v_cndmask_b32_e64 v69, v71, v69, s[0:1]
	v_cndmask_b32_e64 v68, v70, v68, s[0:1]
	global_load_dwordx2 v[68:69], v[68:69], off
	v_add_co_u32_e32 v70, vcc, v56, v0
	v_addc_co_u32_e32 v71, vcc, 0, v57, vcc
	v_lshlrev_b64 v[70:71], 3, v[70:71]
	v_mov_b32_e32 v73, s61
	v_add_co_u32_e32 v72, vcc, s60, v70
	v_addc_co_u32_e32 v73, vcc, v73, v71, vcc
	global_store_dwordx2 v[72:73], v[44:45], off
	v_mov_b32_e32 v72, s63
	v_add_co_u32_e32 v70, vcc, s62, v70
	v_addc_co_u32_e32 v71, vcc, v72, v71, vcc
	s_waitcnt vmcnt(1)
	global_store_dwordx2 v[70:71], v[68:69], off
.LBB207_45:                             ;   in Loop: Header=BB207_21 Depth=1
	s_or_b64 exec, exec, s[36:37]
	v_readlane_b32 s14, v77, 30
	v_readlane_b32 s15, v77, 31
	s_and_saveexec_b64 s[36:37], s[14:15]
	s_cbranch_execz .LBB207_47
; %bb.46:                               ;   in Loop: Header=BB207_21 Depth=1
	v_add_co_u32_e32 v68, vcc, v66, v65
	v_addc_co_u32_e32 v69, vcc, 0, v67, vcc
	v_add_co_u32_e32 v68, vcc, s79, v68
	v_addc_co_u32_e32 v69, vcc, 0, v69, vcc
	v_add_co_u32_e32 v70, vcc, v63, v30
	v_addc_co_u32_e32 v71, vcc, v64, v31, vcc
	v_add_co_u32_e32 v70, vcc, 0x100, v70
	v_addc_co_u32_e32 v71, vcc, 0, v71, vcc
	v_cndmask_b32_e64 v69, v71, v69, s[0:1]
	v_cndmask_b32_e64 v68, v70, v68, s[0:1]
	global_load_dwordx2 v[68:69], v[68:69], off
	v_add_co_u32_e32 v70, vcc, v56, v0
	v_addc_co_u32_e32 v71, vcc, 0, v57, vcc
	v_lshlrev_b64 v[70:71], 3, v[70:71]
	v_mov_b32_e32 v73, s65
	v_add_co_u32_e32 v72, vcc, s64, v70
	v_addc_co_u32_e32 v73, vcc, v73, v71, vcc
	global_store_dwordx2 v[72:73], v[46:47], off
	v_mov_b32_e32 v72, s67
	v_add_co_u32_e32 v70, vcc, s66, v70
	v_addc_co_u32_e32 v71, vcc, v72, v71, vcc
	s_waitcnt vmcnt(1)
	global_store_dwordx2 v[70:71], v[68:69], off
.LBB207_47:                             ;   in Loop: Header=BB207_21 Depth=1
	s_or_b64 exec, exec, s[36:37]
	v_readlane_b32 s14, v77, 32
	v_readlane_b32 s15, v77, 33
	s_and_saveexec_b64 s[36:37], s[14:15]
	s_cbranch_execz .LBB207_49
; %bb.48:                               ;   in Loop: Header=BB207_21 Depth=1
	v_add_co_u32_e32 v68, vcc, v66, v65
	v_addc_co_u32_e32 v69, vcc, 0, v67, vcc
	v_add_co_u32_e32 v68, vcc, s2, v68
	v_addc_co_u32_e32 v69, vcc, 0, v69, vcc
	v_add_co_u32_e32 v70, vcc, v63, v32
	v_addc_co_u32_e32 v71, vcc, v64, v33, vcc
	v_add_co_u32_e32 v70, vcc, 0x100, v70
	v_addc_co_u32_e32 v71, vcc, 0, v71, vcc
	v_cndmask_b32_e64 v69, v71, v69, s[0:1]
	v_cndmask_b32_e64 v68, v70, v68, s[0:1]
	global_load_dwordx2 v[68:69], v[68:69], off
	v_add_co_u32_e32 v70, vcc, v56, v0
	v_addc_co_u32_e32 v71, vcc, 0, v57, vcc
	v_lshlrev_b64 v[70:71], 3, v[70:71]
	v_mov_b32_e32 v73, s69
	v_add_co_u32_e32 v72, vcc, s68, v70
	v_addc_co_u32_e32 v73, vcc, v73, v71, vcc
	global_store_dwordx2 v[72:73], v[48:49], off
	v_mov_b32_e32 v72, s71
	v_add_co_u32_e32 v70, vcc, s70, v70
	v_addc_co_u32_e32 v71, vcc, v72, v71, vcc
	s_waitcnt vmcnt(1)
	global_store_dwordx2 v[70:71], v[68:69], off
.LBB207_49:                             ;   in Loop: Header=BB207_21 Depth=1
	s_or_b64 exec, exec, s[36:37]
	v_readlane_b32 s14, v77, 34
	v_readlane_b32 s15, v77, 35
	s_and_saveexec_b64 s[36:37], s[14:15]
	s_cbranch_execz .LBB207_51
; %bb.50:                               ;   in Loop: Header=BB207_21 Depth=1
	v_add_co_u32_e32 v68, vcc, v66, v65
	v_addc_co_u32_e32 v69, vcc, 0, v67, vcc
	v_add_co_u32_e32 v68, vcc, s3, v68
	v_addc_co_u32_e32 v69, vcc, 0, v69, vcc
	v_add_co_u32_e32 v70, vcc, v63, v34
	v_addc_co_u32_e32 v71, vcc, v64, v35, vcc
	v_add_co_u32_e32 v70, vcc, 0x100, v70
	v_addc_co_u32_e32 v71, vcc, 0, v71, vcc
	v_cndmask_b32_e64 v69, v71, v69, s[0:1]
	v_cndmask_b32_e64 v68, v70, v68, s[0:1]
	global_load_dwordx2 v[68:69], v[68:69], off
	v_add_co_u32_e32 v70, vcc, v56, v0
	v_addc_co_u32_e32 v71, vcc, 0, v57, vcc
	v_lshlrev_b64 v[70:71], 3, v[70:71]
	v_mov_b32_e32 v73, s73
	v_add_co_u32_e32 v72, vcc, s72, v70
	v_addc_co_u32_e32 v73, vcc, v73, v71, vcc
	global_store_dwordx2 v[72:73], v[52:53], off
	v_mov_b32_e32 v72, s13
	v_add_co_u32_e32 v70, vcc, s12, v70
	v_addc_co_u32_e32 v71, vcc, v72, v71, vcc
	s_waitcnt vmcnt(1)
	global_store_dwordx2 v[70:71], v[68:69], off
.LBB207_51:                             ;   in Loop: Header=BB207_21 Depth=1
	s_or_b64 exec, exec, s[36:37]
	v_readlane_b32 s14, v77, 36
	v_readlane_b32 s15, v77, 37
	s_and_saveexec_b64 s[36:37], s[14:15]
	s_cbranch_execz .LBB207_53
; %bb.52:                               ;   in Loop: Header=BB207_21 Depth=1
	v_add_co_u32_e32 v68, vcc, v66, v65
	v_addc_co_u32_e32 v69, vcc, 0, v67, vcc
	v_add_co_u32_e32 v68, vcc, s80, v68
	v_addc_co_u32_e32 v69, vcc, 0, v69, vcc
	v_add_co_u32_e32 v70, vcc, v63, v36
	v_addc_co_u32_e32 v71, vcc, v64, v37, vcc
	v_add_co_u32_e32 v70, vcc, 0x100, v70
	v_addc_co_u32_e32 v71, vcc, 0, v71, vcc
	v_cndmask_b32_e64 v69, v71, v69, s[0:1]
	v_cndmask_b32_e64 v68, v70, v68, s[0:1]
	global_load_dwordx2 v[68:69], v[68:69], off
	v_add_co_u32_e32 v56, vcc, v56, v0
	v_addc_co_u32_e32 v57, vcc, 0, v57, vcc
	v_lshlrev_b64 v[56:57], 3, v[56:57]
	v_mov_b32_e32 v71, s75
	v_add_co_u32_e32 v70, vcc, s74, v56
	v_addc_co_u32_e32 v71, vcc, v71, v57, vcc
	global_store_dwordx2 v[70:71], v[54:55], off
	v_mov_b32_e32 v70, s77
	v_add_co_u32_e32 v56, vcc, s76, v56
	v_addc_co_u32_e32 v57, vcc, v70, v57, vcc
	s_waitcnt vmcnt(1)
	global_store_dwordx2 v[56:57], v[68:69], off
.LBB207_53:                             ;   in Loop: Header=BB207_21 Depth=1
	s_or_b64 exec, exec, s[36:37]
	v_mov_b32_e32 v56, s82
	v_add_co_u32_e32 v68, vcc, s81, v1
	v_addc_co_u32_e32 v56, vcc, v3, v56, vcc
	v_mul_lo_u32 v70, v56, s40
	v_pk_mov_b32 v[56:57], s[46:47], s[46:47] op_sel:[0,1]
	v_mul_lo_u32 v69, v68, s41
	v_mad_u64_u32 v[56:57], s[36:37], v68, s40, v[56:57]
	v_mov_b32_e32 v68, s35
	v_add_co_u32_e32 v66, vcc, s34, v66
	v_readlane_b32 s14, v77, 38
	v_add3_u32 v57, v70, v57, v69
	v_addc_co_u32_e32 v67, vcc, v67, v68, vcc
	v_readlane_b32 s15, v77, 39
	s_and_saveexec_b64 s[36:37], s[14:15]
	s_cbranch_execz .LBB207_55
; %bb.54:                               ;   in Loop: Header=BB207_21 Depth=1
	v_add_co_u32_e32 v68, vcc, v66, v65
	v_addc_co_u32_e32 v69, vcc, 0, v67, vcc
	v_add_co_u32_e32 v70, vcc, v63, v24
	v_addc_co_u32_e32 v71, vcc, v64, v25, vcc
	;; [unrolled: 2-line block ×3, first 2 shown]
	v_cndmask_b32_e64 v69, v71, v69, s[0:1]
	v_cndmask_b32_e64 v68, v70, v68, s[0:1]
	global_load_dwordx2 v[68:69], v[68:69], off
	v_add_co_u32_e32 v70, vcc, v56, v0
	v_addc_co_u32_e32 v71, vcc, 0, v57, vcc
	v_lshlrev_b64 v[70:71], 3, v[70:71]
	v_mov_b32_e32 v73, s5
	v_add_co_u32_e32 v72, vcc, s4, v70
	v_addc_co_u32_e32 v73, vcc, v73, v71, vcc
	global_store_dwordx2 v[72:73], v[38:39], off
	v_mov_b32_e32 v72, s49
	v_add_co_u32_e32 v70, vcc, s48, v70
	v_addc_co_u32_e32 v71, vcc, v72, v71, vcc
	s_waitcnt vmcnt(1)
	global_store_dwordx2 v[70:71], v[68:69], off
.LBB207_55:                             ;   in Loop: Header=BB207_21 Depth=1
	s_or_b64 exec, exec, s[36:37]
	v_readlane_b32 s14, v77, 40
	v_readlane_b32 s15, v77, 41
	s_and_saveexec_b64 s[36:37], s[14:15]
	s_cbranch_execz .LBB207_57
; %bb.56:                               ;   in Loop: Header=BB207_21 Depth=1
	v_add_co_u32_e32 v68, vcc, v66, v65
	v_addc_co_u32_e32 v69, vcc, 0, v67, vcc
	v_add_co_u32_e32 v68, vcc, s6, v68
	v_addc_co_u32_e32 v69, vcc, 0, v69, vcc
	;; [unrolled: 2-line block ×4, first 2 shown]
	v_cndmask_b32_e64 v69, v71, v69, s[0:1]
	v_cndmask_b32_e64 v68, v70, v68, s[0:1]
	global_load_dwordx2 v[68:69], v[68:69], off
	v_add_co_u32_e32 v70, vcc, v56, v0
	v_addc_co_u32_e32 v71, vcc, 0, v57, vcc
	v_lshlrev_b64 v[70:71], 3, v[70:71]
	v_mov_b32_e32 v73, s55
	v_add_co_u32_e32 v72, vcc, s54, v70
	v_addc_co_u32_e32 v73, vcc, v73, v71, vcc
	global_store_dwordx2 v[72:73], v[40:41], off
	v_mov_b32_e32 v72, s57
	v_add_co_u32_e32 v70, vcc, s56, v70
	v_addc_co_u32_e32 v71, vcc, v72, v71, vcc
	s_waitcnt vmcnt(1)
	global_store_dwordx2 v[70:71], v[68:69], off
.LBB207_57:                             ;   in Loop: Header=BB207_21 Depth=1
	s_or_b64 exec, exec, s[36:37]
	v_readlane_b32 s14, v77, 42
	v_readlane_b32 s15, v77, 43
	s_and_saveexec_b64 s[36:37], s[14:15]
	s_cbranch_execz .LBB207_59
; %bb.58:                               ;   in Loop: Header=BB207_21 Depth=1
	v_add_co_u32_e32 v68, vcc, v66, v65
	v_addc_co_u32_e32 v69, vcc, 0, v67, vcc
	v_add_co_u32_e32 v70, vcc, v63, v26
	v_addc_co_u32_e32 v71, vcc, v64, v27, vcc
	v_cndmask_b32_e64 v69, v71, v69, s[0:1]
	v_cndmask_b32_e64 v68, v70, v68, s[0:1]
	global_load_dwordx2 v[68:69], v[68:69], off offset:512
	v_add_co_u32_e32 v70, vcc, v56, v0
	v_addc_co_u32_e32 v71, vcc, 0, v57, vcc
	v_lshlrev_b64 v[70:71], 3, v[70:71]
	v_mov_b32_e32 v73, s59
	v_add_co_u32_e32 v72, vcc, s58, v70
	v_addc_co_u32_e32 v73, vcc, v73, v71, vcc
	global_store_dwordx2 v[72:73], v[42:43], off
	v_mov_b32_e32 v72, s11
	v_add_co_u32_e32 v70, vcc, s10, v70
	v_addc_co_u32_e32 v71, vcc, v72, v71, vcc
	s_waitcnt vmcnt(1)
	global_store_dwordx2 v[70:71], v[68:69], off
.LBB207_59:                             ;   in Loop: Header=BB207_21 Depth=1
	s_or_b64 exec, exec, s[36:37]
	v_readlane_b32 s14, v77, 44
	v_readlane_b32 s15, v77, 45
	s_and_saveexec_b64 s[36:37], s[14:15]
	s_cbranch_execz .LBB207_61
; %bb.60:                               ;   in Loop: Header=BB207_21 Depth=1
	v_add_co_u32_e32 v68, vcc, v66, v65
	v_addc_co_u32_e32 v69, vcc, 0, v67, vcc
	v_add_co_u32_e32 v68, vcc, s78, v68
	v_addc_co_u32_e32 v69, vcc, 0, v69, vcc
	v_add_co_u32_e32 v70, vcc, v63, v28
	v_addc_co_u32_e32 v71, vcc, v64, v29, vcc
	v_add_co_u32_e32 v70, vcc, 0x200, v70
	v_addc_co_u32_e32 v71, vcc, 0, v71, vcc
	v_cndmask_b32_e64 v69, v71, v69, s[0:1]
	v_cndmask_b32_e64 v68, v70, v68, s[0:1]
	global_load_dwordx2 v[68:69], v[68:69], off
	v_add_co_u32_e32 v70, vcc, v56, v0
	v_addc_co_u32_e32 v71, vcc, 0, v57, vcc
	v_lshlrev_b64 v[70:71], 3, v[70:71]
	v_mov_b32_e32 v73, s61
	v_add_co_u32_e32 v72, vcc, s60, v70
	v_addc_co_u32_e32 v73, vcc, v73, v71, vcc
	global_store_dwordx2 v[72:73], v[44:45], off
	v_mov_b32_e32 v72, s63
	v_add_co_u32_e32 v70, vcc, s62, v70
	v_addc_co_u32_e32 v71, vcc, v72, v71, vcc
	s_waitcnt vmcnt(1)
	global_store_dwordx2 v[70:71], v[68:69], off
.LBB207_61:                             ;   in Loop: Header=BB207_21 Depth=1
	s_or_b64 exec, exec, s[36:37]
	v_readlane_b32 s14, v77, 46
	v_readlane_b32 s15, v77, 47
	s_and_saveexec_b64 s[36:37], s[14:15]
	s_cbranch_execz .LBB207_63
; %bb.62:                               ;   in Loop: Header=BB207_21 Depth=1
	v_add_co_u32_e32 v68, vcc, v66, v65
	v_addc_co_u32_e32 v69, vcc, 0, v67, vcc
	v_add_co_u32_e32 v68, vcc, s79, v68
	v_addc_co_u32_e32 v69, vcc, 0, v69, vcc
	v_add_co_u32_e32 v70, vcc, v63, v30
	v_addc_co_u32_e32 v71, vcc, v64, v31, vcc
	v_add_co_u32_e32 v70, vcc, 0x200, v70
	v_addc_co_u32_e32 v71, vcc, 0, v71, vcc
	v_cndmask_b32_e64 v69, v71, v69, s[0:1]
	v_cndmask_b32_e64 v68, v70, v68, s[0:1]
	global_load_dwordx2 v[68:69], v[68:69], off
	v_add_co_u32_e32 v70, vcc, v56, v0
	v_addc_co_u32_e32 v71, vcc, 0, v57, vcc
	v_lshlrev_b64 v[70:71], 3, v[70:71]
	v_mov_b32_e32 v73, s65
	v_add_co_u32_e32 v72, vcc, s64, v70
	v_addc_co_u32_e32 v73, vcc, v73, v71, vcc
	global_store_dwordx2 v[72:73], v[46:47], off
	v_mov_b32_e32 v72, s67
	v_add_co_u32_e32 v70, vcc, s66, v70
	v_addc_co_u32_e32 v71, vcc, v72, v71, vcc
	s_waitcnt vmcnt(1)
	global_store_dwordx2 v[70:71], v[68:69], off
.LBB207_63:                             ;   in Loop: Header=BB207_21 Depth=1
	;; [unrolled: 30-line block ×5, first 2 shown]
	s_or_b64 exec, exec, s[36:37]
	v_mov_b32_e32 v56, s82
	v_add_co_u32_e32 v68, vcc, s81, v7
	v_addc_co_u32_e32 v56, vcc, v9, v56, vcc
	v_mul_lo_u32 v70, v56, s40
	v_pk_mov_b32 v[56:57], s[46:47], s[46:47] op_sel:[0,1]
	v_mul_lo_u32 v69, v68, s41
	v_mad_u64_u32 v[56:57], s[36:37], v68, s40, v[56:57]
	v_mov_b32_e32 v68, s35
	v_add_co_u32_e32 v66, vcc, s34, v66
	v_readlane_b32 s14, v77, 54
	v_add3_u32 v57, v70, v57, v69
	v_addc_co_u32_e32 v67, vcc, v67, v68, vcc
	v_readlane_b32 s15, v77, 55
	s_and_saveexec_b64 s[36:37], s[14:15]
	s_cbranch_execz .LBB207_71
; %bb.70:                               ;   in Loop: Header=BB207_21 Depth=1
	v_add_co_u32_e32 v68, vcc, v66, v65
	v_addc_co_u32_e32 v69, vcc, 0, v67, vcc
	v_add_co_u32_e32 v70, vcc, v63, v24
	v_addc_co_u32_e32 v71, vcc, v64, v25, vcc
	;; [unrolled: 2-line block ×3, first 2 shown]
	v_cndmask_b32_e64 v69, v71, v69, s[0:1]
	v_cndmask_b32_e64 v68, v70, v68, s[0:1]
	global_load_dwordx2 v[68:69], v[68:69], off
	v_add_co_u32_e32 v70, vcc, v56, v0
	v_addc_co_u32_e32 v71, vcc, 0, v57, vcc
	v_lshlrev_b64 v[70:71], 3, v[70:71]
	v_mov_b32_e32 v73, s5
	v_add_co_u32_e32 v72, vcc, s4, v70
	v_addc_co_u32_e32 v73, vcc, v73, v71, vcc
	global_store_dwordx2 v[72:73], v[38:39], off
	v_mov_b32_e32 v72, s49
	v_add_co_u32_e32 v70, vcc, s48, v70
	v_addc_co_u32_e32 v71, vcc, v72, v71, vcc
	s_waitcnt vmcnt(1)
	global_store_dwordx2 v[70:71], v[68:69], off
.LBB207_71:                             ;   in Loop: Header=BB207_21 Depth=1
	s_or_b64 exec, exec, s[36:37]
	v_readlane_b32 s14, v77, 56
	v_readlane_b32 s15, v77, 57
	s_and_saveexec_b64 s[36:37], s[14:15]
	s_cbranch_execz .LBB207_73
; %bb.72:                               ;   in Loop: Header=BB207_21 Depth=1
	v_add_co_u32_e32 v68, vcc, v66, v65
	v_addc_co_u32_e32 v69, vcc, 0, v67, vcc
	v_add_co_u32_e32 v68, vcc, s6, v68
	v_addc_co_u32_e32 v69, vcc, 0, v69, vcc
	;; [unrolled: 2-line block ×4, first 2 shown]
	v_cndmask_b32_e64 v69, v71, v69, s[0:1]
	v_cndmask_b32_e64 v68, v70, v68, s[0:1]
	global_load_dwordx2 v[68:69], v[68:69], off
	v_add_co_u32_e32 v70, vcc, v56, v0
	v_addc_co_u32_e32 v71, vcc, 0, v57, vcc
	v_lshlrev_b64 v[70:71], 3, v[70:71]
	v_mov_b32_e32 v73, s55
	v_add_co_u32_e32 v72, vcc, s54, v70
	v_addc_co_u32_e32 v73, vcc, v73, v71, vcc
	global_store_dwordx2 v[72:73], v[40:41], off
	v_mov_b32_e32 v72, s57
	v_add_co_u32_e32 v70, vcc, s56, v70
	v_addc_co_u32_e32 v71, vcc, v72, v71, vcc
	s_waitcnt vmcnt(1)
	global_store_dwordx2 v[70:71], v[68:69], off
.LBB207_73:                             ;   in Loop: Header=BB207_21 Depth=1
	s_or_b64 exec, exec, s[36:37]
	v_readlane_b32 s14, v77, 58
	v_readlane_b32 s15, v77, 59
	s_and_saveexec_b64 s[36:37], s[14:15]
	s_cbranch_execz .LBB207_75
; %bb.74:                               ;   in Loop: Header=BB207_21 Depth=1
	v_add_co_u32_e32 v68, vcc, v66, v65
	v_addc_co_u32_e32 v69, vcc, 0, v67, vcc
	v_add_co_u32_e32 v68, vcc, s7, v68
	v_addc_co_u32_e32 v69, vcc, 0, v69, vcc
	;; [unrolled: 2-line block ×4, first 2 shown]
	v_cndmask_b32_e64 v69, v71, v69, s[0:1]
	v_cndmask_b32_e64 v68, v70, v68, s[0:1]
	global_load_dwordx2 v[68:69], v[68:69], off
	v_add_co_u32_e32 v70, vcc, v56, v0
	v_addc_co_u32_e32 v71, vcc, 0, v57, vcc
	v_lshlrev_b64 v[70:71], 3, v[70:71]
	v_mov_b32_e32 v73, s59
	v_add_co_u32_e32 v72, vcc, s58, v70
	v_addc_co_u32_e32 v73, vcc, v73, v71, vcc
	global_store_dwordx2 v[72:73], v[42:43], off
	v_mov_b32_e32 v72, s11
	v_add_co_u32_e32 v70, vcc, s10, v70
	v_addc_co_u32_e32 v71, vcc, v72, v71, vcc
	s_waitcnt vmcnt(1)
	global_store_dwordx2 v[70:71], v[68:69], off
.LBB207_75:                             ;   in Loop: Header=BB207_21 Depth=1
	s_or_b64 exec, exec, s[36:37]
	v_readlane_b32 s14, v77, 60
	v_readlane_b32 s15, v77, 61
	s_and_saveexec_b64 s[36:37], s[14:15]
	s_cbranch_execz .LBB207_77
; %bb.76:                               ;   in Loop: Header=BB207_21 Depth=1
	v_add_co_u32_e32 v68, vcc, v66, v65
	v_addc_co_u32_e32 v69, vcc, 0, v67, vcc
	v_add_co_u32_e32 v70, vcc, v63, v28
	v_addc_co_u32_e32 v71, vcc, v64, v29, vcc
	v_cndmask_b32_e64 v69, v71, v69, s[0:1]
	v_cndmask_b32_e64 v68, v70, v68, s[0:1]
	global_load_dwordx2 v[68:69], v[68:69], off offset:768
	v_add_co_u32_e32 v70, vcc, v56, v0
	v_addc_co_u32_e32 v71, vcc, 0, v57, vcc
	v_lshlrev_b64 v[70:71], 3, v[70:71]
	v_mov_b32_e32 v73, s61
	v_add_co_u32_e32 v72, vcc, s60, v70
	v_addc_co_u32_e32 v73, vcc, v73, v71, vcc
	global_store_dwordx2 v[72:73], v[44:45], off
	v_mov_b32_e32 v72, s63
	v_add_co_u32_e32 v70, vcc, s62, v70
	v_addc_co_u32_e32 v71, vcc, v72, v71, vcc
	s_waitcnt vmcnt(1)
	global_store_dwordx2 v[70:71], v[68:69], off
.LBB207_77:                             ;   in Loop: Header=BB207_21 Depth=1
	s_or_b64 exec, exec, s[36:37]
	v_readlane_b32 s14, v77, 62
	v_readlane_b32 s15, v77, 63
	s_and_saveexec_b64 s[36:37], s[14:15]
	s_cbranch_execz .LBB207_79
; %bb.78:                               ;   in Loop: Header=BB207_21 Depth=1
	v_add_co_u32_e32 v68, vcc, v66, v65
	v_addc_co_u32_e32 v69, vcc, 0, v67, vcc
	v_add_co_u32_e32 v68, vcc, s79, v68
	v_addc_co_u32_e32 v69, vcc, 0, v69, vcc
	v_add_co_u32_e32 v70, vcc, v63, v30
	v_addc_co_u32_e32 v71, vcc, v64, v31, vcc
	v_add_co_u32_e32 v70, vcc, 0x300, v70
	v_addc_co_u32_e32 v71, vcc, 0, v71, vcc
	v_cndmask_b32_e64 v69, v71, v69, s[0:1]
	v_cndmask_b32_e64 v68, v70, v68, s[0:1]
	global_load_dwordx2 v[68:69], v[68:69], off
	v_add_co_u32_e32 v70, vcc, v56, v0
	v_addc_co_u32_e32 v71, vcc, 0, v57, vcc
	v_lshlrev_b64 v[70:71], 3, v[70:71]
	v_mov_b32_e32 v73, s65
	v_add_co_u32_e32 v72, vcc, s64, v70
	v_addc_co_u32_e32 v73, vcc, v73, v71, vcc
	global_store_dwordx2 v[72:73], v[46:47], off
	v_mov_b32_e32 v72, s67
	v_add_co_u32_e32 v70, vcc, s66, v70
	v_addc_co_u32_e32 v71, vcc, v72, v71, vcc
	s_waitcnt vmcnt(1)
	global_store_dwordx2 v[70:71], v[68:69], off
.LBB207_79:                             ;   in Loop: Header=BB207_21 Depth=1
	s_or_b64 exec, exec, s[36:37]
	v_readlane_b32 s14, v76, 0
	v_readlane_b32 s15, v76, 1
	s_and_saveexec_b64 s[36:37], s[14:15]
	s_cbranch_execz .LBB207_81
; %bb.80:                               ;   in Loop: Header=BB207_21 Depth=1
	v_add_co_u32_e32 v68, vcc, v66, v65
	v_addc_co_u32_e32 v69, vcc, 0, v67, vcc
	v_add_co_u32_e32 v68, vcc, s2, v68
	v_addc_co_u32_e32 v69, vcc, 0, v69, vcc
	v_add_co_u32_e32 v70, vcc, v63, v32
	v_addc_co_u32_e32 v71, vcc, v64, v33, vcc
	v_add_co_u32_e32 v70, vcc, 0x300, v70
	v_addc_co_u32_e32 v71, vcc, 0, v71, vcc
	v_cndmask_b32_e64 v69, v71, v69, s[0:1]
	v_cndmask_b32_e64 v68, v70, v68, s[0:1]
	global_load_dwordx2 v[68:69], v[68:69], off
	v_add_co_u32_e32 v70, vcc, v56, v0
	v_addc_co_u32_e32 v71, vcc, 0, v57, vcc
	v_lshlrev_b64 v[70:71], 3, v[70:71]
	v_mov_b32_e32 v73, s69
	v_add_co_u32_e32 v72, vcc, s68, v70
	v_addc_co_u32_e32 v73, vcc, v73, v71, vcc
	global_store_dwordx2 v[72:73], v[48:49], off
	v_mov_b32_e32 v72, s71
	v_add_co_u32_e32 v70, vcc, s70, v70
	v_addc_co_u32_e32 v71, vcc, v72, v71, vcc
	s_waitcnt vmcnt(1)
	global_store_dwordx2 v[70:71], v[68:69], off
.LBB207_81:                             ;   in Loop: Header=BB207_21 Depth=1
	;; [unrolled: 30-line block ×4, first 2 shown]
	s_or_b64 exec, exec, s[36:37]
	v_mov_b32_e32 v56, s82
	v_add_co_u32_e32 v68, vcc, s81, v11
	v_addc_co_u32_e32 v56, vcc, v13, v56, vcc
	v_mul_lo_u32 v70, v56, s40
	v_pk_mov_b32 v[56:57], s[46:47], s[46:47] op_sel:[0,1]
	v_mul_lo_u32 v69, v68, s41
	v_mad_u64_u32 v[56:57], s[36:37], v68, s40, v[56:57]
	v_mov_b32_e32 v68, s35
	v_add_co_u32_e32 v66, vcc, s34, v66
	v_readlane_b32 s14, v76, 6
	v_add3_u32 v57, v70, v57, v69
	v_addc_co_u32_e32 v67, vcc, v67, v68, vcc
	v_readlane_b32 s15, v76, 7
	s_and_saveexec_b64 s[36:37], s[14:15]
	s_cbranch_execz .LBB207_87
; %bb.86:                               ;   in Loop: Header=BB207_21 Depth=1
	v_add_co_u32_e32 v68, vcc, v66, v65
	v_addc_co_u32_e32 v69, vcc, 0, v67, vcc
	v_add_co_u32_e32 v70, vcc, v63, v24
	v_addc_co_u32_e32 v71, vcc, v64, v25, vcc
	;; [unrolled: 2-line block ×3, first 2 shown]
	v_cndmask_b32_e64 v69, v71, v69, s[0:1]
	v_cndmask_b32_e64 v68, v70, v68, s[0:1]
	global_load_dwordx2 v[68:69], v[68:69], off
	v_add_co_u32_e32 v70, vcc, v56, v0
	v_addc_co_u32_e32 v71, vcc, 0, v57, vcc
	v_lshlrev_b64 v[70:71], 3, v[70:71]
	v_mov_b32_e32 v73, s5
	v_add_co_u32_e32 v72, vcc, s4, v70
	v_addc_co_u32_e32 v73, vcc, v73, v71, vcc
	global_store_dwordx2 v[72:73], v[38:39], off
	v_mov_b32_e32 v72, s49
	v_add_co_u32_e32 v70, vcc, s48, v70
	v_addc_co_u32_e32 v71, vcc, v72, v71, vcc
	s_waitcnt vmcnt(1)
	global_store_dwordx2 v[70:71], v[68:69], off
.LBB207_87:                             ;   in Loop: Header=BB207_21 Depth=1
	s_or_b64 exec, exec, s[36:37]
	v_readlane_b32 s14, v76, 8
	v_readlane_b32 s15, v76, 9
	s_and_saveexec_b64 s[36:37], s[14:15]
	s_cbranch_execz .LBB207_89
; %bb.88:                               ;   in Loop: Header=BB207_21 Depth=1
	v_add_co_u32_e32 v68, vcc, v66, v65
	v_addc_co_u32_e32 v69, vcc, 0, v67, vcc
	v_add_co_u32_e32 v68, vcc, s6, v68
	v_addc_co_u32_e32 v69, vcc, 0, v69, vcc
	v_add_co_u32_e32 v70, vcc, v63, v50
	v_addc_co_u32_e32 v71, vcc, v64, v51, vcc
	v_add_co_u32_e32 v70, vcc, 0x400, v70
	v_addc_co_u32_e32 v71, vcc, 0, v71, vcc
	v_cndmask_b32_e64 v69, v71, v69, s[0:1]
	v_cndmask_b32_e64 v68, v70, v68, s[0:1]
	global_load_dwordx2 v[68:69], v[68:69], off
	v_add_co_u32_e32 v70, vcc, v56, v0
	v_addc_co_u32_e32 v71, vcc, 0, v57, vcc
	v_lshlrev_b64 v[70:71], 3, v[70:71]
	v_mov_b32_e32 v73, s55
	v_add_co_u32_e32 v72, vcc, s54, v70
	v_addc_co_u32_e32 v73, vcc, v73, v71, vcc
	global_store_dwordx2 v[72:73], v[40:41], off
	v_mov_b32_e32 v72, s57
	v_add_co_u32_e32 v70, vcc, s56, v70
	v_addc_co_u32_e32 v71, vcc, v72, v71, vcc
	s_waitcnt vmcnt(1)
	global_store_dwordx2 v[70:71], v[68:69], off
.LBB207_89:                             ;   in Loop: Header=BB207_21 Depth=1
	s_or_b64 exec, exec, s[36:37]
	v_readlane_b32 s14, v76, 10
	v_readlane_b32 s15, v76, 11
	s_and_saveexec_b64 s[36:37], s[14:15]
	s_cbranch_execz .LBB207_91
; %bb.90:                               ;   in Loop: Header=BB207_21 Depth=1
	v_add_co_u32_e32 v68, vcc, v66, v65
	v_addc_co_u32_e32 v69, vcc, 0, v67, vcc
	v_add_co_u32_e32 v68, vcc, s7, v68
	v_addc_co_u32_e32 v69, vcc, 0, v69, vcc
	v_add_co_u32_e32 v70, vcc, v63, v26
	v_addc_co_u32_e32 v71, vcc, v64, v27, vcc
	v_add_co_u32_e32 v70, vcc, 0x400, v70
	v_addc_co_u32_e32 v71, vcc, 0, v71, vcc
	v_cndmask_b32_e64 v69, v71, v69, s[0:1]
	v_cndmask_b32_e64 v68, v70, v68, s[0:1]
	global_load_dwordx2 v[68:69], v[68:69], off
	v_add_co_u32_e32 v70, vcc, v56, v0
	v_addc_co_u32_e32 v71, vcc, 0, v57, vcc
	v_lshlrev_b64 v[70:71], 3, v[70:71]
	v_mov_b32_e32 v73, s59
	v_add_co_u32_e32 v72, vcc, s58, v70
	v_addc_co_u32_e32 v73, vcc, v73, v71, vcc
	global_store_dwordx2 v[72:73], v[42:43], off
	v_mov_b32_e32 v72, s11
	v_add_co_u32_e32 v70, vcc, s10, v70
	v_addc_co_u32_e32 v71, vcc, v72, v71, vcc
	s_waitcnt vmcnt(1)
	global_store_dwordx2 v[70:71], v[68:69], off
.LBB207_91:                             ;   in Loop: Header=BB207_21 Depth=1
	;; [unrolled: 30-line block ×3, first 2 shown]
	s_or_b64 exec, exec, s[36:37]
	v_readlane_b32 s14, v76, 14
	v_readlane_b32 s15, v76, 15
	s_and_saveexec_b64 s[36:37], s[14:15]
	s_cbranch_execz .LBB207_95
; %bb.94:                               ;   in Loop: Header=BB207_21 Depth=1
	v_add_co_u32_e32 v68, vcc, v56, v0
	v_addc_co_u32_e32 v69, vcc, 0, v57, vcc
	v_lshlrev_b64 v[68:69], 3, v[68:69]
	v_mov_b32_e32 v71, s65
	v_add_co_u32_e32 v70, vcc, s64, v68
	v_addc_co_u32_e32 v71, vcc, v71, v69, vcc
	global_store_dwordx2 v[70:71], v[46:47], off
	v_add_co_u32_e32 v70, vcc, v66, v65
	v_addc_co_u32_e32 v71, vcc, 0, v67, vcc
	v_add_co_u32_e32 v72, vcc, v63, v30
	v_addc_co_u32_e32 v73, vcc, v64, v31, vcc
	v_cndmask_b32_e64 v71, v73, v71, s[0:1]
	v_cndmask_b32_e64 v70, v72, v70, s[0:1]
	global_load_dwordx2 v[70:71], v[70:71], off offset:1024
	v_mov_b32_e32 v72, s67
	v_add_co_u32_e32 v68, vcc, s66, v68
	v_addc_co_u32_e32 v69, vcc, v72, v69, vcc
	s_waitcnt vmcnt(0)
	global_store_dwordx2 v[68:69], v[70:71], off
.LBB207_95:                             ;   in Loop: Header=BB207_21 Depth=1
	s_or_b64 exec, exec, s[36:37]
	v_readlane_b32 s14, v76, 16
	v_readlane_b32 s15, v76, 17
	s_and_saveexec_b64 s[36:37], s[14:15]
	s_cbranch_execz .LBB207_97
; %bb.96:                               ;   in Loop: Header=BB207_21 Depth=1
	v_add_co_u32_e32 v68, vcc, v66, v65
	v_addc_co_u32_e32 v69, vcc, 0, v67, vcc
	v_add_co_u32_e32 v68, vcc, s2, v68
	v_addc_co_u32_e32 v69, vcc, 0, v69, vcc
	;; [unrolled: 2-line block ×4, first 2 shown]
	v_cndmask_b32_e64 v69, v71, v69, s[0:1]
	v_cndmask_b32_e64 v68, v70, v68, s[0:1]
	global_load_dwordx2 v[68:69], v[68:69], off
	v_add_co_u32_e32 v70, vcc, v56, v0
	v_addc_co_u32_e32 v71, vcc, 0, v57, vcc
	v_lshlrev_b64 v[70:71], 3, v[70:71]
	v_mov_b32_e32 v73, s69
	v_add_co_u32_e32 v72, vcc, s68, v70
	v_addc_co_u32_e32 v73, vcc, v73, v71, vcc
	global_store_dwordx2 v[72:73], v[48:49], off
	v_mov_b32_e32 v72, s71
	v_add_co_u32_e32 v70, vcc, s70, v70
	v_addc_co_u32_e32 v71, vcc, v72, v71, vcc
	s_waitcnt vmcnt(1)
	global_store_dwordx2 v[70:71], v[68:69], off
.LBB207_97:                             ;   in Loop: Header=BB207_21 Depth=1
	s_or_b64 exec, exec, s[36:37]
	v_readlane_b32 s14, v76, 18
	v_readlane_b32 s15, v76, 19
	s_and_saveexec_b64 s[36:37], s[14:15]
	s_cbranch_execz .LBB207_99
; %bb.98:                               ;   in Loop: Header=BB207_21 Depth=1
	v_add_co_u32_e32 v68, vcc, v66, v65
	v_addc_co_u32_e32 v69, vcc, 0, v67, vcc
	v_add_co_u32_e32 v68, vcc, s3, v68
	v_addc_co_u32_e32 v69, vcc, 0, v69, vcc
	;; [unrolled: 2-line block ×4, first 2 shown]
	v_cndmask_b32_e64 v69, v71, v69, s[0:1]
	v_cndmask_b32_e64 v68, v70, v68, s[0:1]
	global_load_dwordx2 v[68:69], v[68:69], off
	v_add_co_u32_e32 v70, vcc, v56, v0
	v_addc_co_u32_e32 v71, vcc, 0, v57, vcc
	v_lshlrev_b64 v[70:71], 3, v[70:71]
	v_mov_b32_e32 v73, s73
	v_add_co_u32_e32 v72, vcc, s72, v70
	v_addc_co_u32_e32 v73, vcc, v73, v71, vcc
	global_store_dwordx2 v[72:73], v[52:53], off
	v_mov_b32_e32 v72, s13
	v_add_co_u32_e32 v70, vcc, s12, v70
	v_addc_co_u32_e32 v71, vcc, v72, v71, vcc
	s_waitcnt vmcnt(1)
	global_store_dwordx2 v[70:71], v[68:69], off
.LBB207_99:                             ;   in Loop: Header=BB207_21 Depth=1
	s_or_b64 exec, exec, s[36:37]
	v_readlane_b32 s14, v76, 20
	v_readlane_b32 s15, v76, 21
	s_and_saveexec_b64 s[36:37], s[14:15]
	s_cbranch_execz .LBB207_101
; %bb.100:                              ;   in Loop: Header=BB207_21 Depth=1
	v_add_co_u32_e32 v68, vcc, v66, v65
	v_addc_co_u32_e32 v69, vcc, 0, v67, vcc
	v_add_co_u32_e32 v68, vcc, s80, v68
	v_addc_co_u32_e32 v69, vcc, 0, v69, vcc
	;; [unrolled: 2-line block ×4, first 2 shown]
	v_cndmask_b32_e64 v69, v71, v69, s[0:1]
	v_cndmask_b32_e64 v68, v70, v68, s[0:1]
	global_load_dwordx2 v[68:69], v[68:69], off
	v_add_co_u32_e32 v56, vcc, v56, v0
	v_addc_co_u32_e32 v57, vcc, 0, v57, vcc
	v_lshlrev_b64 v[56:57], 3, v[56:57]
	v_mov_b32_e32 v71, s75
	v_add_co_u32_e32 v70, vcc, s74, v56
	v_addc_co_u32_e32 v71, vcc, v71, v57, vcc
	global_store_dwordx2 v[70:71], v[54:55], off
	v_mov_b32_e32 v70, s77
	v_add_co_u32_e32 v56, vcc, s76, v56
	v_addc_co_u32_e32 v57, vcc, v70, v57, vcc
	s_waitcnt vmcnt(1)
	global_store_dwordx2 v[56:57], v[68:69], off
.LBB207_101:                            ;   in Loop: Header=BB207_21 Depth=1
	s_or_b64 exec, exec, s[36:37]
	v_mov_b32_e32 v56, s82
	v_add_co_u32_e32 v68, vcc, s81, v15
	v_addc_co_u32_e32 v56, vcc, v17, v56, vcc
	v_mul_lo_u32 v70, v56, s40
	v_pk_mov_b32 v[56:57], s[46:47], s[46:47] op_sel:[0,1]
	v_mul_lo_u32 v69, v68, s41
	v_mad_u64_u32 v[56:57], s[36:37], v68, s40, v[56:57]
	v_mov_b32_e32 v68, s35
	v_add_co_u32_e32 v66, vcc, s34, v66
	v_readlane_b32 s14, v76, 22
	v_add3_u32 v57, v70, v57, v69
	v_addc_co_u32_e32 v67, vcc, v67, v68, vcc
	v_readlane_b32 s15, v76, 23
	s_and_saveexec_b64 s[36:37], s[14:15]
	s_cbranch_execz .LBB207_103
; %bb.102:                              ;   in Loop: Header=BB207_21 Depth=1
	v_add_co_u32_e32 v68, vcc, v66, v65
	v_addc_co_u32_e32 v69, vcc, 0, v67, vcc
	v_add_co_u32_e32 v70, vcc, v63, v24
	v_addc_co_u32_e32 v71, vcc, v64, v25, vcc
	;; [unrolled: 2-line block ×3, first 2 shown]
	v_cndmask_b32_e64 v69, v71, v69, s[0:1]
	v_cndmask_b32_e64 v68, v70, v68, s[0:1]
	global_load_dwordx2 v[68:69], v[68:69], off
	v_add_co_u32_e32 v70, vcc, v56, v0
	v_addc_co_u32_e32 v71, vcc, 0, v57, vcc
	v_lshlrev_b64 v[70:71], 3, v[70:71]
	v_mov_b32_e32 v73, s5
	v_add_co_u32_e32 v72, vcc, s4, v70
	v_addc_co_u32_e32 v73, vcc, v73, v71, vcc
	global_store_dwordx2 v[72:73], v[38:39], off
	v_mov_b32_e32 v72, s49
	v_add_co_u32_e32 v70, vcc, s48, v70
	v_addc_co_u32_e32 v71, vcc, v72, v71, vcc
	s_waitcnt vmcnt(1)
	global_store_dwordx2 v[70:71], v[68:69], off
.LBB207_103:                            ;   in Loop: Header=BB207_21 Depth=1
	s_or_b64 exec, exec, s[36:37]
	v_readlane_b32 s14, v76, 24
	v_readlane_b32 s15, v76, 25
	s_and_saveexec_b64 s[36:37], s[14:15]
	s_cbranch_execz .LBB207_105
; %bb.104:                              ;   in Loop: Header=BB207_21 Depth=1
	v_add_co_u32_e32 v68, vcc, v66, v65
	v_addc_co_u32_e32 v69, vcc, 0, v67, vcc
	v_add_co_u32_e32 v68, vcc, s6, v68
	v_addc_co_u32_e32 v69, vcc, 0, v69, vcc
	v_add_co_u32_e32 v70, vcc, v63, v50
	v_addc_co_u32_e32 v71, vcc, v64, v51, vcc
	v_add_co_u32_e32 v70, vcc, 0x500, v70
	v_addc_co_u32_e32 v71, vcc, 0, v71, vcc
	v_cndmask_b32_e64 v69, v71, v69, s[0:1]
	v_cndmask_b32_e64 v68, v70, v68, s[0:1]
	global_load_dwordx2 v[68:69], v[68:69], off
	v_add_co_u32_e32 v70, vcc, v56, v0
	v_addc_co_u32_e32 v71, vcc, 0, v57, vcc
	v_lshlrev_b64 v[70:71], 3, v[70:71]
	v_mov_b32_e32 v73, s55
	v_add_co_u32_e32 v72, vcc, s54, v70
	v_addc_co_u32_e32 v73, vcc, v73, v71, vcc
	global_store_dwordx2 v[72:73], v[40:41], off
	v_mov_b32_e32 v72, s57
	v_add_co_u32_e32 v70, vcc, s56, v70
	v_addc_co_u32_e32 v71, vcc, v72, v71, vcc
	s_waitcnt vmcnt(1)
	global_store_dwordx2 v[70:71], v[68:69], off
.LBB207_105:                            ;   in Loop: Header=BB207_21 Depth=1
	s_or_b64 exec, exec, s[36:37]
	v_readlane_b32 s14, v76, 26
	v_readlane_b32 s15, v76, 27
	s_and_saveexec_b64 s[36:37], s[14:15]
	s_cbranch_execz .LBB207_107
; %bb.106:                              ;   in Loop: Header=BB207_21 Depth=1
	v_add_co_u32_e32 v68, vcc, v66, v65
	v_addc_co_u32_e32 v69, vcc, 0, v67, vcc
	v_add_co_u32_e32 v68, vcc, s7, v68
	v_addc_co_u32_e32 v69, vcc, 0, v69, vcc
	v_add_co_u32_e32 v70, vcc, v63, v26
	v_addc_co_u32_e32 v71, vcc, v64, v27, vcc
	v_add_co_u32_e32 v70, vcc, 0x500, v70
	v_addc_co_u32_e32 v71, vcc, 0, v71, vcc
	v_cndmask_b32_e64 v69, v71, v69, s[0:1]
	v_cndmask_b32_e64 v68, v70, v68, s[0:1]
	global_load_dwordx2 v[68:69], v[68:69], off
	v_add_co_u32_e32 v70, vcc, v56, v0
	v_addc_co_u32_e32 v71, vcc, 0, v57, vcc
	v_lshlrev_b64 v[70:71], 3, v[70:71]
	v_mov_b32_e32 v73, s59
	v_add_co_u32_e32 v72, vcc, s58, v70
	v_addc_co_u32_e32 v73, vcc, v73, v71, vcc
	global_store_dwordx2 v[72:73], v[42:43], off
	v_mov_b32_e32 v72, s11
	v_add_co_u32_e32 v70, vcc, s10, v70
	v_addc_co_u32_e32 v71, vcc, v72, v71, vcc
	s_waitcnt vmcnt(1)
	global_store_dwordx2 v[70:71], v[68:69], off
.LBB207_107:                            ;   in Loop: Header=BB207_21 Depth=1
	;; [unrolled: 30-line block ×4, first 2 shown]
	s_or_b64 exec, exec, s[36:37]
	v_readlane_b32 s14, v76, 32
	v_readlane_b32 s15, v76, 33
	s_and_saveexec_b64 s[36:37], s[14:15]
	s_cbranch_execz .LBB207_113
; %bb.112:                              ;   in Loop: Header=BB207_21 Depth=1
	v_add_co_u32_e32 v68, vcc, v56, v0
	v_addc_co_u32_e32 v69, vcc, 0, v57, vcc
	v_lshlrev_b64 v[68:69], 3, v[68:69]
	v_mov_b32_e32 v71, s69
	v_add_co_u32_e32 v70, vcc, s68, v68
	v_addc_co_u32_e32 v71, vcc, v71, v69, vcc
	global_store_dwordx2 v[70:71], v[48:49], off
	v_add_co_u32_e32 v70, vcc, v66, v65
	v_addc_co_u32_e32 v71, vcc, 0, v67, vcc
	v_add_co_u32_e32 v72, vcc, v63, v32
	v_addc_co_u32_e32 v73, vcc, v64, v33, vcc
	v_cndmask_b32_e64 v71, v73, v71, s[0:1]
	v_cndmask_b32_e64 v70, v72, v70, s[0:1]
	global_load_dwordx2 v[70:71], v[70:71], off offset:1280
	v_mov_b32_e32 v72, s71
	v_add_co_u32_e32 v68, vcc, s70, v68
	v_addc_co_u32_e32 v69, vcc, v72, v69, vcc
	s_waitcnt vmcnt(0)
	global_store_dwordx2 v[68:69], v[70:71], off
.LBB207_113:                            ;   in Loop: Header=BB207_21 Depth=1
	s_or_b64 exec, exec, s[36:37]
	v_readlane_b32 s14, v76, 34
	v_readlane_b32 s15, v76, 35
	s_and_saveexec_b64 s[36:37], s[14:15]
	s_cbranch_execz .LBB207_115
; %bb.114:                              ;   in Loop: Header=BB207_21 Depth=1
	v_add_co_u32_e32 v68, vcc, v66, v65
	v_addc_co_u32_e32 v69, vcc, 0, v67, vcc
	v_add_co_u32_e32 v68, vcc, s3, v68
	v_addc_co_u32_e32 v69, vcc, 0, v69, vcc
	;; [unrolled: 2-line block ×4, first 2 shown]
	v_cndmask_b32_e64 v69, v71, v69, s[0:1]
	v_cndmask_b32_e64 v68, v70, v68, s[0:1]
	global_load_dwordx2 v[68:69], v[68:69], off
	v_add_co_u32_e32 v70, vcc, v56, v0
	v_addc_co_u32_e32 v71, vcc, 0, v57, vcc
	v_lshlrev_b64 v[70:71], 3, v[70:71]
	v_mov_b32_e32 v73, s73
	v_add_co_u32_e32 v72, vcc, s72, v70
	v_addc_co_u32_e32 v73, vcc, v73, v71, vcc
	global_store_dwordx2 v[72:73], v[52:53], off
	v_mov_b32_e32 v72, s13
	v_add_co_u32_e32 v70, vcc, s12, v70
	v_addc_co_u32_e32 v71, vcc, v72, v71, vcc
	s_waitcnt vmcnt(1)
	global_store_dwordx2 v[70:71], v[68:69], off
.LBB207_115:                            ;   in Loop: Header=BB207_21 Depth=1
	s_or_b64 exec, exec, s[36:37]
	v_readlane_b32 s14, v76, 36
	v_readlane_b32 s15, v76, 37
	s_and_saveexec_b64 s[36:37], s[14:15]
	s_cbranch_execz .LBB207_117
; %bb.116:                              ;   in Loop: Header=BB207_21 Depth=1
	v_add_co_u32_e32 v68, vcc, v66, v65
	v_addc_co_u32_e32 v69, vcc, 0, v67, vcc
	v_add_co_u32_e32 v68, vcc, s80, v68
	v_addc_co_u32_e32 v69, vcc, 0, v69, vcc
	;; [unrolled: 2-line block ×4, first 2 shown]
	v_cndmask_b32_e64 v69, v71, v69, s[0:1]
	v_cndmask_b32_e64 v68, v70, v68, s[0:1]
	global_load_dwordx2 v[68:69], v[68:69], off
	v_add_co_u32_e32 v56, vcc, v56, v0
	v_addc_co_u32_e32 v57, vcc, 0, v57, vcc
	v_lshlrev_b64 v[56:57], 3, v[56:57]
	v_mov_b32_e32 v71, s75
	v_add_co_u32_e32 v70, vcc, s74, v56
	v_addc_co_u32_e32 v71, vcc, v71, v57, vcc
	global_store_dwordx2 v[70:71], v[54:55], off
	v_mov_b32_e32 v70, s77
	v_add_co_u32_e32 v56, vcc, s76, v56
	v_addc_co_u32_e32 v57, vcc, v70, v57, vcc
	s_waitcnt vmcnt(1)
	global_store_dwordx2 v[56:57], v[68:69], off
.LBB207_117:                            ;   in Loop: Header=BB207_21 Depth=1
	s_or_b64 exec, exec, s[36:37]
	v_mov_b32_e32 v56, s82
	v_add_co_u32_e32 v68, vcc, s81, v59
	v_addc_co_u32_e32 v56, vcc, v60, v56, vcc
	v_mul_lo_u32 v70, v56, s40
	v_pk_mov_b32 v[56:57], s[46:47], s[46:47] op_sel:[0,1]
	v_mul_lo_u32 v69, v68, s41
	v_mad_u64_u32 v[56:57], s[36:37], v68, s40, v[56:57]
	v_mov_b32_e32 v68, s35
	v_add_co_u32_e32 v66, vcc, s34, v66
	v_add3_u32 v57, v70, v57, v69
	v_addc_co_u32_e32 v67, vcc, v67, v68, vcc
	s_and_saveexec_b64 s[36:37], s[84:85]
	s_cbranch_execnz .LBB207_134
; %bb.118:                              ;   in Loop: Header=BB207_21 Depth=1
	s_or_b64 exec, exec, s[36:37]
	s_and_saveexec_b64 s[36:37], s[86:87]
	s_cbranch_execnz .LBB207_135
.LBB207_119:                            ;   in Loop: Header=BB207_21 Depth=1
	s_or_b64 exec, exec, s[36:37]
	s_and_saveexec_b64 s[36:37], s[88:89]
	s_cbranch_execnz .LBB207_136
.LBB207_120:                            ;   in Loop: Header=BB207_21 Depth=1
	s_or_b64 exec, exec, s[36:37]
	s_and_saveexec_b64 s[36:37], s[90:91]
	s_cbranch_execnz .LBB207_137
.LBB207_121:                            ;   in Loop: Header=BB207_21 Depth=1
	s_or_b64 exec, exec, s[36:37]
	s_and_saveexec_b64 s[36:37], s[92:93]
	s_cbranch_execnz .LBB207_138
.LBB207_122:                            ;   in Loop: Header=BB207_21 Depth=1
	s_or_b64 exec, exec, s[36:37]
	s_and_saveexec_b64 s[36:37], s[8:9]
	s_cbranch_execnz .LBB207_139
.LBB207_123:                            ;   in Loop: Header=BB207_21 Depth=1
	s_or_b64 exec, exec, s[36:37]
	s_and_saveexec_b64 s[36:37], s[94:95]
	s_cbranch_execnz .LBB207_140
.LBB207_124:                            ;   in Loop: Header=BB207_21 Depth=1
	s_or_b64 exec, exec, s[36:37]
	s_and_saveexec_b64 s[36:37], s[16:17]
	s_cbranch_execz .LBB207_126
.LBB207_125:                            ;   in Loop: Header=BB207_21 Depth=1
	v_add_co_u32_e32 v68, vcc, v66, v65
	v_addc_co_u32_e32 v69, vcc, 0, v67, vcc
	v_add_co_u32_e32 v68, vcc, s80, v68
	v_addc_co_u32_e32 v69, vcc, 0, v69, vcc
	;; [unrolled: 2-line block ×4, first 2 shown]
	v_cndmask_b32_e64 v69, v71, v69, s[0:1]
	v_cndmask_b32_e64 v68, v70, v68, s[0:1]
	global_load_dwordx2 v[68:69], v[68:69], off
	v_add_co_u32_e32 v56, vcc, v56, v0
	v_addc_co_u32_e32 v57, vcc, 0, v57, vcc
	v_lshlrev_b64 v[56:57], 3, v[56:57]
	v_mov_b32_e32 v71, s75
	v_add_co_u32_e32 v70, vcc, s74, v56
	v_addc_co_u32_e32 v71, vcc, v71, v57, vcc
	global_store_dwordx2 v[70:71], v[54:55], off
	v_mov_b32_e32 v70, s77
	v_add_co_u32_e32 v56, vcc, s76, v56
	v_addc_co_u32_e32 v57, vcc, v70, v57, vcc
	s_waitcnt vmcnt(1)
	global_store_dwordx2 v[56:57], v[68:69], off
.LBB207_126:                            ;   in Loop: Header=BB207_21 Depth=1
	s_or_b64 exec, exec, s[36:37]
	v_mov_b32_e32 v56, s82
	v_add_co_u32_e32 v68, vcc, s81, v61
	v_addc_co_u32_e32 v56, vcc, v62, v56, vcc
	v_mul_lo_u32 v70, v56, s40
	v_pk_mov_b32 v[56:57], s[46:47], s[46:47] op_sel:[0,1]
	v_mul_lo_u32 v69, v68, s41
	v_mad_u64_u32 v[56:57], s[36:37], v68, s40, v[56:57]
	v_add3_u32 v68, v70, v57, v69
	v_mov_b32_e32 v69, s35
	v_add_co_u32_e32 v57, vcc, s34, v66
	v_addc_co_u32_e32 v66, vcc, v67, v69, vcc
	s_and_saveexec_b64 s[34:35], s[38:39]
	s_cbranch_execnz .LBB207_141
; %bb.127:                              ;   in Loop: Header=BB207_21 Depth=1
	s_or_b64 exec, exec, s[34:35]
	s_and_saveexec_b64 s[34:35], s[20:21]
	s_cbranch_execnz .LBB207_142
.LBB207_128:                            ;   in Loop: Header=BB207_21 Depth=1
	s_or_b64 exec, exec, s[34:35]
	s_and_saveexec_b64 s[34:35], s[22:23]
	s_cbranch_execnz .LBB207_143
.LBB207_129:                            ;   in Loop: Header=BB207_21 Depth=1
	s_or_b64 exec, exec, s[34:35]
	s_and_saveexec_b64 s[34:35], s[24:25]
	s_cbranch_execnz .LBB207_144
.LBB207_130:                            ;   in Loop: Header=BB207_21 Depth=1
	s_or_b64 exec, exec, s[34:35]
	s_and_saveexec_b64 s[34:35], s[26:27]
	s_cbranch_execnz .LBB207_145
.LBB207_131:                            ;   in Loop: Header=BB207_21 Depth=1
	s_or_b64 exec, exec, s[34:35]
	s_and_saveexec_b64 s[34:35], s[28:29]
	s_cbranch_execnz .LBB207_146
.LBB207_132:                            ;   in Loop: Header=BB207_21 Depth=1
	s_or_b64 exec, exec, s[34:35]
	s_and_saveexec_b64 s[34:35], s[30:31]
	s_cbranch_execnz .LBB207_147
.LBB207_133:                            ;   in Loop: Header=BB207_21 Depth=1
	s_or_b64 exec, exec, s[34:35]
	s_and_saveexec_b64 s[34:35], s[18:19]
	s_cbranch_execz .LBB207_20
	s_branch .LBB207_148
.LBB207_134:                            ;   in Loop: Header=BB207_21 Depth=1
	v_add_co_u32_e32 v68, vcc, v66, v65
	v_addc_co_u32_e32 v69, vcc, 0, v67, vcc
	v_add_co_u32_e32 v70, vcc, v63, v24
	v_addc_co_u32_e32 v71, vcc, v64, v25, vcc
	;; [unrolled: 2-line block ×3, first 2 shown]
	v_cndmask_b32_e64 v69, v71, v69, s[0:1]
	v_cndmask_b32_e64 v68, v70, v68, s[0:1]
	global_load_dwordx2 v[68:69], v[68:69], off
	v_add_co_u32_e32 v70, vcc, v56, v0
	v_addc_co_u32_e32 v71, vcc, 0, v57, vcc
	v_lshlrev_b64 v[70:71], 3, v[70:71]
	v_mov_b32_e32 v73, s5
	v_add_co_u32_e32 v72, vcc, s4, v70
	v_addc_co_u32_e32 v73, vcc, v73, v71, vcc
	global_store_dwordx2 v[72:73], v[38:39], off
	v_mov_b32_e32 v72, s49
	v_add_co_u32_e32 v70, vcc, s48, v70
	v_addc_co_u32_e32 v71, vcc, v72, v71, vcc
	s_waitcnt vmcnt(1)
	global_store_dwordx2 v[70:71], v[68:69], off
	s_or_b64 exec, exec, s[36:37]
	s_and_saveexec_b64 s[36:37], s[86:87]
	s_cbranch_execz .LBB207_119
.LBB207_135:                            ;   in Loop: Header=BB207_21 Depth=1
	v_add_co_u32_e32 v68, vcc, v66, v65
	v_addc_co_u32_e32 v69, vcc, 0, v67, vcc
	v_add_co_u32_e32 v68, vcc, s6, v68
	v_addc_co_u32_e32 v69, vcc, 0, v69, vcc
	v_add_co_u32_e32 v70, vcc, v63, v50
	v_addc_co_u32_e32 v71, vcc, v64, v51, vcc
	v_add_co_u32_e32 v70, vcc, 0x600, v70
	v_addc_co_u32_e32 v71, vcc, 0, v71, vcc
	v_cndmask_b32_e64 v69, v71, v69, s[0:1]
	v_cndmask_b32_e64 v68, v70, v68, s[0:1]
	global_load_dwordx2 v[68:69], v[68:69], off
	v_add_co_u32_e32 v70, vcc, v56, v0
	v_addc_co_u32_e32 v71, vcc, 0, v57, vcc
	v_lshlrev_b64 v[70:71], 3, v[70:71]
	v_mov_b32_e32 v73, s55
	v_add_co_u32_e32 v72, vcc, s54, v70
	v_addc_co_u32_e32 v73, vcc, v73, v71, vcc
	global_store_dwordx2 v[72:73], v[40:41], off
	v_mov_b32_e32 v72, s57
	v_add_co_u32_e32 v70, vcc, s56, v70
	v_addc_co_u32_e32 v71, vcc, v72, v71, vcc
	s_waitcnt vmcnt(1)
	global_store_dwordx2 v[70:71], v[68:69], off
	s_or_b64 exec, exec, s[36:37]
	s_and_saveexec_b64 s[36:37], s[88:89]
	s_cbranch_execz .LBB207_120
.LBB207_136:                            ;   in Loop: Header=BB207_21 Depth=1
	v_add_co_u32_e32 v68, vcc, v66, v65
	v_addc_co_u32_e32 v69, vcc, 0, v67, vcc
	v_add_co_u32_e32 v68, vcc, s7, v68
	v_addc_co_u32_e32 v69, vcc, 0, v69, vcc
	;; [unrolled: 2-line block ×4, first 2 shown]
	v_cndmask_b32_e64 v69, v71, v69, s[0:1]
	v_cndmask_b32_e64 v68, v70, v68, s[0:1]
	global_load_dwordx2 v[68:69], v[68:69], off
	v_add_co_u32_e32 v70, vcc, v56, v0
	v_addc_co_u32_e32 v71, vcc, 0, v57, vcc
	v_lshlrev_b64 v[70:71], 3, v[70:71]
	v_mov_b32_e32 v73, s59
	v_add_co_u32_e32 v72, vcc, s58, v70
	v_addc_co_u32_e32 v73, vcc, v73, v71, vcc
	global_store_dwordx2 v[72:73], v[42:43], off
	v_mov_b32_e32 v72, s11
	v_add_co_u32_e32 v70, vcc, s10, v70
	v_addc_co_u32_e32 v71, vcc, v72, v71, vcc
	s_waitcnt vmcnt(1)
	global_store_dwordx2 v[70:71], v[68:69], off
	s_or_b64 exec, exec, s[36:37]
	s_and_saveexec_b64 s[36:37], s[90:91]
	s_cbranch_execz .LBB207_121
.LBB207_137:                            ;   in Loop: Header=BB207_21 Depth=1
	v_add_co_u32_e32 v68, vcc, v66, v65
	v_addc_co_u32_e32 v69, vcc, 0, v67, vcc
	v_add_co_u32_e32 v68, vcc, s78, v68
	v_addc_co_u32_e32 v69, vcc, 0, v69, vcc
	v_add_co_u32_e32 v70, vcc, v63, v28
	v_addc_co_u32_e32 v71, vcc, v64, v29, vcc
	v_add_co_u32_e32 v70, vcc, 0x600, v70
	v_addc_co_u32_e32 v71, vcc, 0, v71, vcc
	v_cndmask_b32_e64 v69, v71, v69, s[0:1]
	v_cndmask_b32_e64 v68, v70, v68, s[0:1]
	global_load_dwordx2 v[68:69], v[68:69], off
	v_add_co_u32_e32 v70, vcc, v56, v0
	v_addc_co_u32_e32 v71, vcc, 0, v57, vcc
	v_lshlrev_b64 v[70:71], 3, v[70:71]
	v_mov_b32_e32 v73, s61
	v_add_co_u32_e32 v72, vcc, s60, v70
	v_addc_co_u32_e32 v73, vcc, v73, v71, vcc
	global_store_dwordx2 v[72:73], v[44:45], off
	v_mov_b32_e32 v72, s63
	v_add_co_u32_e32 v70, vcc, s62, v70
	v_addc_co_u32_e32 v71, vcc, v72, v71, vcc
	s_waitcnt vmcnt(1)
	global_store_dwordx2 v[70:71], v[68:69], off
	s_or_b64 exec, exec, s[36:37]
	s_and_saveexec_b64 s[36:37], s[92:93]
	s_cbranch_execz .LBB207_122
.LBB207_138:                            ;   in Loop: Header=BB207_21 Depth=1
	v_add_co_u32_e32 v68, vcc, v66, v65
	v_addc_co_u32_e32 v69, vcc, 0, v67, vcc
	v_add_co_u32_e32 v68, vcc, s79, v68
	v_addc_co_u32_e32 v69, vcc, 0, v69, vcc
	;; [unrolled: 2-line block ×4, first 2 shown]
	v_cndmask_b32_e64 v69, v71, v69, s[0:1]
	v_cndmask_b32_e64 v68, v70, v68, s[0:1]
	global_load_dwordx2 v[68:69], v[68:69], off
	v_add_co_u32_e32 v70, vcc, v56, v0
	v_addc_co_u32_e32 v71, vcc, 0, v57, vcc
	v_lshlrev_b64 v[70:71], 3, v[70:71]
	v_mov_b32_e32 v73, s65
	v_add_co_u32_e32 v72, vcc, s64, v70
	v_addc_co_u32_e32 v73, vcc, v73, v71, vcc
	global_store_dwordx2 v[72:73], v[46:47], off
	v_mov_b32_e32 v72, s67
	v_add_co_u32_e32 v70, vcc, s66, v70
	v_addc_co_u32_e32 v71, vcc, v72, v71, vcc
	s_waitcnt vmcnt(1)
	global_store_dwordx2 v[70:71], v[68:69], off
	s_or_b64 exec, exec, s[36:37]
	s_and_saveexec_b64 s[36:37], s[8:9]
	s_cbranch_execz .LBB207_123
.LBB207_139:                            ;   in Loop: Header=BB207_21 Depth=1
	v_add_co_u32_e32 v68, vcc, v66, v65
	v_addc_co_u32_e32 v69, vcc, 0, v67, vcc
	v_add_co_u32_e32 v68, vcc, s2, v68
	v_addc_co_u32_e32 v69, vcc, 0, v69, vcc
	;; [unrolled: 2-line block ×4, first 2 shown]
	v_cndmask_b32_e64 v69, v71, v69, s[0:1]
	v_cndmask_b32_e64 v68, v70, v68, s[0:1]
	global_load_dwordx2 v[68:69], v[68:69], off
	v_add_co_u32_e32 v70, vcc, v56, v0
	v_addc_co_u32_e32 v71, vcc, 0, v57, vcc
	v_lshlrev_b64 v[70:71], 3, v[70:71]
	v_mov_b32_e32 v73, s69
	v_add_co_u32_e32 v72, vcc, s68, v70
	v_addc_co_u32_e32 v73, vcc, v73, v71, vcc
	global_store_dwordx2 v[72:73], v[48:49], off
	v_mov_b32_e32 v72, s71
	v_add_co_u32_e32 v70, vcc, s70, v70
	v_addc_co_u32_e32 v71, vcc, v72, v71, vcc
	s_waitcnt vmcnt(1)
	global_store_dwordx2 v[70:71], v[68:69], off
	s_or_b64 exec, exec, s[36:37]
	s_and_saveexec_b64 s[36:37], s[94:95]
	s_cbranch_execz .LBB207_124
.LBB207_140:                            ;   in Loop: Header=BB207_21 Depth=1
	v_add_co_u32_e32 v68, vcc, v56, v0
	v_addc_co_u32_e32 v69, vcc, 0, v57, vcc
	v_lshlrev_b64 v[68:69], 3, v[68:69]
	v_mov_b32_e32 v71, s73
	v_add_co_u32_e32 v70, vcc, s72, v68
	v_addc_co_u32_e32 v71, vcc, v71, v69, vcc
	global_store_dwordx2 v[70:71], v[52:53], off
	v_add_co_u32_e32 v70, vcc, v66, v65
	v_addc_co_u32_e32 v71, vcc, 0, v67, vcc
	v_add_co_u32_e32 v72, vcc, v63, v34
	v_addc_co_u32_e32 v73, vcc, v64, v35, vcc
	v_cndmask_b32_e64 v71, v73, v71, s[0:1]
	v_cndmask_b32_e64 v70, v72, v70, s[0:1]
	global_load_dwordx2 v[70:71], v[70:71], off offset:1536
	v_mov_b32_e32 v72, s13
	v_add_co_u32_e32 v68, vcc, s12, v68
	v_addc_co_u32_e32 v69, vcc, v72, v69, vcc
	s_waitcnt vmcnt(0)
	global_store_dwordx2 v[68:69], v[70:71], off
	s_or_b64 exec, exec, s[36:37]
	s_and_saveexec_b64 s[36:37], s[16:17]
	s_cbranch_execnz .LBB207_125
	s_branch .LBB207_126
.LBB207_141:                            ;   in Loop: Header=BB207_21 Depth=1
	v_add_co_u32_e32 v67, vcc, v57, v65
	v_addc_co_u32_e32 v69, vcc, 0, v66, vcc
	v_add_co_u32_e32 v70, vcc, v63, v24
	v_addc_co_u32_e32 v71, vcc, v64, v25, vcc
	;; [unrolled: 2-line block ×3, first 2 shown]
	v_cndmask_b32_e64 v71, v71, v69, s[0:1]
	v_cndmask_b32_e64 v70, v70, v67, s[0:1]
	global_load_dwordx2 v[70:71], v[70:71], off
	v_add_co_u32_e32 v72, vcc, v56, v0
	v_addc_co_u32_e32 v73, vcc, 0, v68, vcc
	v_lshlrev_b64 v[72:73], 3, v[72:73]
	v_mov_b32_e32 v67, s5
	v_add_co_u32_e32 v74, vcc, s4, v72
	v_addc_co_u32_e32 v75, vcc, v67, v73, vcc
	global_store_dwordx2 v[74:75], v[38:39], off
	v_mov_b32_e32 v39, s49
	v_add_co_u32_e32 v38, vcc, s48, v72
	v_addc_co_u32_e32 v39, vcc, v39, v73, vcc
	s_waitcnt vmcnt(1)
	global_store_dwordx2 v[38:39], v[70:71], off
	s_or_b64 exec, exec, s[34:35]
	s_and_saveexec_b64 s[34:35], s[20:21]
	s_cbranch_execz .LBB207_128
.LBB207_142:                            ;   in Loop: Header=BB207_21 Depth=1
	v_add_co_u32_e32 v38, vcc, v57, v65
	v_addc_co_u32_e32 v39, vcc, 0, v66, vcc
	v_add_co_u32_e32 v38, vcc, s6, v38
	v_addc_co_u32_e32 v39, vcc, 0, v39, vcc
	;; [unrolled: 2-line block ×4, first 2 shown]
	v_cndmask_b32_e64 v39, v51, v39, s[0:1]
	v_cndmask_b32_e64 v38, v50, v38, s[0:1]
	global_load_dwordx2 v[38:39], v[38:39], off
	v_add_co_u32_e32 v50, vcc, v56, v0
	v_addc_co_u32_e32 v51, vcc, 0, v68, vcc
	v_lshlrev_b64 v[50:51], 3, v[50:51]
	v_mov_b32_e32 v67, s55
	v_add_co_u32_e32 v70, vcc, s54, v50
	v_addc_co_u32_e32 v71, vcc, v67, v51, vcc
	global_store_dwordx2 v[70:71], v[40:41], off
	v_mov_b32_e32 v41, s57
	v_add_co_u32_e32 v40, vcc, s56, v50
	v_addc_co_u32_e32 v41, vcc, v41, v51, vcc
	s_waitcnt vmcnt(1)
	global_store_dwordx2 v[40:41], v[38:39], off
	s_or_b64 exec, exec, s[34:35]
	s_and_saveexec_b64 s[34:35], s[22:23]
	s_cbranch_execz .LBB207_129
.LBB207_143:                            ;   in Loop: Header=BB207_21 Depth=1
	v_add_co_u32_e32 v38, vcc, v57, v65
	v_addc_co_u32_e32 v39, vcc, 0, v66, vcc
	v_add_co_u32_e32 v38, vcc, s7, v38
	v_addc_co_u32_e32 v39, vcc, 0, v39, vcc
	v_add_co_u32_e32 v40, vcc, v63, v26
	v_addc_co_u32_e32 v41, vcc, v64, v27, vcc
	v_add_co_u32_e32 v40, vcc, 0x700, v40
	v_addc_co_u32_e32 v41, vcc, 0, v41, vcc
	v_cndmask_b32_e64 v39, v41, v39, s[0:1]
	v_cndmask_b32_e64 v38, v40, v38, s[0:1]
	global_load_dwordx2 v[38:39], v[38:39], off
	v_add_co_u32_e32 v40, vcc, v56, v0
	v_addc_co_u32_e32 v41, vcc, 0, v68, vcc
	v_lshlrev_b64 v[40:41], 3, v[40:41]
	v_mov_b32_e32 v51, s59
	v_add_co_u32_e32 v50, vcc, s58, v40
	v_addc_co_u32_e32 v51, vcc, v51, v41, vcc
	global_store_dwordx2 v[50:51], v[42:43], off
	v_mov_b32_e32 v42, s11
	v_add_co_u32_e32 v40, vcc, s10, v40
	v_addc_co_u32_e32 v41, vcc, v42, v41, vcc
	s_waitcnt vmcnt(1)
	global_store_dwordx2 v[40:41], v[38:39], off
	s_or_b64 exec, exec, s[34:35]
	s_and_saveexec_b64 s[34:35], s[24:25]
	s_cbranch_execz .LBB207_130
.LBB207_144:                            ;   in Loop: Header=BB207_21 Depth=1
	v_add_co_u32_e32 v38, vcc, v57, v65
	v_addc_co_u32_e32 v39, vcc, 0, v66, vcc
	v_add_co_u32_e32 v38, vcc, s78, v38
	v_addc_co_u32_e32 v39, vcc, 0, v39, vcc
	;; [unrolled: 2-line block ×4, first 2 shown]
	v_cndmask_b32_e64 v39, v41, v39, s[0:1]
	v_cndmask_b32_e64 v38, v40, v38, s[0:1]
	global_load_dwordx2 v[38:39], v[38:39], off
	v_add_co_u32_e32 v40, vcc, v56, v0
	v_addc_co_u32_e32 v41, vcc, 0, v68, vcc
	v_lshlrev_b64 v[40:41], 3, v[40:41]
	v_mov_b32_e32 v43, s61
	v_add_co_u32_e32 v42, vcc, s60, v40
	v_addc_co_u32_e32 v43, vcc, v43, v41, vcc
	global_store_dwordx2 v[42:43], v[44:45], off
	v_mov_b32_e32 v42, s63
	v_add_co_u32_e32 v40, vcc, s62, v40
	v_addc_co_u32_e32 v41, vcc, v42, v41, vcc
	s_waitcnt vmcnt(1)
	global_store_dwordx2 v[40:41], v[38:39], off
	s_or_b64 exec, exec, s[34:35]
	s_and_saveexec_b64 s[34:35], s[26:27]
	s_cbranch_execz .LBB207_131
.LBB207_145:                            ;   in Loop: Header=BB207_21 Depth=1
	v_add_co_u32_e32 v38, vcc, v57, v65
	v_addc_co_u32_e32 v39, vcc, 0, v66, vcc
	v_add_co_u32_e32 v38, vcc, s79, v38
	v_addc_co_u32_e32 v39, vcc, 0, v39, vcc
	;; [unrolled: 2-line block ×4, first 2 shown]
	v_cndmask_b32_e64 v39, v41, v39, s[0:1]
	v_cndmask_b32_e64 v38, v40, v38, s[0:1]
	global_load_dwordx2 v[38:39], v[38:39], off
	v_add_co_u32_e32 v40, vcc, v56, v0
	v_addc_co_u32_e32 v41, vcc, 0, v68, vcc
	v_lshlrev_b64 v[40:41], 3, v[40:41]
	v_mov_b32_e32 v43, s65
	v_add_co_u32_e32 v42, vcc, s64, v40
	v_addc_co_u32_e32 v43, vcc, v43, v41, vcc
	global_store_dwordx2 v[42:43], v[46:47], off
	v_mov_b32_e32 v42, s67
	v_add_co_u32_e32 v40, vcc, s66, v40
	v_addc_co_u32_e32 v41, vcc, v42, v41, vcc
	s_waitcnt vmcnt(1)
	global_store_dwordx2 v[40:41], v[38:39], off
	s_or_b64 exec, exec, s[34:35]
	s_and_saveexec_b64 s[34:35], s[28:29]
	s_cbranch_execz .LBB207_132
.LBB207_146:                            ;   in Loop: Header=BB207_21 Depth=1
	v_add_co_u32_e32 v38, vcc, v57, v65
	v_addc_co_u32_e32 v39, vcc, 0, v66, vcc
	v_add_co_u32_e32 v38, vcc, s2, v38
	v_addc_co_u32_e32 v39, vcc, 0, v39, vcc
	;; [unrolled: 2-line block ×4, first 2 shown]
	v_cndmask_b32_e64 v39, v41, v39, s[0:1]
	v_cndmask_b32_e64 v38, v40, v38, s[0:1]
	global_load_dwordx2 v[38:39], v[38:39], off
	v_add_co_u32_e32 v40, vcc, v56, v0
	v_addc_co_u32_e32 v41, vcc, 0, v68, vcc
	v_lshlrev_b64 v[40:41], 3, v[40:41]
	v_mov_b32_e32 v43, s69
	v_add_co_u32_e32 v42, vcc, s68, v40
	v_addc_co_u32_e32 v43, vcc, v43, v41, vcc
	global_store_dwordx2 v[42:43], v[48:49], off
	v_mov_b32_e32 v42, s71
	v_add_co_u32_e32 v40, vcc, s70, v40
	v_addc_co_u32_e32 v41, vcc, v42, v41, vcc
	s_waitcnt vmcnt(1)
	global_store_dwordx2 v[40:41], v[38:39], off
	s_or_b64 exec, exec, s[34:35]
	s_and_saveexec_b64 s[34:35], s[30:31]
	s_cbranch_execz .LBB207_133
.LBB207_147:                            ;   in Loop: Header=BB207_21 Depth=1
	v_add_co_u32_e32 v38, vcc, v57, v65
	v_addc_co_u32_e32 v39, vcc, 0, v66, vcc
	v_add_co_u32_e32 v38, vcc, s3, v38
	v_addc_co_u32_e32 v39, vcc, 0, v39, vcc
	;; [unrolled: 2-line block ×4, first 2 shown]
	v_cndmask_b32_e64 v39, v41, v39, s[0:1]
	v_cndmask_b32_e64 v38, v40, v38, s[0:1]
	global_load_dwordx2 v[38:39], v[38:39], off
	v_add_co_u32_e32 v40, vcc, v56, v0
	v_addc_co_u32_e32 v41, vcc, 0, v68, vcc
	v_lshlrev_b64 v[40:41], 3, v[40:41]
	v_mov_b32_e32 v43, s73
	v_add_co_u32_e32 v42, vcc, s72, v40
	v_addc_co_u32_e32 v43, vcc, v43, v41, vcc
	global_store_dwordx2 v[42:43], v[52:53], off
	v_mov_b32_e32 v42, s13
	v_add_co_u32_e32 v40, vcc, s12, v40
	v_addc_co_u32_e32 v41, vcc, v42, v41, vcc
	s_waitcnt vmcnt(1)
	global_store_dwordx2 v[40:41], v[38:39], off
	s_or_b64 exec, exec, s[34:35]
	s_and_saveexec_b64 s[34:35], s[18:19]
	s_cbranch_execz .LBB207_20
.LBB207_148:                            ;   in Loop: Header=BB207_21 Depth=1
	v_add_co_u32_e32 v38, vcc, v56, v0
	v_addc_co_u32_e32 v39, vcc, 0, v68, vcc
	v_lshlrev_b64 v[38:39], 3, v[38:39]
	v_mov_b32_e32 v41, s75
	v_add_co_u32_e32 v40, vcc, s74, v38
	v_addc_co_u32_e32 v41, vcc, v41, v39, vcc
	global_store_dwordx2 v[40:41], v[54:55], off
	v_add_co_u32_e32 v40, vcc, v57, v65
	v_addc_co_u32_e32 v41, vcc, 0, v66, vcc
	v_add_co_u32_e32 v42, vcc, v63, v36
	v_addc_co_u32_e32 v43, vcc, v64, v37, vcc
	v_cndmask_b32_e64 v41, v43, v41, s[0:1]
	v_cndmask_b32_e64 v40, v42, v40, s[0:1]
	global_load_dwordx2 v[40:41], v[40:41], off offset:1792
	v_mov_b32_e32 v42, s77
	v_add_co_u32_e32 v38, vcc, s76, v38
	v_addc_co_u32_e32 v39, vcc, v42, v39, vcc
	s_waitcnt vmcnt(0)
	global_store_dwordx2 v[38:39], v[40:41], off
	s_branch .LBB207_20
.LBB207_149:
	s_endpgm
	.section	.rodata,"a",@progbits
	.p2align	6, 0x0
	.amdhsa_kernel _ZN9rocsparseL35bsr2csr_block_per_row_33_256_kernelILj1024ELj256ELj32E21rocsparse_complex_numIfEllEEv20rocsparse_direction_T4_S4_21rocsparse_index_base_PKT2_PKT3_PKS4_S4_S5_PS6_PS9_PS4_
		.amdhsa_group_segment_fixed_size 0
		.amdhsa_private_segment_fixed_size 0
		.amdhsa_kernarg_size 96
		.amdhsa_user_sgpr_count 6
		.amdhsa_user_sgpr_private_segment_buffer 1
		.amdhsa_user_sgpr_dispatch_ptr 0
		.amdhsa_user_sgpr_queue_ptr 0
		.amdhsa_user_sgpr_kernarg_segment_ptr 1
		.amdhsa_user_sgpr_dispatch_id 0
		.amdhsa_user_sgpr_flat_scratch_init 0
		.amdhsa_user_sgpr_kernarg_preload_length 0
		.amdhsa_user_sgpr_kernarg_preload_offset 0
		.amdhsa_user_sgpr_private_segment_size 0
		.amdhsa_uses_dynamic_stack 0
		.amdhsa_system_sgpr_private_segment_wavefront_offset 0
		.amdhsa_system_sgpr_workgroup_id_x 1
		.amdhsa_system_sgpr_workgroup_id_y 0
		.amdhsa_system_sgpr_workgroup_id_z 0
		.amdhsa_system_sgpr_workgroup_info 0
		.amdhsa_system_vgpr_workitem_id 0
		.amdhsa_next_free_vgpr 78
		.amdhsa_next_free_sgpr 96
		.amdhsa_accum_offset 80
		.amdhsa_reserve_vcc 1
		.amdhsa_reserve_flat_scratch 0
		.amdhsa_float_round_mode_32 0
		.amdhsa_float_round_mode_16_64 0
		.amdhsa_float_denorm_mode_32 3
		.amdhsa_float_denorm_mode_16_64 3
		.amdhsa_dx10_clamp 1
		.amdhsa_ieee_mode 1
		.amdhsa_fp16_overflow 0
		.amdhsa_tg_split 0
		.amdhsa_exception_fp_ieee_invalid_op 0
		.amdhsa_exception_fp_denorm_src 0
		.amdhsa_exception_fp_ieee_div_zero 0
		.amdhsa_exception_fp_ieee_overflow 0
		.amdhsa_exception_fp_ieee_underflow 0
		.amdhsa_exception_fp_ieee_inexact 0
		.amdhsa_exception_int_div_zero 0
	.end_amdhsa_kernel
	.section	.text._ZN9rocsparseL35bsr2csr_block_per_row_33_256_kernelILj1024ELj256ELj32E21rocsparse_complex_numIfEllEEv20rocsparse_direction_T4_S4_21rocsparse_index_base_PKT2_PKT3_PKS4_S4_S5_PS6_PS9_PS4_,"axG",@progbits,_ZN9rocsparseL35bsr2csr_block_per_row_33_256_kernelILj1024ELj256ELj32E21rocsparse_complex_numIfEllEEv20rocsparse_direction_T4_S4_21rocsparse_index_base_PKT2_PKT3_PKS4_S4_S5_PS6_PS9_PS4_,comdat
.Lfunc_end207:
	.size	_ZN9rocsparseL35bsr2csr_block_per_row_33_256_kernelILj1024ELj256ELj32E21rocsparse_complex_numIfEllEEv20rocsparse_direction_T4_S4_21rocsparse_index_base_PKT2_PKT3_PKS4_S4_S5_PS6_PS9_PS4_, .Lfunc_end207-_ZN9rocsparseL35bsr2csr_block_per_row_33_256_kernelILj1024ELj256ELj32E21rocsparse_complex_numIfEllEEv20rocsparse_direction_T4_S4_21rocsparse_index_base_PKT2_PKT3_PKS4_S4_S5_PS6_PS9_PS4_
                                        ; -- End function
	.section	.AMDGPU.csdata,"",@progbits
; Kernel info:
; codeLenInByte = 12692
; NumSgprs: 100
; NumVgprs: 78
; NumAgprs: 0
; TotalNumVgprs: 78
; ScratchSize: 0
; MemoryBound: 0
; FloatMode: 240
; IeeeMode: 1
; LDSByteSize: 0 bytes/workgroup (compile time only)
; SGPRBlocks: 12
; VGPRBlocks: 9
; NumSGPRsForWavesPerEU: 100
; NumVGPRsForWavesPerEU: 78
; AccumOffset: 80
; Occupancy: 6
; WaveLimiterHint : 1
; COMPUTE_PGM_RSRC2:SCRATCH_EN: 0
; COMPUTE_PGM_RSRC2:USER_SGPR: 6
; COMPUTE_PGM_RSRC2:TRAP_HANDLER: 0
; COMPUTE_PGM_RSRC2:TGID_X_EN: 1
; COMPUTE_PGM_RSRC2:TGID_Y_EN: 0
; COMPUTE_PGM_RSRC2:TGID_Z_EN: 0
; COMPUTE_PGM_RSRC2:TIDIG_COMP_CNT: 0
; COMPUTE_PGM_RSRC3_GFX90A:ACCUM_OFFSET: 19
; COMPUTE_PGM_RSRC3_GFX90A:TG_SPLIT: 0
	.section	.text._ZN9rocsparseL35bsr2csr_block_dim_equals_one_kernelILj1024EdiiEEvT2_S1_21rocsparse_index_base_PKT0_PKT1_PKS1_S2_PS3_PS6_PS1_,"axG",@progbits,_ZN9rocsparseL35bsr2csr_block_dim_equals_one_kernelILj1024EdiiEEvT2_S1_21rocsparse_index_base_PKT0_PKT1_PKS1_S2_PS3_PS6_PS1_,comdat
	.globl	_ZN9rocsparseL35bsr2csr_block_dim_equals_one_kernelILj1024EdiiEEvT2_S1_21rocsparse_index_base_PKT0_PKT1_PKS1_S2_PS3_PS6_PS1_ ; -- Begin function _ZN9rocsparseL35bsr2csr_block_dim_equals_one_kernelILj1024EdiiEEvT2_S1_21rocsparse_index_base_PKT0_PKT1_PKS1_S2_PS3_PS6_PS1_
	.p2align	8
	.type	_ZN9rocsparseL35bsr2csr_block_dim_equals_one_kernelILj1024EdiiEEvT2_S1_21rocsparse_index_base_PKT0_PKT1_PKS1_S2_PS3_PS6_PS1_,@function
_ZN9rocsparseL35bsr2csr_block_dim_equals_one_kernelILj1024EdiiEEvT2_S1_21rocsparse_index_base_PKT0_PKT1_PKS1_S2_PS3_PS6_PS1_: ; @_ZN9rocsparseL35bsr2csr_block_dim_equals_one_kernelILj1024EdiiEEvT2_S1_21rocsparse_index_base_PKT0_PKT1_PKS1_S2_PS3_PS6_PS1_
; %bb.0:
	v_lshl_or_b32 v0, s6, 10, v0
	s_load_dword s14, s[4:5], 0x0
	s_load_dword s20, s[4:5], 0x8
	s_load_dwordx4 s[0:3], s[4:5], 0x10
	s_load_dwordx2 s[8:9], s[4:5], 0x20
	s_load_dword s21, s[4:5], 0x28
	s_load_dwordx2 s[10:11], s[4:5], 0x40
	s_load_dwordx2 s[12:13], s[4:5], 0x30
	s_waitcnt lgkmcnt(0)
	v_cmp_gt_i32_e32 vcc, s14, v0
	s_and_saveexec_b64 s[6:7], vcc
	s_cbranch_execz .LBB208_6
; %bb.1:
	s_load_dwordx2 s[16:17], s[4:5], 0x38
	v_cmp_ne_u32_e32 vcc, 0, v0
                                        ; implicit-def: $sgpr15
	s_and_saveexec_b64 s[18:19], vcc
	s_xor_b64 s[18:19], exec, s[18:19]
; %bb.2:
	s_sub_i32 s15, s21, s20
; %bb.3:
	s_or_saveexec_b64 s[18:19], s[18:19]
	v_mov_b32_e32 v2, s15
	s_xor_b64 exec, exec, s[18:19]
	s_cbranch_execz .LBB208_5
; %bb.4:
	s_load_dword s15, s[2:3], 0x0
	s_sub_i32 s22, s21, s20
	v_mov_b32_e32 v1, 0
	s_waitcnt lgkmcnt(0)
	s_add_i32 s15, s22, s15
	v_mov_b32_e32 v2, s15
	global_store_dword v1, v2, s[16:17]
	v_mov_b32_e32 v2, s22
.LBB208_5:
	s_or_b64 exec, exec, s[18:19]
	v_ashrrev_i32_e32 v1, 31, v0
	v_lshlrev_b64 v[4:5], 2, v[0:1]
	v_mov_b32_e32 v1, s3
	v_add_co_u32_e32 v6, vcc, s2, v4
	v_addc_co_u32_e32 v7, vcc, v1, v5, vcc
	global_load_dword v1, v[6:7], off offset:4
	s_waitcnt lgkmcnt(0)
	v_mov_b32_e32 v3, s17
	s_waitcnt vmcnt(0)
	v_add_u32_e32 v1, v2, v1
	v_add_co_u32_e32 v2, vcc, s16, v4
	v_addc_co_u32_e32 v3, vcc, v3, v5, vcc
	global_store_dword v[2:3], v1, off offset:4
.LBB208_6:
	s_or_b64 exec, exec, s[6:7]
	s_ashr_i32 s15, s14, 31
	s_lshl_b64 s[6:7], s[14:15], 2
	s_add_u32 s6, s2, s6
	s_addc_u32 s7, s3, s7
	s_load_dword s14, s[6:7], 0x0
	s_load_dword s15, s[2:3], 0x0
	s_waitcnt lgkmcnt(0)
	s_sub_i32 s6, s14, s15
	v_cmp_gt_i32_e32 vcc, s6, v0
	s_and_saveexec_b64 s[2:3], vcc
	s_cbranch_execz .LBB208_9
; %bb.7:
	s_load_dword s5, s[4:5], 0x48
	s_sub_i32 s4, s21, s20
	s_mov_b64 s[2:3], 0
	v_mov_b32_e32 v2, s9
	v_mov_b32_e32 v3, s11
	s_waitcnt lgkmcnt(0)
	s_lshl_b32 s5, s5, 10
	v_mov_b32_e32 v4, s1
	v_mov_b32_e32 v5, s13
.LBB208_8:                              ; =>This Inner Loop Header: Depth=1
	v_ashrrev_i32_e32 v1, 31, v0
	v_lshlrev_b64 v[6:7], 2, v[0:1]
	v_add_co_u32_e32 v8, vcc, s8, v6
	v_addc_co_u32_e32 v9, vcc, v2, v7, vcc
	global_load_dword v12, v[8:9], off
	v_lshlrev_b64 v[8:9], 3, v[0:1]
	v_add_co_u32_e32 v10, vcc, s0, v8
	v_addc_co_u32_e32 v11, vcc, v4, v9, vcc
	global_load_dwordx2 v[10:11], v[10:11], off
	v_add_co_u32_e32 v6, vcc, s10, v6
	v_addc_co_u32_e32 v7, vcc, v3, v7, vcc
	v_add_co_u32_e32 v8, vcc, s12, v8
	v_add_u32_e32 v0, s5, v0
	v_addc_co_u32_e32 v9, vcc, v5, v9, vcc
	v_cmp_le_i32_e32 vcc, s6, v0
	s_or_b64 s[2:3], vcc, s[2:3]
	s_waitcnt vmcnt(1)
	v_add_u32_e32 v1, s4, v12
	global_store_dword v[6:7], v1, off
	s_waitcnt vmcnt(1)
	global_store_dwordx2 v[8:9], v[10:11], off
	s_andn2_b64 exec, exec, s[2:3]
	s_cbranch_execnz .LBB208_8
.LBB208_9:
	s_endpgm
	.section	.rodata,"a",@progbits
	.p2align	6, 0x0
	.amdhsa_kernel _ZN9rocsparseL35bsr2csr_block_dim_equals_one_kernelILj1024EdiiEEvT2_S1_21rocsparse_index_base_PKT0_PKT1_PKS1_S2_PS3_PS6_PS1_
		.amdhsa_group_segment_fixed_size 0
		.amdhsa_private_segment_fixed_size 0
		.amdhsa_kernarg_size 328
		.amdhsa_user_sgpr_count 6
		.amdhsa_user_sgpr_private_segment_buffer 1
		.amdhsa_user_sgpr_dispatch_ptr 0
		.amdhsa_user_sgpr_queue_ptr 0
		.amdhsa_user_sgpr_kernarg_segment_ptr 1
		.amdhsa_user_sgpr_dispatch_id 0
		.amdhsa_user_sgpr_flat_scratch_init 0
		.amdhsa_user_sgpr_kernarg_preload_length 0
		.amdhsa_user_sgpr_kernarg_preload_offset 0
		.amdhsa_user_sgpr_private_segment_size 0
		.amdhsa_uses_dynamic_stack 0
		.amdhsa_system_sgpr_private_segment_wavefront_offset 0
		.amdhsa_system_sgpr_workgroup_id_x 1
		.amdhsa_system_sgpr_workgroup_id_y 0
		.amdhsa_system_sgpr_workgroup_id_z 0
		.amdhsa_system_sgpr_workgroup_info 0
		.amdhsa_system_vgpr_workitem_id 0
		.amdhsa_next_free_vgpr 13
		.amdhsa_next_free_sgpr 23
		.amdhsa_accum_offset 16
		.amdhsa_reserve_vcc 1
		.amdhsa_reserve_flat_scratch 0
		.amdhsa_float_round_mode_32 0
		.amdhsa_float_round_mode_16_64 0
		.amdhsa_float_denorm_mode_32 3
		.amdhsa_float_denorm_mode_16_64 3
		.amdhsa_dx10_clamp 1
		.amdhsa_ieee_mode 1
		.amdhsa_fp16_overflow 0
		.amdhsa_tg_split 0
		.amdhsa_exception_fp_ieee_invalid_op 0
		.amdhsa_exception_fp_denorm_src 0
		.amdhsa_exception_fp_ieee_div_zero 0
		.amdhsa_exception_fp_ieee_overflow 0
		.amdhsa_exception_fp_ieee_underflow 0
		.amdhsa_exception_fp_ieee_inexact 0
		.amdhsa_exception_int_div_zero 0
	.end_amdhsa_kernel
	.section	.text._ZN9rocsparseL35bsr2csr_block_dim_equals_one_kernelILj1024EdiiEEvT2_S1_21rocsparse_index_base_PKT0_PKT1_PKS1_S2_PS3_PS6_PS1_,"axG",@progbits,_ZN9rocsparseL35bsr2csr_block_dim_equals_one_kernelILj1024EdiiEEvT2_S1_21rocsparse_index_base_PKT0_PKT1_PKS1_S2_PS3_PS6_PS1_,comdat
.Lfunc_end208:
	.size	_ZN9rocsparseL35bsr2csr_block_dim_equals_one_kernelILj1024EdiiEEvT2_S1_21rocsparse_index_base_PKT0_PKT1_PKS1_S2_PS3_PS6_PS1_, .Lfunc_end208-_ZN9rocsparseL35bsr2csr_block_dim_equals_one_kernelILj1024EdiiEEvT2_S1_21rocsparse_index_base_PKT0_PKT1_PKS1_S2_PS3_PS6_PS1_
                                        ; -- End function
	.section	.AMDGPU.csdata,"",@progbits
; Kernel info:
; codeLenInByte = 444
; NumSgprs: 27
; NumVgprs: 13
; NumAgprs: 0
; TotalNumVgprs: 13
; ScratchSize: 0
; MemoryBound: 0
; FloatMode: 240
; IeeeMode: 1
; LDSByteSize: 0 bytes/workgroup (compile time only)
; SGPRBlocks: 3
; VGPRBlocks: 1
; NumSGPRsForWavesPerEU: 27
; NumVGPRsForWavesPerEU: 13
; AccumOffset: 16
; Occupancy: 8
; WaveLimiterHint : 0
; COMPUTE_PGM_RSRC2:SCRATCH_EN: 0
; COMPUTE_PGM_RSRC2:USER_SGPR: 6
; COMPUTE_PGM_RSRC2:TRAP_HANDLER: 0
; COMPUTE_PGM_RSRC2:TGID_X_EN: 1
; COMPUTE_PGM_RSRC2:TGID_Y_EN: 0
; COMPUTE_PGM_RSRC2:TGID_Z_EN: 0
; COMPUTE_PGM_RSRC2:TIDIG_COMP_CNT: 0
; COMPUTE_PGM_RSRC3_GFX90A:ACCUM_OFFSET: 3
; COMPUTE_PGM_RSRC3_GFX90A:TG_SPLIT: 0
	.section	.text._ZN9rocsparseL32bsr2csr_block_per_row_2_7_kernelILj256ELj2EdiiEEv20rocsparse_direction_T3_S2_21rocsparse_index_base_PKT1_PKT2_PKS2_S2_S3_PS4_PS7_PS2_,"axG",@progbits,_ZN9rocsparseL32bsr2csr_block_per_row_2_7_kernelILj256ELj2EdiiEEv20rocsparse_direction_T3_S2_21rocsparse_index_base_PKT1_PKT2_PKS2_S2_S3_PS4_PS7_PS2_,comdat
	.globl	_ZN9rocsparseL32bsr2csr_block_per_row_2_7_kernelILj256ELj2EdiiEEv20rocsparse_direction_T3_S2_21rocsparse_index_base_PKT1_PKT2_PKS2_S2_S3_PS4_PS7_PS2_ ; -- Begin function _ZN9rocsparseL32bsr2csr_block_per_row_2_7_kernelILj256ELj2EdiiEEv20rocsparse_direction_T3_S2_21rocsparse_index_base_PKT1_PKT2_PKS2_S2_S3_PS4_PS7_PS2_
	.p2align	8
	.type	_ZN9rocsparseL32bsr2csr_block_per_row_2_7_kernelILj256ELj2EdiiEEv20rocsparse_direction_T3_S2_21rocsparse_index_base_PKT1_PKT2_PKS2_S2_S3_PS4_PS7_PS2_,@function
_ZN9rocsparseL32bsr2csr_block_per_row_2_7_kernelILj256ELj2EdiiEEv20rocsparse_direction_T3_S2_21rocsparse_index_base_PKT1_PKT2_PKS2_S2_S3_PS4_PS7_PS2_: ; @_ZN9rocsparseL32bsr2csr_block_per_row_2_7_kernelILj256ELj2EdiiEEv20rocsparse_direction_T3_S2_21rocsparse_index_base_PKT1_PKT2_PKS2_S2_S3_PS4_PS7_PS2_
; %bb.0:
	s_load_dwordx2 s[0:1], s[4:5], 0x18
	s_load_dword s12, s[4:5], 0x2c
	s_load_dwordx2 s[2:3], s[4:5], 0x38
	s_ashr_i32 s7, s6, 31
	s_lshl_b64 s[8:9], s[6:7], 2
	s_waitcnt lgkmcnt(0)
	s_add_u32 s0, s0, s8
	s_addc_u32 s1, s1, s9
	s_load_dwordx2 s[0:1], s[0:1], 0x0
	v_or_b32_e32 v1, s6, v0
	v_cmp_eq_u32_e32 vcc, 0, v1
	s_and_saveexec_b64 s[8:9], vcc
	s_cbranch_execz .LBB209_2
; %bb.1:
	v_mov_b32_e32 v1, 0
	v_mov_b32_e32 v2, s12
	global_store_dword v1, v2, s[2:3]
.LBB209_2:
	s_or_b64 exec, exec, s[8:9]
	s_load_dword s13, s[4:5], 0xc
	v_and_b32_e32 v3, 1, v0
	v_lshrrev_b32_e32 v4, 1, v0
	v_lshl_or_b32 v0, s6, 1, v3
	v_add_u32_e32 v0, 1, v0
	s_waitcnt lgkmcnt(0)
	s_sub_i32 s7, s0, s13
	s_sub_i32 s14, s1, s13
	;; [unrolled: 1-line block ×3, first 2 shown]
	s_lshl_b32 s8, s8, 1
	v_mov_b32_e32 v1, 0
	s_lshl_b32 s1, s7, 2
	v_mul_lo_u32 v5, s8, v3
	s_add_i32 s8, s8, s12
	v_lshlrev_b64 v[6:7], 2, v[0:1]
	s_add_i32 s8, s8, s1
	v_mov_b32_e32 v0, s3
	v_add_co_u32_e32 v6, vcc, s2, v6
	v_add_u32_e32 v2, s8, v5
	v_addc_co_u32_e32 v7, vcc, v0, v7, vcc
	global_store_dword v[6:7], v2, off
	v_add_u32_e32 v2, s7, v4
	v_cmp_gt_i32_e32 vcc, s14, v2
	s_and_saveexec_b64 s[2:3], vcc
	s_cbranch_execz .LBB209_5
; %bb.3:
	s_load_dwordx2 s[2:3], s[4:5], 0x20
	s_load_dwordx2 s[6:7], s[4:5], 0x30
	s_load_dword s1, s[4:5], 0x0
	s_load_dwordx2 s[8:9], s[4:5], 0x10
	s_load_dwordx2 s[10:11], s[4:5], 0x40
	v_lshlrev_b32_e32 v0, 1, v4
	s_mov_b64 s[4:5], 0
	s_waitcnt lgkmcnt(0)
	s_cmp_eq_u32 s1, 0
	s_cselect_b64 vcc, -1, 0
	s_lshl_b32 s0, s0, 2
	v_add3_u32 v0, v5, s0, v0
	s_lshl_b32 s0, s13, 2
	v_subrev_u32_e32 v4, s0, v0
	v_lshlrev_b32_e32 v0, 2, v2
	v_lshl_or_b32 v6, v3, 1, v0
	v_or_b32_e32 v7, v0, v3
	v_mov_b32_e32 v8, s3
	v_mov_b32_e32 v9, s11
	;; [unrolled: 1-line block ×4, first 2 shown]
.LBB209_4:                              ; =>This Inner Loop Header: Depth=1
	v_ashrrev_i32_e32 v3, 31, v2
	v_lshlrev_b64 v[12:13], 2, v[2:3]
	v_cndmask_b32_e32 v0, v7, v6, vcc
	v_add_co_u32_e64 v12, s[0:1], s2, v12
	v_add_u32_e32 v5, 1, v6
	v_add_u32_e32 v16, 2, v7
	v_lshlrev_b64 v[14:15], 3, v[0:1]
	v_addc_co_u32_e64 v13, s[0:1], v8, v13, s[0:1]
	v_cndmask_b32_e32 v0, v16, v5, vcc
	v_add_co_u32_e64 v16, s[0:1], s8, v14
	v_addc_co_u32_e64 v17, s[0:1], v10, v15, s[0:1]
	v_lshlrev_b64 v[14:15], 3, v[0:1]
	global_load_dword v0, v[12:13], off
	v_add_co_u32_e64 v18, s[0:1], s8, v14
	v_addc_co_u32_e64 v19, s[0:1], v10, v15, s[0:1]
	global_load_dwordx2 v[12:13], v[16:17], off
	global_load_dwordx2 v[14:15], v[18:19], off
	v_ashrrev_i32_e32 v5, 31, v4
	v_lshlrev_b64 v[16:17], 2, v[4:5]
	v_add_co_u32_e64 v16, s[0:1], s10, v16
	v_lshlrev_b64 v[18:19], 3, v[4:5]
	v_addc_co_u32_e64 v17, s[0:1], v9, v17, s[0:1]
	v_add_co_u32_e64 v18, s[0:1], s6, v18
	v_add_u32_e32 v2, 0x80, v2
	v_addc_co_u32_e64 v19, s[0:1], v11, v19, s[0:1]
	v_cmp_le_i32_e64 s[0:1], s14, v2
	v_add_u32_e32 v6, 0x200, v6
	v_add_u32_e32 v7, 0x200, v7
	;; [unrolled: 1-line block ×3, first 2 shown]
	s_or_b64 s[4:5], s[0:1], s[4:5]
	s_waitcnt vmcnt(2)
	v_subrev_u32_e32 v0, s13, v0
	v_lshl_add_u32 v20, v0, 1, s12
	v_add_u32_e32 v21, 1, v20
	global_store_dwordx2 v[16:17], v[20:21], off
	s_waitcnt vmcnt(1)
	global_store_dwordx4 v[18:19], v[12:15], off
	s_andn2_b64 exec, exec, s[4:5]
	s_cbranch_execnz .LBB209_4
.LBB209_5:
	s_endpgm
	.section	.rodata,"a",@progbits
	.p2align	6, 0x0
	.amdhsa_kernel _ZN9rocsparseL32bsr2csr_block_per_row_2_7_kernelILj256ELj2EdiiEEv20rocsparse_direction_T3_S2_21rocsparse_index_base_PKT1_PKT2_PKS2_S2_S3_PS4_PS7_PS2_
		.amdhsa_group_segment_fixed_size 0
		.amdhsa_private_segment_fixed_size 0
		.amdhsa_kernarg_size 72
		.amdhsa_user_sgpr_count 6
		.amdhsa_user_sgpr_private_segment_buffer 1
		.amdhsa_user_sgpr_dispatch_ptr 0
		.amdhsa_user_sgpr_queue_ptr 0
		.amdhsa_user_sgpr_kernarg_segment_ptr 1
		.amdhsa_user_sgpr_dispatch_id 0
		.amdhsa_user_sgpr_flat_scratch_init 0
		.amdhsa_user_sgpr_kernarg_preload_length 0
		.amdhsa_user_sgpr_kernarg_preload_offset 0
		.amdhsa_user_sgpr_private_segment_size 0
		.amdhsa_uses_dynamic_stack 0
		.amdhsa_system_sgpr_private_segment_wavefront_offset 0
		.amdhsa_system_sgpr_workgroup_id_x 1
		.amdhsa_system_sgpr_workgroup_id_y 0
		.amdhsa_system_sgpr_workgroup_id_z 0
		.amdhsa_system_sgpr_workgroup_info 0
		.amdhsa_system_vgpr_workitem_id 0
		.amdhsa_next_free_vgpr 22
		.amdhsa_next_free_sgpr 15
		.amdhsa_accum_offset 24
		.amdhsa_reserve_vcc 1
		.amdhsa_reserve_flat_scratch 0
		.amdhsa_float_round_mode_32 0
		.amdhsa_float_round_mode_16_64 0
		.amdhsa_float_denorm_mode_32 3
		.amdhsa_float_denorm_mode_16_64 3
		.amdhsa_dx10_clamp 1
		.amdhsa_ieee_mode 1
		.amdhsa_fp16_overflow 0
		.amdhsa_tg_split 0
		.amdhsa_exception_fp_ieee_invalid_op 0
		.amdhsa_exception_fp_denorm_src 0
		.amdhsa_exception_fp_ieee_div_zero 0
		.amdhsa_exception_fp_ieee_overflow 0
		.amdhsa_exception_fp_ieee_underflow 0
		.amdhsa_exception_fp_ieee_inexact 0
		.amdhsa_exception_int_div_zero 0
	.end_amdhsa_kernel
	.section	.text._ZN9rocsparseL32bsr2csr_block_per_row_2_7_kernelILj256ELj2EdiiEEv20rocsparse_direction_T3_S2_21rocsparse_index_base_PKT1_PKT2_PKS2_S2_S3_PS4_PS7_PS2_,"axG",@progbits,_ZN9rocsparseL32bsr2csr_block_per_row_2_7_kernelILj256ELj2EdiiEEv20rocsparse_direction_T3_S2_21rocsparse_index_base_PKT1_PKT2_PKS2_S2_S3_PS4_PS7_PS2_,comdat
.Lfunc_end209:
	.size	_ZN9rocsparseL32bsr2csr_block_per_row_2_7_kernelILj256ELj2EdiiEEv20rocsparse_direction_T3_S2_21rocsparse_index_base_PKT1_PKT2_PKS2_S2_S3_PS4_PS7_PS2_, .Lfunc_end209-_ZN9rocsparseL32bsr2csr_block_per_row_2_7_kernelILj256ELj2EdiiEEv20rocsparse_direction_T3_S2_21rocsparse_index_base_PKT1_PKT2_PKS2_S2_S3_PS4_PS7_PS2_
                                        ; -- End function
	.section	.AMDGPU.csdata,"",@progbits
; Kernel info:
; codeLenInByte = 584
; NumSgprs: 19
; NumVgprs: 22
; NumAgprs: 0
; TotalNumVgprs: 22
; ScratchSize: 0
; MemoryBound: 0
; FloatMode: 240
; IeeeMode: 1
; LDSByteSize: 0 bytes/workgroup (compile time only)
; SGPRBlocks: 2
; VGPRBlocks: 2
; NumSGPRsForWavesPerEU: 19
; NumVGPRsForWavesPerEU: 22
; AccumOffset: 24
; Occupancy: 8
; WaveLimiterHint : 0
; COMPUTE_PGM_RSRC2:SCRATCH_EN: 0
; COMPUTE_PGM_RSRC2:USER_SGPR: 6
; COMPUTE_PGM_RSRC2:TRAP_HANDLER: 0
; COMPUTE_PGM_RSRC2:TGID_X_EN: 1
; COMPUTE_PGM_RSRC2:TGID_Y_EN: 0
; COMPUTE_PGM_RSRC2:TGID_Z_EN: 0
; COMPUTE_PGM_RSRC2:TIDIG_COMP_CNT: 0
; COMPUTE_PGM_RSRC3_GFX90A:ACCUM_OFFSET: 5
; COMPUTE_PGM_RSRC3_GFX90A:TG_SPLIT: 0
	.section	.text._ZN9rocsparseL32bsr2csr_block_per_row_2_7_kernelILj256ELj3EdiiEEv20rocsparse_direction_T3_S2_21rocsparse_index_base_PKT1_PKT2_PKS2_S2_S3_PS4_PS7_PS2_,"axG",@progbits,_ZN9rocsparseL32bsr2csr_block_per_row_2_7_kernelILj256ELj3EdiiEEv20rocsparse_direction_T3_S2_21rocsparse_index_base_PKT1_PKT2_PKS2_S2_S3_PS4_PS7_PS2_,comdat
	.globl	_ZN9rocsparseL32bsr2csr_block_per_row_2_7_kernelILj256ELj3EdiiEEv20rocsparse_direction_T3_S2_21rocsparse_index_base_PKT1_PKT2_PKS2_S2_S3_PS4_PS7_PS2_ ; -- Begin function _ZN9rocsparseL32bsr2csr_block_per_row_2_7_kernelILj256ELj3EdiiEEv20rocsparse_direction_T3_S2_21rocsparse_index_base_PKT1_PKT2_PKS2_S2_S3_PS4_PS7_PS2_
	.p2align	8
	.type	_ZN9rocsparseL32bsr2csr_block_per_row_2_7_kernelILj256ELj3EdiiEEv20rocsparse_direction_T3_S2_21rocsparse_index_base_PKT1_PKT2_PKS2_S2_S3_PS4_PS7_PS2_,@function
_ZN9rocsparseL32bsr2csr_block_per_row_2_7_kernelILj256ELj3EdiiEEv20rocsparse_direction_T3_S2_21rocsparse_index_base_PKT1_PKT2_PKS2_S2_S3_PS4_PS7_PS2_: ; @_ZN9rocsparseL32bsr2csr_block_per_row_2_7_kernelILj256ELj3EdiiEEv20rocsparse_direction_T3_S2_21rocsparse_index_base_PKT1_PKT2_PKS2_S2_S3_PS4_PS7_PS2_
; %bb.0:
	s_load_dwordx2 s[0:1], s[4:5], 0x18
	s_load_dword s15, s[4:5], 0x2c
	s_load_dwordx2 s[2:3], s[4:5], 0x38
	s_ashr_i32 s7, s6, 31
	s_lshl_b64 s[8:9], s[6:7], 2
	s_waitcnt lgkmcnt(0)
	s_add_u32 s8, s0, s8
	v_or_b32_e32 v1, s6, v0
	s_addc_u32 s9, s1, s9
	v_cmp_eq_u32_e32 vcc, 0, v1
	s_and_saveexec_b64 s[0:1], vcc
	s_cbranch_execz .LBB210_2
; %bb.1:
	v_mov_b32_e32 v1, 0
	v_mov_b32_e32 v2, s15
	global_store_dword v1, v2, s[2:3]
.LBB210_2:
	s_or_b64 exec, exec, s[0:1]
	v_and_b32_e32 v4, 3, v0
	v_cmp_ne_u32_e32 vcc, 3, v4
	s_and_saveexec_b64 s[0:1], vcc
	s_cbranch_execz .LBB210_6
; %bb.3:
	s_load_dwordx2 s[0:1], s[8:9], 0x0
	s_load_dword s12, s[4:5], 0xc
	v_lshrrev_b32_e32 v3, 2, v0
	v_mov_b32_e32 v1, 0
	s_waitcnt lgkmcnt(0)
	s_sub_i32 s7, s0, s12
	s_sub_i32 s13, s1, s12
	;; [unrolled: 1-line block ×3, first 2 shown]
	s_mul_i32 s8, s8, 3
	s_mul_i32 s1, s7, 9
	v_mul_lo_u32 v6, s8, v4
	s_add_i32 s8, s8, s15
	s_add_i32 s8, s8, s1
	s_mul_i32 s1, s6, 3
	v_add3_u32 v0, v4, s1, 1
	v_lshlrev_b64 v[8:9], 2, v[0:1]
	v_mov_b32_e32 v0, s3
	v_add_co_u32_e32 v8, vcc, s2, v8
	v_add_u32_e32 v2, s8, v6
	v_addc_co_u32_e32 v9, vcc, v0, v9, vcc
	global_store_dword v[8:9], v2, off
	v_add_u32_e32 v2, s7, v3
	v_cmp_gt_i32_e32 vcc, s13, v2
	s_and_b64 exec, exec, vcc
	s_cbranch_execz .LBB210_6
; %bb.4:
	s_load_dwordx2 s[2:3], s[4:5], 0x20
	s_load_dwordx2 s[6:7], s[4:5], 0x30
	s_load_dword s1, s[4:5], 0x0
	s_load_dwordx2 s[8:9], s[4:5], 0x10
	s_load_dwordx2 s[10:11], s[4:5], 0x40
	v_add_u32_e32 v0, s0, v3
	v_lshl_add_u32 v0, v0, 3, v0
	s_waitcnt lgkmcnt(0)
	s_cmp_eq_u32 s1, 0
	v_mad_u32_u24 v0, v4, 3, v0
	s_mul_i32 s1, s12, 9
	v_subrev_u32_e32 v9, s1, v0
	s_mul_i32 s0, s0, 9
	v_mul_u32_u24_e32 v0, 3, v3
	v_mad_u64_u32 v[4:5], s[4:5], v2, 9, v[4:5]
	v_add3_u32 v0, v6, s0, v0
	s_mov_b32 s14, 0
	s_cselect_b64 vcc, -1, 0
	v_subrev_u32_e32 v6, s1, v0
	s_mov_b64 s[4:5], 0
	v_mov_b32_e32 v5, s3
	v_mov_b32_e32 v8, s15
	;; [unrolled: 1-line block ×5, first 2 shown]
.LBB210_5:                              ; =>This Inner Loop Header: Depth=1
	v_ashrrev_i32_e32 v3, 31, v2
	v_add_u32_e32 v7, s14, v4
	v_add_u32_e32 v13, s14, v9
	v_lshlrev_b64 v[14:15], 2, v[2:3]
	v_cndmask_b32_e32 v0, v7, v13, vcc
	v_add_co_u32_e64 v14, s[0:1], s2, v14
	v_add_u32_e32 v3, 1, v13
	v_add_u32_e32 v18, 3, v7
	v_addc_co_u32_e64 v15, s[0:1], v5, v15, s[0:1]
	v_lshlrev_b64 v[16:17], 3, v[0:1]
	v_cndmask_b32_e32 v0, v18, v3, vcc
	v_add_co_u32_e64 v18, s[0:1], s8, v16
	v_add_u32_e32 v13, 2, v13
	v_add_u32_e32 v7, 6, v7
	global_load_dword v3, v[14:15], off
	v_addc_co_u32_e64 v19, s[0:1], v11, v17, s[0:1]
	v_lshlrev_b64 v[14:15], 3, v[0:1]
	v_cndmask_b32_e32 v0, v7, v13, vcc
	v_add_co_u32_e64 v20, s[0:1], s8, v14
	v_addc_co_u32_e64 v21, s[0:1], v11, v15, s[0:1]
	v_lshlrev_b64 v[22:23], 3, v[0:1]
	global_load_dwordx2 v[14:15], v[18:19], off
	global_load_dwordx2 v[16:17], v[20:21], off
	v_add_co_u32_e64 v18, s[0:1], s8, v22
	v_addc_co_u32_e64 v19, s[0:1], v11, v23, s[0:1]
	global_load_dwordx2 v[22:23], v[18:19], off
	v_ashrrev_i32_e32 v7, 31, v6
	v_lshlrev_b64 v[18:19], 2, v[6:7]
	v_add_co_u32_e64 v24, s[0:1], s10, v18
	v_lshlrev_b64 v[20:21], 3, v[6:7]
	v_addc_co_u32_e64 v25, s[0:1], v10, v19, s[0:1]
	v_add_co_u32_e64 v26, s[0:1], s6, v20
	v_add_u32_e32 v2, 64, v2
	v_addc_co_u32_e64 v27, s[0:1], v12, v21, s[0:1]
	s_addk_i32 s14, 0x240
	v_cmp_le_i32_e64 s[0:1], s13, v2
	s_or_b64 s[4:5], s[0:1], s[4:5]
	v_add_u32_e32 v6, 0xc0, v6
	s_waitcnt vmcnt(3)
	v_subrev_u32_e32 v0, s12, v3
	v_mad_u64_u32 v[18:19], s[0:1], v0, 3, v[8:9]
	v_add_u32_e32 v19, 1, v18
	v_add_u32_e32 v20, 2, v18
	s_waitcnt vmcnt(1)
	global_store_dwordx4 v[26:27], v[14:17], off
	global_store_dwordx3 v[24:25], v[18:20], off
	s_waitcnt vmcnt(2)
	global_store_dwordx2 v[26:27], v[22:23], off offset:16
	s_andn2_b64 exec, exec, s[4:5]
	s_cbranch_execnz .LBB210_5
.LBB210_6:
	s_endpgm
	.section	.rodata,"a",@progbits
	.p2align	6, 0x0
	.amdhsa_kernel _ZN9rocsparseL32bsr2csr_block_per_row_2_7_kernelILj256ELj3EdiiEEv20rocsparse_direction_T3_S2_21rocsparse_index_base_PKT1_PKT2_PKS2_S2_S3_PS4_PS7_PS2_
		.amdhsa_group_segment_fixed_size 0
		.amdhsa_private_segment_fixed_size 0
		.amdhsa_kernarg_size 72
		.amdhsa_user_sgpr_count 6
		.amdhsa_user_sgpr_private_segment_buffer 1
		.amdhsa_user_sgpr_dispatch_ptr 0
		.amdhsa_user_sgpr_queue_ptr 0
		.amdhsa_user_sgpr_kernarg_segment_ptr 1
		.amdhsa_user_sgpr_dispatch_id 0
		.amdhsa_user_sgpr_flat_scratch_init 0
		.amdhsa_user_sgpr_kernarg_preload_length 0
		.amdhsa_user_sgpr_kernarg_preload_offset 0
		.amdhsa_user_sgpr_private_segment_size 0
		.amdhsa_uses_dynamic_stack 0
		.amdhsa_system_sgpr_private_segment_wavefront_offset 0
		.amdhsa_system_sgpr_workgroup_id_x 1
		.amdhsa_system_sgpr_workgroup_id_y 0
		.amdhsa_system_sgpr_workgroup_id_z 0
		.amdhsa_system_sgpr_workgroup_info 0
		.amdhsa_system_vgpr_workitem_id 0
		.amdhsa_next_free_vgpr 28
		.amdhsa_next_free_sgpr 16
		.amdhsa_accum_offset 28
		.amdhsa_reserve_vcc 1
		.amdhsa_reserve_flat_scratch 0
		.amdhsa_float_round_mode_32 0
		.amdhsa_float_round_mode_16_64 0
		.amdhsa_float_denorm_mode_32 3
		.amdhsa_float_denorm_mode_16_64 3
		.amdhsa_dx10_clamp 1
		.amdhsa_ieee_mode 1
		.amdhsa_fp16_overflow 0
		.amdhsa_tg_split 0
		.amdhsa_exception_fp_ieee_invalid_op 0
		.amdhsa_exception_fp_denorm_src 0
		.amdhsa_exception_fp_ieee_div_zero 0
		.amdhsa_exception_fp_ieee_overflow 0
		.amdhsa_exception_fp_ieee_underflow 0
		.amdhsa_exception_fp_ieee_inexact 0
		.amdhsa_exception_int_div_zero 0
	.end_amdhsa_kernel
	.section	.text._ZN9rocsparseL32bsr2csr_block_per_row_2_7_kernelILj256ELj3EdiiEEv20rocsparse_direction_T3_S2_21rocsparse_index_base_PKT1_PKT2_PKS2_S2_S3_PS4_PS7_PS2_,"axG",@progbits,_ZN9rocsparseL32bsr2csr_block_per_row_2_7_kernelILj256ELj3EdiiEEv20rocsparse_direction_T3_S2_21rocsparse_index_base_PKT1_PKT2_PKS2_S2_S3_PS4_PS7_PS2_,comdat
.Lfunc_end210:
	.size	_ZN9rocsparseL32bsr2csr_block_per_row_2_7_kernelILj256ELj3EdiiEEv20rocsparse_direction_T3_S2_21rocsparse_index_base_PKT1_PKT2_PKS2_S2_S3_PS4_PS7_PS2_, .Lfunc_end210-_ZN9rocsparseL32bsr2csr_block_per_row_2_7_kernelILj256ELj3EdiiEEv20rocsparse_direction_T3_S2_21rocsparse_index_base_PKT1_PKT2_PKS2_S2_S3_PS4_PS7_PS2_
                                        ; -- End function
	.section	.AMDGPU.csdata,"",@progbits
; Kernel info:
; codeLenInByte = 672
; NumSgprs: 20
; NumVgprs: 28
; NumAgprs: 0
; TotalNumVgprs: 28
; ScratchSize: 0
; MemoryBound: 0
; FloatMode: 240
; IeeeMode: 1
; LDSByteSize: 0 bytes/workgroup (compile time only)
; SGPRBlocks: 2
; VGPRBlocks: 3
; NumSGPRsForWavesPerEU: 20
; NumVGPRsForWavesPerEU: 28
; AccumOffset: 28
; Occupancy: 8
; WaveLimiterHint : 1
; COMPUTE_PGM_RSRC2:SCRATCH_EN: 0
; COMPUTE_PGM_RSRC2:USER_SGPR: 6
; COMPUTE_PGM_RSRC2:TRAP_HANDLER: 0
; COMPUTE_PGM_RSRC2:TGID_X_EN: 1
; COMPUTE_PGM_RSRC2:TGID_Y_EN: 0
; COMPUTE_PGM_RSRC2:TGID_Z_EN: 0
; COMPUTE_PGM_RSRC2:TIDIG_COMP_CNT: 0
; COMPUTE_PGM_RSRC3_GFX90A:ACCUM_OFFSET: 6
; COMPUTE_PGM_RSRC3_GFX90A:TG_SPLIT: 0
	.section	.text._ZN9rocsparseL32bsr2csr_block_per_row_2_7_kernelILj256ELj4EdiiEEv20rocsparse_direction_T3_S2_21rocsparse_index_base_PKT1_PKT2_PKS2_S2_S3_PS4_PS7_PS2_,"axG",@progbits,_ZN9rocsparseL32bsr2csr_block_per_row_2_7_kernelILj256ELj4EdiiEEv20rocsparse_direction_T3_S2_21rocsparse_index_base_PKT1_PKT2_PKS2_S2_S3_PS4_PS7_PS2_,comdat
	.globl	_ZN9rocsparseL32bsr2csr_block_per_row_2_7_kernelILj256ELj4EdiiEEv20rocsparse_direction_T3_S2_21rocsparse_index_base_PKT1_PKT2_PKS2_S2_S3_PS4_PS7_PS2_ ; -- Begin function _ZN9rocsparseL32bsr2csr_block_per_row_2_7_kernelILj256ELj4EdiiEEv20rocsparse_direction_T3_S2_21rocsparse_index_base_PKT1_PKT2_PKS2_S2_S3_PS4_PS7_PS2_
	.p2align	8
	.type	_ZN9rocsparseL32bsr2csr_block_per_row_2_7_kernelILj256ELj4EdiiEEv20rocsparse_direction_T3_S2_21rocsparse_index_base_PKT1_PKT2_PKS2_S2_S3_PS4_PS7_PS2_,@function
_ZN9rocsparseL32bsr2csr_block_per_row_2_7_kernelILj256ELj4EdiiEEv20rocsparse_direction_T3_S2_21rocsparse_index_base_PKT1_PKT2_PKS2_S2_S3_PS4_PS7_PS2_: ; @_ZN9rocsparseL32bsr2csr_block_per_row_2_7_kernelILj256ELj4EdiiEEv20rocsparse_direction_T3_S2_21rocsparse_index_base_PKT1_PKT2_PKS2_S2_S3_PS4_PS7_PS2_
; %bb.0:
	s_load_dwordx2 s[0:1], s[4:5], 0x18
	s_load_dword s12, s[4:5], 0x2c
	s_load_dwordx2 s[2:3], s[4:5], 0x38
	s_ashr_i32 s7, s6, 31
	s_lshl_b64 s[8:9], s[6:7], 2
	s_waitcnt lgkmcnt(0)
	s_add_u32 s0, s0, s8
	s_addc_u32 s1, s1, s9
	s_load_dwordx2 s[0:1], s[0:1], 0x0
	v_or_b32_e32 v1, s6, v0
	v_cmp_eq_u32_e32 vcc, 0, v1
	s_and_saveexec_b64 s[8:9], vcc
	s_cbranch_execz .LBB211_2
; %bb.1:
	v_mov_b32_e32 v1, 0
	v_mov_b32_e32 v2, s12
	global_store_dword v1, v2, s[2:3]
.LBB211_2:
	s_or_b64 exec, exec, s[8:9]
	s_load_dword s13, s[4:5], 0xc
	v_and_b32_e32 v6, 3, v0
	v_lshrrev_b32_e32 v3, 2, v0
	v_lshl_or_b32 v0, s6, 2, v6
	v_add_u32_e32 v0, 1, v0
	s_waitcnt lgkmcnt(0)
	s_sub_i32 s7, s0, s13
	s_sub_i32 s14, s1, s13
	;; [unrolled: 1-line block ×3, first 2 shown]
	s_lshl_b32 s8, s8, 2
	v_mov_b32_e32 v1, 0
	s_lshl_b32 s1, s7, 4
	v_mul_lo_u32 v4, s8, v6
	s_add_i32 s8, s8, s12
	v_lshlrev_b64 v[8:9], 2, v[0:1]
	s_add_i32 s8, s8, s1
	v_mov_b32_e32 v0, s3
	v_add_co_u32_e32 v8, vcc, s2, v8
	v_add_u32_e32 v2, s8, v4
	v_addc_co_u32_e32 v9, vcc, v0, v9, vcc
	global_store_dword v[8:9], v2, off
	v_add_u32_e32 v2, s7, v3
	v_cmp_gt_i32_e32 vcc, s14, v2
	s_and_saveexec_b64 s[2:3], vcc
	s_cbranch_execz .LBB211_5
; %bb.3:
	s_load_dwordx2 s[2:3], s[4:5], 0x20
	s_load_dwordx2 s[6:7], s[4:5], 0x30
	s_load_dword s1, s[4:5], 0x0
	s_load_dwordx2 s[8:9], s[4:5], 0x10
	s_load_dwordx2 s[10:11], s[4:5], 0x40
	v_lshlrev_b32_e32 v0, 2, v3
	v_lshlrev_b32_e32 v7, 2, v6
	s_waitcnt lgkmcnt(0)
	s_cmp_eq_u32 s1, 0
	s_cselect_b64 vcc, -1, 0
	s_lshl_b32 s0, s0, 4
	v_add3_u32 v0, v4, s0, v0
	s_lshl_b32 s0, s13, 4
	v_subrev_u32_e32 v4, s0, v0
	v_lshlrev_b32_e32 v8, 4, v2
	s_mov_b64 s[4:5], 0
	v_mov_b32_e32 v9, s3
	v_mov_b32_e32 v10, s11
	;; [unrolled: 1-line block ×4, first 2 shown]
.LBB211_4:                              ; =>This Inner Loop Header: Depth=1
	v_ashrrev_i32_e32 v3, 31, v2
	v_add_u32_e32 v5, v7, v8
	v_add_u32_e32 v13, v6, v8
	v_lshlrev_b64 v[14:15], 2, v[2:3]
	v_cndmask_b32_e32 v0, v13, v5, vcc
	v_add_co_u32_e64 v14, s[0:1], s2, v14
	v_add_u32_e32 v3, 1, v5
	v_add_u32_e32 v18, 4, v13
	v_addc_co_u32_e64 v15, s[0:1], v9, v15, s[0:1]
	v_lshlrev_b64 v[16:17], 3, v[0:1]
	v_cndmask_b32_e32 v0, v18, v3, vcc
	v_add_co_u32_e64 v18, s[0:1], s8, v16
	v_add_u32_e32 v20, 2, v5
	v_add_u32_e32 v21, 8, v13
	global_load_dword v3, v[14:15], off
	v_addc_co_u32_e64 v19, s[0:1], v11, v17, s[0:1]
	v_lshlrev_b64 v[14:15], 3, v[0:1]
	v_cndmask_b32_e32 v0, v21, v20, vcc
	v_add_co_u32_e64 v20, s[0:1], s8, v14
	v_add_u32_e32 v5, 3, v5
	v_add_u32_e32 v13, 12, v13
	v_addc_co_u32_e64 v21, s[0:1], v11, v15, s[0:1]
	v_lshlrev_b64 v[22:23], 3, v[0:1]
	v_cndmask_b32_e32 v0, v13, v5, vcc
	v_add_co_u32_e64 v22, s[0:1], s8, v22
	global_load_dwordx2 v[14:15], v[18:19], off
	global_load_dwordx2 v[16:17], v[20:21], off
	v_addc_co_u32_e64 v23, s[0:1], v11, v23, s[0:1]
	v_lshlrev_b64 v[18:19], 3, v[0:1]
	v_add_co_u32_e64 v24, s[0:1], s8, v18
	v_addc_co_u32_e64 v25, s[0:1], v11, v19, s[0:1]
	global_load_dwordx2 v[18:19], v[22:23], off
	global_load_dwordx2 v[20:21], v[24:25], off
	v_ashrrev_i32_e32 v5, 31, v4
	v_lshlrev_b64 v[22:23], 2, v[4:5]
	v_add_co_u32_e64 v26, s[0:1], s10, v22
	v_lshlrev_b64 v[24:25], 3, v[4:5]
	v_addc_co_u32_e64 v27, s[0:1], v10, v23, s[0:1]
	v_add_co_u32_e64 v28, s[0:1], s6, v24
	v_add_u32_e32 v2, 64, v2
	v_addc_co_u32_e64 v29, s[0:1], v12, v25, s[0:1]
	v_cmp_le_i32_e64 s[0:1], s14, v2
	v_add_u32_e32 v8, 0x400, v8
	v_add_u32_e32 v4, 0x100, v4
	s_or_b64 s[4:5], s[0:1], s[4:5]
	s_waitcnt vmcnt(4)
	v_subrev_u32_e32 v0, s13, v3
	v_lshl_add_u32 v22, v0, 2, s12
	v_add_u32_e32 v23, 1, v22
	v_add_u32_e32 v24, 2, v22
	;; [unrolled: 1-line block ×3, first 2 shown]
	s_waitcnt vmcnt(2)
	global_store_dwordx4 v[28:29], v[14:17], off
	global_store_dwordx4 v[26:27], v[22:25], off
	s_waitcnt vmcnt(2)
	global_store_dwordx4 v[28:29], v[18:21], off offset:16
	s_andn2_b64 exec, exec, s[4:5]
	s_cbranch_execnz .LBB211_4
.LBB211_5:
	s_endpgm
	.section	.rodata,"a",@progbits
	.p2align	6, 0x0
	.amdhsa_kernel _ZN9rocsparseL32bsr2csr_block_per_row_2_7_kernelILj256ELj4EdiiEEv20rocsparse_direction_T3_S2_21rocsparse_index_base_PKT1_PKT2_PKS2_S2_S3_PS4_PS7_PS2_
		.amdhsa_group_segment_fixed_size 0
		.amdhsa_private_segment_fixed_size 0
		.amdhsa_kernarg_size 72
		.amdhsa_user_sgpr_count 6
		.amdhsa_user_sgpr_private_segment_buffer 1
		.amdhsa_user_sgpr_dispatch_ptr 0
		.amdhsa_user_sgpr_queue_ptr 0
		.amdhsa_user_sgpr_kernarg_segment_ptr 1
		.amdhsa_user_sgpr_dispatch_id 0
		.amdhsa_user_sgpr_flat_scratch_init 0
		.amdhsa_user_sgpr_kernarg_preload_length 0
		.amdhsa_user_sgpr_kernarg_preload_offset 0
		.amdhsa_user_sgpr_private_segment_size 0
		.amdhsa_uses_dynamic_stack 0
		.amdhsa_system_sgpr_private_segment_wavefront_offset 0
		.amdhsa_system_sgpr_workgroup_id_x 1
		.amdhsa_system_sgpr_workgroup_id_y 0
		.amdhsa_system_sgpr_workgroup_id_z 0
		.amdhsa_system_sgpr_workgroup_info 0
		.amdhsa_system_vgpr_workitem_id 0
		.amdhsa_next_free_vgpr 30
		.amdhsa_next_free_sgpr 15
		.amdhsa_accum_offset 32
		.amdhsa_reserve_vcc 1
		.amdhsa_reserve_flat_scratch 0
		.amdhsa_float_round_mode_32 0
		.amdhsa_float_round_mode_16_64 0
		.amdhsa_float_denorm_mode_32 3
		.amdhsa_float_denorm_mode_16_64 3
		.amdhsa_dx10_clamp 1
		.amdhsa_ieee_mode 1
		.amdhsa_fp16_overflow 0
		.amdhsa_tg_split 0
		.amdhsa_exception_fp_ieee_invalid_op 0
		.amdhsa_exception_fp_denorm_src 0
		.amdhsa_exception_fp_ieee_div_zero 0
		.amdhsa_exception_fp_ieee_overflow 0
		.amdhsa_exception_fp_ieee_underflow 0
		.amdhsa_exception_fp_ieee_inexact 0
		.amdhsa_exception_int_div_zero 0
	.end_amdhsa_kernel
	.section	.text._ZN9rocsparseL32bsr2csr_block_per_row_2_7_kernelILj256ELj4EdiiEEv20rocsparse_direction_T3_S2_21rocsparse_index_base_PKT1_PKT2_PKS2_S2_S3_PS4_PS7_PS2_,"axG",@progbits,_ZN9rocsparseL32bsr2csr_block_per_row_2_7_kernelILj256ELj4EdiiEEv20rocsparse_direction_T3_S2_21rocsparse_index_base_PKT1_PKT2_PKS2_S2_S3_PS4_PS7_PS2_,comdat
.Lfunc_end211:
	.size	_ZN9rocsparseL32bsr2csr_block_per_row_2_7_kernelILj256ELj4EdiiEEv20rocsparse_direction_T3_S2_21rocsparse_index_base_PKT1_PKT2_PKS2_S2_S3_PS4_PS7_PS2_, .Lfunc_end211-_ZN9rocsparseL32bsr2csr_block_per_row_2_7_kernelILj256ELj4EdiiEEv20rocsparse_direction_T3_S2_21rocsparse_index_base_PKT1_PKT2_PKS2_S2_S3_PS4_PS7_PS2_
                                        ; -- End function
	.section	.AMDGPU.csdata,"",@progbits
; Kernel info:
; codeLenInByte = 680
; NumSgprs: 19
; NumVgprs: 30
; NumAgprs: 0
; TotalNumVgprs: 30
; ScratchSize: 0
; MemoryBound: 0
; FloatMode: 240
; IeeeMode: 1
; LDSByteSize: 0 bytes/workgroup (compile time only)
; SGPRBlocks: 2
; VGPRBlocks: 3
; NumSGPRsForWavesPerEU: 19
; NumVGPRsForWavesPerEU: 30
; AccumOffset: 32
; Occupancy: 8
; WaveLimiterHint : 0
; COMPUTE_PGM_RSRC2:SCRATCH_EN: 0
; COMPUTE_PGM_RSRC2:USER_SGPR: 6
; COMPUTE_PGM_RSRC2:TRAP_HANDLER: 0
; COMPUTE_PGM_RSRC2:TGID_X_EN: 1
; COMPUTE_PGM_RSRC2:TGID_Y_EN: 0
; COMPUTE_PGM_RSRC2:TGID_Z_EN: 0
; COMPUTE_PGM_RSRC2:TIDIG_COMP_CNT: 0
; COMPUTE_PGM_RSRC3_GFX90A:ACCUM_OFFSET: 7
; COMPUTE_PGM_RSRC3_GFX90A:TG_SPLIT: 0
	.section	.text._ZN9rocsparseL32bsr2csr_block_per_row_2_7_kernelILj256ELj5EdiiEEv20rocsparse_direction_T3_S2_21rocsparse_index_base_PKT1_PKT2_PKS2_S2_S3_PS4_PS7_PS2_,"axG",@progbits,_ZN9rocsparseL32bsr2csr_block_per_row_2_7_kernelILj256ELj5EdiiEEv20rocsparse_direction_T3_S2_21rocsparse_index_base_PKT1_PKT2_PKS2_S2_S3_PS4_PS7_PS2_,comdat
	.globl	_ZN9rocsparseL32bsr2csr_block_per_row_2_7_kernelILj256ELj5EdiiEEv20rocsparse_direction_T3_S2_21rocsparse_index_base_PKT1_PKT2_PKS2_S2_S3_PS4_PS7_PS2_ ; -- Begin function _ZN9rocsparseL32bsr2csr_block_per_row_2_7_kernelILj256ELj5EdiiEEv20rocsparse_direction_T3_S2_21rocsparse_index_base_PKT1_PKT2_PKS2_S2_S3_PS4_PS7_PS2_
	.p2align	8
	.type	_ZN9rocsparseL32bsr2csr_block_per_row_2_7_kernelILj256ELj5EdiiEEv20rocsparse_direction_T3_S2_21rocsparse_index_base_PKT1_PKT2_PKS2_S2_S3_PS4_PS7_PS2_,@function
_ZN9rocsparseL32bsr2csr_block_per_row_2_7_kernelILj256ELj5EdiiEEv20rocsparse_direction_T3_S2_21rocsparse_index_base_PKT1_PKT2_PKS2_S2_S3_PS4_PS7_PS2_: ; @_ZN9rocsparseL32bsr2csr_block_per_row_2_7_kernelILj256ELj5EdiiEEv20rocsparse_direction_T3_S2_21rocsparse_index_base_PKT1_PKT2_PKS2_S2_S3_PS4_PS7_PS2_
; %bb.0:
	s_load_dwordx2 s[0:1], s[4:5], 0x18
	s_load_dword s15, s[4:5], 0x2c
	s_load_dwordx2 s[2:3], s[4:5], 0x38
	s_ashr_i32 s7, s6, 31
	s_lshl_b64 s[8:9], s[6:7], 2
	s_waitcnt lgkmcnt(0)
	s_add_u32 s8, s0, s8
	v_or_b32_e32 v1, s6, v0
	s_addc_u32 s9, s1, s9
	v_cmp_eq_u32_e32 vcc, 0, v1
	s_and_saveexec_b64 s[0:1], vcc
	s_cbranch_execz .LBB212_2
; %bb.1:
	v_mov_b32_e32 v1, 0
	v_mov_b32_e32 v2, s15
	global_store_dword v1, v2, s[2:3]
.LBB212_2:
	s_or_b64 exec, exec, s[0:1]
	v_and_b32_e32 v4, 7, v0
	v_cmp_gt_u32_e32 vcc, 5, v4
	s_and_saveexec_b64 s[0:1], vcc
	s_cbranch_execz .LBB212_6
; %bb.3:
	s_load_dwordx2 s[0:1], s[8:9], 0x0
	s_load_dword s12, s[4:5], 0xc
	v_lshrrev_b32_e32 v3, 3, v0
	v_mov_b32_e32 v1, 0
	s_waitcnt lgkmcnt(0)
	s_sub_i32 s7, s0, s12
	s_sub_i32 s13, s1, s12
	;; [unrolled: 1-line block ×3, first 2 shown]
	s_mul_i32 s8, s8, 5
	s_mul_i32 s1, s7, 25
	v_mul_lo_u32 v6, s8, v4
	s_add_i32 s8, s8, s15
	s_add_i32 s8, s8, s1
	s_mul_i32 s1, s6, 5
	v_add3_u32 v0, v4, s1, 1
	v_lshlrev_b64 v[8:9], 2, v[0:1]
	v_mov_b32_e32 v0, s3
	v_add_co_u32_e32 v8, vcc, s2, v8
	v_add_u32_e32 v2, s8, v6
	v_addc_co_u32_e32 v9, vcc, v0, v9, vcc
	global_store_dword v[8:9], v2, off
	v_add_u32_e32 v2, s7, v3
	v_cmp_gt_i32_e32 vcc, s13, v2
	s_and_b64 exec, exec, vcc
	s_cbranch_execz .LBB212_6
; %bb.4:
	s_load_dwordx2 s[2:3], s[4:5], 0x20
	s_load_dwordx2 s[6:7], s[4:5], 0x30
	s_load_dword s1, s[4:5], 0x0
	s_load_dwordx2 s[8:9], s[4:5], 0x10
	s_load_dwordx2 s[10:11], s[4:5], 0x40
	v_add_u32_e32 v0, s0, v3
	v_mul_lo_u32 v0, v0, 25
	s_waitcnt lgkmcnt(0)
	s_cmp_eq_u32 s1, 0
	v_mad_u32_u24 v0, v4, 5, v0
	s_mul_i32 s1, s12, 25
	v_subrev_u32_e32 v9, s1, v0
	s_mul_i32 s0, s0, 25
	v_mul_u32_u24_e32 v0, 5, v3
	v_mad_u64_u32 v[4:5], s[4:5], v2, 25, v[4:5]
	v_add3_u32 v0, v6, s0, v0
	s_mov_b32 s14, 0
	s_cselect_b64 vcc, -1, 0
	v_subrev_u32_e32 v6, s1, v0
	s_mov_b64 s[4:5], 0
	v_mov_b32_e32 v5, s3
	v_mov_b32_e32 v8, s15
	;; [unrolled: 1-line block ×5, first 2 shown]
.LBB212_5:                              ; =>This Inner Loop Header: Depth=1
	v_ashrrev_i32_e32 v3, 31, v2
	v_add_u32_e32 v7, s14, v4
	v_add_u32_e32 v13, s14, v9
	v_lshlrev_b64 v[14:15], 2, v[2:3]
	v_cndmask_b32_e32 v0, v7, v13, vcc
	v_add_co_u32_e64 v14, s[0:1], s2, v14
	v_add_u32_e32 v3, 1, v13
	v_add_u32_e32 v18, 5, v7
	v_addc_co_u32_e64 v15, s[0:1], v5, v15, s[0:1]
	v_lshlrev_b64 v[16:17], 3, v[0:1]
	v_cndmask_b32_e32 v0, v18, v3, vcc
	v_add_co_u32_e64 v18, s[0:1], s8, v16
	v_add_u32_e32 v20, 2, v13
	v_add_u32_e32 v21, 10, v7
	global_load_dword v3, v[14:15], off
	v_addc_co_u32_e64 v19, s[0:1], v11, v17, s[0:1]
	v_lshlrev_b64 v[14:15], 3, v[0:1]
	v_cndmask_b32_e32 v0, v21, v20, vcc
	v_add_co_u32_e64 v20, s[0:1], s8, v14
	v_add_u32_e32 v24, 3, v13
	v_add_u32_e32 v25, 15, v7
	v_addc_co_u32_e64 v21, s[0:1], v11, v15, s[0:1]
	v_lshlrev_b64 v[22:23], 3, v[0:1]
	v_cndmask_b32_e32 v0, v25, v24, vcc
	v_add_co_u32_e64 v22, s[0:1], s8, v22
	v_add_u32_e32 v13, 4, v13
	v_add_u32_e32 v7, 20, v7
	global_load_dwordx2 v[14:15], v[18:19], off
	global_load_dwordx2 v[16:17], v[20:21], off
	v_addc_co_u32_e64 v23, s[0:1], v11, v23, s[0:1]
	v_lshlrev_b64 v[18:19], 3, v[0:1]
	v_cndmask_b32_e32 v0, v7, v13, vcc
	v_add_co_u32_e64 v24, s[0:1], s8, v18
	v_addc_co_u32_e64 v25, s[0:1], v11, v19, s[0:1]
	v_lshlrev_b64 v[26:27], 3, v[0:1]
	global_load_dwordx2 v[18:19], v[22:23], off
	global_load_dwordx2 v[20:21], v[24:25], off
	v_add_co_u32_e64 v22, s[0:1], s8, v26
	v_addc_co_u32_e64 v23, s[0:1], v11, v27, s[0:1]
	global_load_dwordx2 v[26:27], v[22:23], off
	v_ashrrev_i32_e32 v7, 31, v6
	v_lshlrev_b64 v[22:23], 2, v[6:7]
	v_add_co_u32_e64 v28, s[0:1], s10, v22
	v_lshlrev_b64 v[24:25], 3, v[6:7]
	v_addc_co_u32_e64 v29, s[0:1], v10, v23, s[0:1]
	v_add_co_u32_e64 v30, s[0:1], s6, v24
	v_add_u32_e32 v2, 32, v2
	v_addc_co_u32_e64 v31, s[0:1], v12, v25, s[0:1]
	s_addk_i32 s14, 0x320
	v_cmp_le_i32_e64 s[0:1], s13, v2
	s_or_b64 s[4:5], s[0:1], s[4:5]
	v_add_u32_e32 v6, 0xa0, v6
	s_waitcnt vmcnt(5)
	v_subrev_u32_e32 v0, s12, v3
	v_mad_u64_u32 v[22:23], s[0:1], v0, 5, v[8:9]
	v_add_u32_e32 v23, 1, v22
	v_add_u32_e32 v24, 2, v22
	v_add_u32_e32 v25, 3, v22
	v_add_u32_e32 v0, 4, v22
	s_waitcnt vmcnt(3)
	global_store_dwordx4 v[30:31], v[14:17], off
	global_store_dwordx4 v[28:29], v[22:25], off
	global_store_dword v[28:29], v0, off offset:16
	s_waitcnt vmcnt(4)
	global_store_dwordx4 v[30:31], v[18:21], off offset:16
	s_waitcnt vmcnt(4)
	global_store_dwordx2 v[30:31], v[26:27], off offset:32
	s_andn2_b64 exec, exec, s[4:5]
	s_cbranch_execnz .LBB212_5
.LBB212_6:
	s_endpgm
	.section	.rodata,"a",@progbits
	.p2align	6, 0x0
	.amdhsa_kernel _ZN9rocsparseL32bsr2csr_block_per_row_2_7_kernelILj256ELj5EdiiEEv20rocsparse_direction_T3_S2_21rocsparse_index_base_PKT1_PKT2_PKS2_S2_S3_PS4_PS7_PS2_
		.amdhsa_group_segment_fixed_size 0
		.amdhsa_private_segment_fixed_size 0
		.amdhsa_kernarg_size 72
		.amdhsa_user_sgpr_count 6
		.amdhsa_user_sgpr_private_segment_buffer 1
		.amdhsa_user_sgpr_dispatch_ptr 0
		.amdhsa_user_sgpr_queue_ptr 0
		.amdhsa_user_sgpr_kernarg_segment_ptr 1
		.amdhsa_user_sgpr_dispatch_id 0
		.amdhsa_user_sgpr_flat_scratch_init 0
		.amdhsa_user_sgpr_kernarg_preload_length 0
		.amdhsa_user_sgpr_kernarg_preload_offset 0
		.amdhsa_user_sgpr_private_segment_size 0
		.amdhsa_uses_dynamic_stack 0
		.amdhsa_system_sgpr_private_segment_wavefront_offset 0
		.amdhsa_system_sgpr_workgroup_id_x 1
		.amdhsa_system_sgpr_workgroup_id_y 0
		.amdhsa_system_sgpr_workgroup_id_z 0
		.amdhsa_system_sgpr_workgroup_info 0
		.amdhsa_system_vgpr_workitem_id 0
		.amdhsa_next_free_vgpr 32
		.amdhsa_next_free_sgpr 16
		.amdhsa_accum_offset 32
		.amdhsa_reserve_vcc 1
		.amdhsa_reserve_flat_scratch 0
		.amdhsa_float_round_mode_32 0
		.amdhsa_float_round_mode_16_64 0
		.amdhsa_float_denorm_mode_32 3
		.amdhsa_float_denorm_mode_16_64 3
		.amdhsa_dx10_clamp 1
		.amdhsa_ieee_mode 1
		.amdhsa_fp16_overflow 0
		.amdhsa_tg_split 0
		.amdhsa_exception_fp_ieee_invalid_op 0
		.amdhsa_exception_fp_denorm_src 0
		.amdhsa_exception_fp_ieee_div_zero 0
		.amdhsa_exception_fp_ieee_overflow 0
		.amdhsa_exception_fp_ieee_underflow 0
		.amdhsa_exception_fp_ieee_inexact 0
		.amdhsa_exception_int_div_zero 0
	.end_amdhsa_kernel
	.section	.text._ZN9rocsparseL32bsr2csr_block_per_row_2_7_kernelILj256ELj5EdiiEEv20rocsparse_direction_T3_S2_21rocsparse_index_base_PKT1_PKT2_PKS2_S2_S3_PS4_PS7_PS2_,"axG",@progbits,_ZN9rocsparseL32bsr2csr_block_per_row_2_7_kernelILj256ELj5EdiiEEv20rocsparse_direction_T3_S2_21rocsparse_index_base_PKT1_PKT2_PKS2_S2_S3_PS4_PS7_PS2_,comdat
.Lfunc_end212:
	.size	_ZN9rocsparseL32bsr2csr_block_per_row_2_7_kernelILj256ELj5EdiiEEv20rocsparse_direction_T3_S2_21rocsparse_index_base_PKT1_PKT2_PKS2_S2_S3_PS4_PS7_PS2_, .Lfunc_end212-_ZN9rocsparseL32bsr2csr_block_per_row_2_7_kernelILj256ELj5EdiiEEv20rocsparse_direction_T3_S2_21rocsparse_index_base_PKT1_PKT2_PKS2_S2_S3_PS4_PS7_PS2_
                                        ; -- End function
	.section	.AMDGPU.csdata,"",@progbits
; Kernel info:
; codeLenInByte = 788
; NumSgprs: 20
; NumVgprs: 32
; NumAgprs: 0
; TotalNumVgprs: 32
; ScratchSize: 0
; MemoryBound: 0
; FloatMode: 240
; IeeeMode: 1
; LDSByteSize: 0 bytes/workgroup (compile time only)
; SGPRBlocks: 2
; VGPRBlocks: 3
; NumSGPRsForWavesPerEU: 20
; NumVGPRsForWavesPerEU: 32
; AccumOffset: 32
; Occupancy: 8
; WaveLimiterHint : 1
; COMPUTE_PGM_RSRC2:SCRATCH_EN: 0
; COMPUTE_PGM_RSRC2:USER_SGPR: 6
; COMPUTE_PGM_RSRC2:TRAP_HANDLER: 0
; COMPUTE_PGM_RSRC2:TGID_X_EN: 1
; COMPUTE_PGM_RSRC2:TGID_Y_EN: 0
; COMPUTE_PGM_RSRC2:TGID_Z_EN: 0
; COMPUTE_PGM_RSRC2:TIDIG_COMP_CNT: 0
; COMPUTE_PGM_RSRC3_GFX90A:ACCUM_OFFSET: 7
; COMPUTE_PGM_RSRC3_GFX90A:TG_SPLIT: 0
	.section	.text._ZN9rocsparseL32bsr2csr_block_per_row_2_7_kernelILj256ELj6EdiiEEv20rocsparse_direction_T3_S2_21rocsparse_index_base_PKT1_PKT2_PKS2_S2_S3_PS4_PS7_PS2_,"axG",@progbits,_ZN9rocsparseL32bsr2csr_block_per_row_2_7_kernelILj256ELj6EdiiEEv20rocsparse_direction_T3_S2_21rocsparse_index_base_PKT1_PKT2_PKS2_S2_S3_PS4_PS7_PS2_,comdat
	.globl	_ZN9rocsparseL32bsr2csr_block_per_row_2_7_kernelILj256ELj6EdiiEEv20rocsparse_direction_T3_S2_21rocsparse_index_base_PKT1_PKT2_PKS2_S2_S3_PS4_PS7_PS2_ ; -- Begin function _ZN9rocsparseL32bsr2csr_block_per_row_2_7_kernelILj256ELj6EdiiEEv20rocsparse_direction_T3_S2_21rocsparse_index_base_PKT1_PKT2_PKS2_S2_S3_PS4_PS7_PS2_
	.p2align	8
	.type	_ZN9rocsparseL32bsr2csr_block_per_row_2_7_kernelILj256ELj6EdiiEEv20rocsparse_direction_T3_S2_21rocsparse_index_base_PKT1_PKT2_PKS2_S2_S3_PS4_PS7_PS2_,@function
_ZN9rocsparseL32bsr2csr_block_per_row_2_7_kernelILj256ELj6EdiiEEv20rocsparse_direction_T3_S2_21rocsparse_index_base_PKT1_PKT2_PKS2_S2_S3_PS4_PS7_PS2_: ; @_ZN9rocsparseL32bsr2csr_block_per_row_2_7_kernelILj256ELj6EdiiEEv20rocsparse_direction_T3_S2_21rocsparse_index_base_PKT1_PKT2_PKS2_S2_S3_PS4_PS7_PS2_
; %bb.0:
	s_load_dwordx2 s[2:3], s[4:5], 0x18
	s_load_dword s15, s[4:5], 0x2c
	s_load_dwordx2 s[0:1], s[4:5], 0x38
	s_ashr_i32 s7, s6, 31
	s_lshl_b64 s[8:9], s[6:7], 2
	s_waitcnt lgkmcnt(0)
	s_add_u32 s2, s2, s8
	v_or_b32_e32 v1, s6, v0
	s_addc_u32 s3, s3, s9
	v_cmp_eq_u32_e32 vcc, 0, v1
	s_and_saveexec_b64 s[8:9], vcc
	s_cbranch_execz .LBB213_2
; %bb.1:
	v_mov_b32_e32 v1, 0
	v_mov_b32_e32 v2, s15
	global_store_dword v1, v2, s[0:1]
.LBB213_2:
	s_or_b64 exec, exec, s[8:9]
	v_and_b32_e32 v4, 7, v0
	v_cmp_gt_u32_e32 vcc, 6, v4
	s_and_saveexec_b64 s[8:9], vcc
	s_cbranch_execz .LBB213_6
; %bb.3:
	s_load_dwordx2 s[12:13], s[2:3], 0x0
	s_load_dword s14, s[4:5], 0xc
	v_lshrrev_b32_e32 v3, 3, v0
	v_mov_b32_e32 v1, 0
	s_waitcnt lgkmcnt(0)
	s_sub_i32 s2, s12, s14
	s_sub_i32 s13, s13, s14
	;; [unrolled: 1-line block ×3, first 2 shown]
	s_mul_i32 s7, s7, 6
	s_mul_i32 s3, s2, 36
	v_mul_lo_u32 v6, s7, v4
	s_add_i32 s7, s7, s15
	s_add_i32 s7, s7, s3
	s_mul_i32 s3, s6, 6
	v_add3_u32 v0, v4, s3, 1
	v_lshlrev_b64 v[8:9], 2, v[0:1]
	v_mov_b32_e32 v0, s1
	v_add_co_u32_e32 v8, vcc, s0, v8
	v_add_u32_e32 v2, s7, v6
	v_addc_co_u32_e32 v9, vcc, v0, v9, vcc
	global_store_dword v[8:9], v2, off
	v_add_u32_e32 v2, s2, v3
	v_cmp_gt_i32_e32 vcc, s13, v2
	s_and_b64 exec, exec, vcc
	s_cbranch_execz .LBB213_6
; %bb.4:
	s_load_dwordx2 s[2:3], s[4:5], 0x20
	s_load_dwordx2 s[6:7], s[4:5], 0x30
	s_load_dword s0, s[4:5], 0x0
	s_load_dwordx2 s[8:9], s[4:5], 0x10
	s_load_dwordx2 s[10:11], s[4:5], 0x40
	v_mul_u32_u24_e32 v9, 5, v4
	v_mul_u32_u24_e32 v0, 6, v3
	s_waitcnt lgkmcnt(0)
	s_cmp_eq_u32 s0, 0
	v_mad_u64_u32 v[4:5], s[0:1], v2, 36, v[4:5]
	s_mul_i32 s0, s12, 36
	v_add3_u32 v0, v6, s0, v0
	s_mul_i32 s0, s14, 36
	s_cselect_b64 vcc, -1, 0
	v_subrev_u32_e32 v6, s0, v0
	s_mov_b64 s[4:5], 0
	v_mov_b32_e32 v5, s3
	v_mov_b32_e32 v8, s15
	;; [unrolled: 1-line block ×5, first 2 shown]
.LBB213_5:                              ; =>This Inner Loop Header: Depth=1
	v_ashrrev_i32_e32 v3, 31, v2
	v_add_u32_e32 v7, v9, v4
	v_lshlrev_b64 v[14:15], 2, v[2:3]
	v_cndmask_b32_e32 v0, v4, v7, vcc
	v_add_co_u32_e64 v14, s[0:1], s2, v14
	v_add_u32_e32 v13, 6, v4
	v_add_u32_e32 v3, 1, v7
	v_addc_co_u32_e64 v15, s[0:1], v5, v15, s[0:1]
	v_lshlrev_b64 v[16:17], 3, v[0:1]
	v_cndmask_b32_e32 v0, v13, v3, vcc
	v_add_co_u32_e64 v18, s[0:1], s8, v16
	v_add_u32_e32 v20, 12, v4
	v_add_u32_e32 v21, 2, v7
	global_load_dword v3, v[14:15], off
	v_addc_co_u32_e64 v19, s[0:1], v11, v17, s[0:1]
	v_lshlrev_b64 v[14:15], 3, v[0:1]
	v_cndmask_b32_e32 v0, v20, v21, vcc
	v_add_co_u32_e64 v20, s[0:1], s8, v14
	v_add_u32_e32 v24, 18, v4
	v_add_u32_e32 v26, 3, v7
	v_addc_co_u32_e64 v21, s[0:1], v11, v15, s[0:1]
	v_lshlrev_b64 v[22:23], 3, v[0:1]
	v_cndmask_b32_e32 v0, v24, v26, vcc
	v_add_co_u32_e64 v22, s[0:1], s8, v22
	v_add_u32_e32 v25, 24, v4
	v_add_u32_e32 v27, 4, v7
	global_load_dwordx2 v[14:15], v[18:19], off
	global_load_dwordx2 v[16:17], v[20:21], off
	v_addc_co_u32_e64 v23, s[0:1], v11, v23, s[0:1]
	v_lshlrev_b64 v[18:19], 3, v[0:1]
	v_cndmask_b32_e32 v0, v25, v27, vcc
	v_add_co_u32_e64 v24, s[0:1], s8, v18
	v_add_u32_e32 v28, 30, v4
	v_add_u32_e32 v7, 5, v7
	v_addc_co_u32_e64 v25, s[0:1], v11, v19, s[0:1]
	v_lshlrev_b64 v[26:27], 3, v[0:1]
	v_cndmask_b32_e32 v0, v28, v7, vcc
	v_add_co_u32_e64 v26, s[0:1], s8, v26
	global_load_dwordx2 v[18:19], v[22:23], off
	global_load_dwordx2 v[20:21], v[24:25], off
	v_addc_co_u32_e64 v27, s[0:1], v11, v27, s[0:1]
	v_lshlrev_b64 v[22:23], 3, v[0:1]
	v_add_co_u32_e64 v28, s[0:1], s8, v22
	v_addc_co_u32_e64 v29, s[0:1], v11, v23, s[0:1]
	global_load_dwordx2 v[22:23], v[26:27], off
	global_load_dwordx2 v[24:25], v[28:29], off
	v_ashrrev_i32_e32 v7, 31, v6
	v_lshlrev_b64 v[26:27], 2, v[6:7]
	v_add_co_u32_e64 v30, s[0:1], s10, v26
	v_lshlrev_b64 v[28:29], 3, v[6:7]
	v_addc_co_u32_e64 v31, s[0:1], v10, v27, s[0:1]
	v_add_co_u32_e64 v32, s[0:1], s6, v28
	v_add_u32_e32 v2, 32, v2
	v_addc_co_u32_e64 v33, s[0:1], v12, v29, s[0:1]
	v_cmp_le_i32_e64 s[0:1], s13, v2
	s_or_b64 s[4:5], s[0:1], s[4:5]
	v_add_u32_e32 v4, 0x480, v4
	v_add_u32_e32 v6, 0xc0, v6
	s_waitcnt vmcnt(6)
	v_subrev_u32_e32 v0, s14, v3
	v_mad_u64_u32 v[26:27], s[0:1], v0, 6, v[8:9]
	v_add_u32_e32 v27, 1, v26
	v_add_u32_e32 v28, 2, v26
	;; [unrolled: 1-line block ×3, first 2 shown]
	s_waitcnt vmcnt(4)
	global_store_dwordx4 v[32:33], v[14:17], off
	s_nop 0
	v_add_u32_e32 v14, 4, v26
	v_add_u32_e32 v15, 5, v26
	global_store_dwordx4 v[30:31], v[26:29], off
	global_store_dwordx2 v[30:31], v[14:15], off offset:16
	s_waitcnt vmcnt(5)
	global_store_dwordx4 v[32:33], v[18:21], off offset:16
	s_waitcnt vmcnt(4)
	global_store_dwordx4 v[32:33], v[22:25], off offset:32
	s_andn2_b64 exec, exec, s[4:5]
	s_cbranch_execnz .LBB213_5
.LBB213_6:
	s_endpgm
	.section	.rodata,"a",@progbits
	.p2align	6, 0x0
	.amdhsa_kernel _ZN9rocsparseL32bsr2csr_block_per_row_2_7_kernelILj256ELj6EdiiEEv20rocsparse_direction_T3_S2_21rocsparse_index_base_PKT1_PKT2_PKS2_S2_S3_PS4_PS7_PS2_
		.amdhsa_group_segment_fixed_size 0
		.amdhsa_private_segment_fixed_size 0
		.amdhsa_kernarg_size 72
		.amdhsa_user_sgpr_count 6
		.amdhsa_user_sgpr_private_segment_buffer 1
		.amdhsa_user_sgpr_dispatch_ptr 0
		.amdhsa_user_sgpr_queue_ptr 0
		.amdhsa_user_sgpr_kernarg_segment_ptr 1
		.amdhsa_user_sgpr_dispatch_id 0
		.amdhsa_user_sgpr_flat_scratch_init 0
		.amdhsa_user_sgpr_kernarg_preload_length 0
		.amdhsa_user_sgpr_kernarg_preload_offset 0
		.amdhsa_user_sgpr_private_segment_size 0
		.amdhsa_uses_dynamic_stack 0
		.amdhsa_system_sgpr_private_segment_wavefront_offset 0
		.amdhsa_system_sgpr_workgroup_id_x 1
		.amdhsa_system_sgpr_workgroup_id_y 0
		.amdhsa_system_sgpr_workgroup_id_z 0
		.amdhsa_system_sgpr_workgroup_info 0
		.amdhsa_system_vgpr_workitem_id 0
		.amdhsa_next_free_vgpr 34
		.amdhsa_next_free_sgpr 16
		.amdhsa_accum_offset 36
		.amdhsa_reserve_vcc 1
		.amdhsa_reserve_flat_scratch 0
		.amdhsa_float_round_mode_32 0
		.amdhsa_float_round_mode_16_64 0
		.amdhsa_float_denorm_mode_32 3
		.amdhsa_float_denorm_mode_16_64 3
		.amdhsa_dx10_clamp 1
		.amdhsa_ieee_mode 1
		.amdhsa_fp16_overflow 0
		.amdhsa_tg_split 0
		.amdhsa_exception_fp_ieee_invalid_op 0
		.amdhsa_exception_fp_denorm_src 0
		.amdhsa_exception_fp_ieee_div_zero 0
		.amdhsa_exception_fp_ieee_overflow 0
		.amdhsa_exception_fp_ieee_underflow 0
		.amdhsa_exception_fp_ieee_inexact 0
		.amdhsa_exception_int_div_zero 0
	.end_amdhsa_kernel
	.section	.text._ZN9rocsparseL32bsr2csr_block_per_row_2_7_kernelILj256ELj6EdiiEEv20rocsparse_direction_T3_S2_21rocsparse_index_base_PKT1_PKT2_PKS2_S2_S3_PS4_PS7_PS2_,"axG",@progbits,_ZN9rocsparseL32bsr2csr_block_per_row_2_7_kernelILj256ELj6EdiiEEv20rocsparse_direction_T3_S2_21rocsparse_index_base_PKT1_PKT2_PKS2_S2_S3_PS4_PS7_PS2_,comdat
.Lfunc_end213:
	.size	_ZN9rocsparseL32bsr2csr_block_per_row_2_7_kernelILj256ELj6EdiiEEv20rocsparse_direction_T3_S2_21rocsparse_index_base_PKT1_PKT2_PKS2_S2_S3_PS4_PS7_PS2_, .Lfunc_end213-_ZN9rocsparseL32bsr2csr_block_per_row_2_7_kernelILj256ELj6EdiiEEv20rocsparse_direction_T3_S2_21rocsparse_index_base_PKT1_PKT2_PKS2_S2_S3_PS4_PS7_PS2_
                                        ; -- End function
	.section	.AMDGPU.csdata,"",@progbits
; Kernel info:
; codeLenInByte = 816
; NumSgprs: 20
; NumVgprs: 34
; NumAgprs: 0
; TotalNumVgprs: 34
; ScratchSize: 0
; MemoryBound: 0
; FloatMode: 240
; IeeeMode: 1
; LDSByteSize: 0 bytes/workgroup (compile time only)
; SGPRBlocks: 2
; VGPRBlocks: 4
; NumSGPRsForWavesPerEU: 20
; NumVGPRsForWavesPerEU: 34
; AccumOffset: 36
; Occupancy: 8
; WaveLimiterHint : 0
; COMPUTE_PGM_RSRC2:SCRATCH_EN: 0
; COMPUTE_PGM_RSRC2:USER_SGPR: 6
; COMPUTE_PGM_RSRC2:TRAP_HANDLER: 0
; COMPUTE_PGM_RSRC2:TGID_X_EN: 1
; COMPUTE_PGM_RSRC2:TGID_Y_EN: 0
; COMPUTE_PGM_RSRC2:TGID_Z_EN: 0
; COMPUTE_PGM_RSRC2:TIDIG_COMP_CNT: 0
; COMPUTE_PGM_RSRC3_GFX90A:ACCUM_OFFSET: 8
; COMPUTE_PGM_RSRC3_GFX90A:TG_SPLIT: 0
	.section	.text._ZN9rocsparseL32bsr2csr_block_per_row_2_7_kernelILj256ELj7EdiiEEv20rocsparse_direction_T3_S2_21rocsparse_index_base_PKT1_PKT2_PKS2_S2_S3_PS4_PS7_PS2_,"axG",@progbits,_ZN9rocsparseL32bsr2csr_block_per_row_2_7_kernelILj256ELj7EdiiEEv20rocsparse_direction_T3_S2_21rocsparse_index_base_PKT1_PKT2_PKS2_S2_S3_PS4_PS7_PS2_,comdat
	.globl	_ZN9rocsparseL32bsr2csr_block_per_row_2_7_kernelILj256ELj7EdiiEEv20rocsparse_direction_T3_S2_21rocsparse_index_base_PKT1_PKT2_PKS2_S2_S3_PS4_PS7_PS2_ ; -- Begin function _ZN9rocsparseL32bsr2csr_block_per_row_2_7_kernelILj256ELj7EdiiEEv20rocsparse_direction_T3_S2_21rocsparse_index_base_PKT1_PKT2_PKS2_S2_S3_PS4_PS7_PS2_
	.p2align	8
	.type	_ZN9rocsparseL32bsr2csr_block_per_row_2_7_kernelILj256ELj7EdiiEEv20rocsparse_direction_T3_S2_21rocsparse_index_base_PKT1_PKT2_PKS2_S2_S3_PS4_PS7_PS2_,@function
_ZN9rocsparseL32bsr2csr_block_per_row_2_7_kernelILj256ELj7EdiiEEv20rocsparse_direction_T3_S2_21rocsparse_index_base_PKT1_PKT2_PKS2_S2_S3_PS4_PS7_PS2_: ; @_ZN9rocsparseL32bsr2csr_block_per_row_2_7_kernelILj256ELj7EdiiEEv20rocsparse_direction_T3_S2_21rocsparse_index_base_PKT1_PKT2_PKS2_S2_S3_PS4_PS7_PS2_
; %bb.0:
	s_load_dwordx2 s[2:3], s[4:5], 0x18
	s_load_dword s15, s[4:5], 0x2c
	s_load_dwordx2 s[0:1], s[4:5], 0x38
	s_ashr_i32 s7, s6, 31
	s_lshl_b64 s[8:9], s[6:7], 2
	s_waitcnt lgkmcnt(0)
	s_add_u32 s2, s2, s8
	v_or_b32_e32 v1, s6, v0
	s_addc_u32 s3, s3, s9
	v_cmp_eq_u32_e32 vcc, 0, v1
	s_and_saveexec_b64 s[8:9], vcc
	s_cbranch_execz .LBB214_2
; %bb.1:
	v_mov_b32_e32 v1, 0
	v_mov_b32_e32 v2, s15
	global_store_dword v1, v2, s[0:1]
.LBB214_2:
	s_or_b64 exec, exec, s[8:9]
	v_and_b32_e32 v4, 7, v0
	v_cmp_ne_u32_e32 vcc, 7, v4
	s_and_saveexec_b64 s[8:9], vcc
	s_cbranch_execz .LBB214_6
; %bb.3:
	s_load_dwordx2 s[12:13], s[2:3], 0x0
	s_load_dword s14, s[4:5], 0xc
	v_lshrrev_b32_e32 v3, 3, v0
	v_mov_b32_e32 v1, 0
	s_waitcnt lgkmcnt(0)
	s_sub_i32 s2, s12, s14
	s_sub_i32 s13, s13, s14
	s_sub_i32 s7, s13, s2
	s_mul_i32 s7, s7, 7
	s_mul_i32 s3, s2, 49
	v_mul_lo_u32 v6, s7, v4
	s_add_i32 s7, s7, s15
	s_add_i32 s7, s7, s3
	s_mul_i32 s3, s6, 7
	v_add3_u32 v0, v4, s3, 1
	v_lshlrev_b64 v[8:9], 2, v[0:1]
	v_mov_b32_e32 v0, s1
	v_add_co_u32_e32 v8, vcc, s0, v8
	v_add_u32_e32 v2, s7, v6
	v_addc_co_u32_e32 v9, vcc, v0, v9, vcc
	global_store_dword v[8:9], v2, off
	v_add_u32_e32 v2, s2, v3
	v_cmp_gt_i32_e32 vcc, s13, v2
	s_and_b64 exec, exec, vcc
	s_cbranch_execz .LBB214_6
; %bb.4:
	s_load_dwordx2 s[2:3], s[4:5], 0x20
	s_load_dwordx2 s[6:7], s[4:5], 0x30
	s_load_dword s0, s[4:5], 0x0
	s_load_dwordx2 s[8:9], s[4:5], 0x10
	s_load_dwordx2 s[10:11], s[4:5], 0x40
	v_mul_u32_u24_e32 v9, 6, v4
	v_mul_u32_u24_e32 v0, 7, v3
	s_waitcnt lgkmcnt(0)
	s_cmp_eq_u32 s0, 0
	v_mad_u64_u32 v[4:5], s[0:1], v2, 49, v[4:5]
	s_mul_i32 s0, s12, 49
	v_add3_u32 v0, v6, s0, v0
	s_mul_i32 s0, s14, 49
	s_cselect_b64 vcc, -1, 0
	v_subrev_u32_e32 v6, s0, v0
	s_mov_b64 s[4:5], 0
	v_mov_b32_e32 v5, s3
	v_mov_b32_e32 v8, s15
	;; [unrolled: 1-line block ×5, first 2 shown]
.LBB214_5:                              ; =>This Inner Loop Header: Depth=1
	v_ashrrev_i32_e32 v3, 31, v2
	v_add_u32_e32 v7, v9, v4
	v_lshlrev_b64 v[14:15], 2, v[2:3]
	v_cndmask_b32_e32 v0, v4, v7, vcc
	v_add_co_u32_e64 v14, s[0:1], s2, v14
	v_add_u32_e32 v13, 7, v4
	v_add_u32_e32 v3, 1, v7
	v_addc_co_u32_e64 v15, s[0:1], v5, v15, s[0:1]
	v_lshlrev_b64 v[16:17], 3, v[0:1]
	v_cndmask_b32_e32 v0, v13, v3, vcc
	v_add_co_u32_e64 v18, s[0:1], s8, v16
	v_add_u32_e32 v20, 14, v4
	v_add_u32_e32 v21, 2, v7
	global_load_dword v3, v[14:15], off
	v_addc_co_u32_e64 v19, s[0:1], v11, v17, s[0:1]
	v_lshlrev_b64 v[14:15], 3, v[0:1]
	v_cndmask_b32_e32 v0, v20, v21, vcc
	v_add_co_u32_e64 v20, s[0:1], s8, v14
	v_add_u32_e32 v24, 21, v4
	v_add_u32_e32 v26, 3, v7
	v_addc_co_u32_e64 v21, s[0:1], v11, v15, s[0:1]
	v_lshlrev_b64 v[22:23], 3, v[0:1]
	v_cndmask_b32_e32 v0, v24, v26, vcc
	v_add_co_u32_e64 v22, s[0:1], s8, v22
	v_add_u32_e32 v25, 28, v4
	v_add_u32_e32 v27, 4, v7
	global_load_dwordx2 v[14:15], v[18:19], off
	global_load_dwordx2 v[16:17], v[20:21], off
	v_addc_co_u32_e64 v23, s[0:1], v11, v23, s[0:1]
	v_lshlrev_b64 v[18:19], 3, v[0:1]
	v_cndmask_b32_e32 v0, v25, v27, vcc
	v_add_co_u32_e64 v24, s[0:1], s8, v18
	v_add_u32_e32 v28, 35, v4
	v_add_u32_e32 v30, 5, v7
	v_addc_co_u32_e64 v25, s[0:1], v11, v19, s[0:1]
	v_lshlrev_b64 v[26:27], 3, v[0:1]
	v_cndmask_b32_e32 v0, v28, v30, vcc
	global_load_dwordx2 v[18:19], v[22:23], off
	global_load_dwordx2 v[20:21], v[24:25], off
	v_add_co_u32_e64 v22, s[0:1], s8, v26
	v_add_u32_e32 v29, 42, v4
	v_add_u32_e32 v7, 6, v7
	v_addc_co_u32_e64 v23, s[0:1], v11, v27, s[0:1]
	v_lshlrev_b64 v[24:25], 3, v[0:1]
	v_cndmask_b32_e32 v0, v29, v7, vcc
	v_add_co_u32_e64 v26, s[0:1], s8, v24
	v_addc_co_u32_e64 v27, s[0:1], v11, v25, s[0:1]
	v_lshlrev_b64 v[24:25], 3, v[0:1]
	v_add_co_u32_e64 v28, s[0:1], s8, v24
	global_load_dwordx2 v[22:23], v[22:23], off
	v_addc_co_u32_e64 v29, s[0:1], v11, v25, s[0:1]
	global_load_dwordx2 v[24:25], v[26:27], off
	global_load_dwordx2 v[30:31], v[28:29], off
	v_ashrrev_i32_e32 v7, 31, v6
	v_lshlrev_b64 v[26:27], 2, v[6:7]
	v_add_co_u32_e64 v32, s[0:1], s10, v26
	v_lshlrev_b64 v[28:29], 3, v[6:7]
	v_addc_co_u32_e64 v33, s[0:1], v10, v27, s[0:1]
	v_add_co_u32_e64 v34, s[0:1], s6, v28
	v_add_u32_e32 v2, 32, v2
	v_addc_co_u32_e64 v35, s[0:1], v12, v29, s[0:1]
	v_cmp_le_i32_e64 s[0:1], s13, v2
	s_or_b64 s[4:5], s[0:1], s[4:5]
	v_add_u32_e32 v4, 0x620, v4
	v_add_u32_e32 v6, 0xe0, v6
	s_waitcnt vmcnt(7)
	v_subrev_u32_e32 v0, s14, v3
	v_mad_u64_u32 v[26:27], s[0:1], v0, 7, v[8:9]
	v_add_u32_e32 v27, 1, v26
	v_add_u32_e32 v28, 2, v26
	v_add_u32_e32 v29, 3, v26
	s_waitcnt vmcnt(5)
	global_store_dwordx4 v[34:35], v[14:17], off
	s_nop 0
	v_add_u32_e32 v14, 4, v26
	v_add_u32_e32 v15, 5, v26
	;; [unrolled: 1-line block ×3, first 2 shown]
	global_store_dwordx4 v[32:33], v[26:29], off
	global_store_dwordx3 v[32:33], v[14:16], off offset:16
	s_waitcnt vmcnt(6)
	global_store_dwordx4 v[34:35], v[18:21], off offset:16
	s_waitcnt vmcnt(5)
	global_store_dwordx4 v[34:35], v[22:25], off offset:32
	s_waitcnt vmcnt(5)
	global_store_dwordx2 v[34:35], v[30:31], off offset:48
	s_andn2_b64 exec, exec, s[4:5]
	s_cbranch_execnz .LBB214_5
.LBB214_6:
	s_endpgm
	.section	.rodata,"a",@progbits
	.p2align	6, 0x0
	.amdhsa_kernel _ZN9rocsparseL32bsr2csr_block_per_row_2_7_kernelILj256ELj7EdiiEEv20rocsparse_direction_T3_S2_21rocsparse_index_base_PKT1_PKT2_PKS2_S2_S3_PS4_PS7_PS2_
		.amdhsa_group_segment_fixed_size 0
		.amdhsa_private_segment_fixed_size 0
		.amdhsa_kernarg_size 72
		.amdhsa_user_sgpr_count 6
		.amdhsa_user_sgpr_private_segment_buffer 1
		.amdhsa_user_sgpr_dispatch_ptr 0
		.amdhsa_user_sgpr_queue_ptr 0
		.amdhsa_user_sgpr_kernarg_segment_ptr 1
		.amdhsa_user_sgpr_dispatch_id 0
		.amdhsa_user_sgpr_flat_scratch_init 0
		.amdhsa_user_sgpr_kernarg_preload_length 0
		.amdhsa_user_sgpr_kernarg_preload_offset 0
		.amdhsa_user_sgpr_private_segment_size 0
		.amdhsa_uses_dynamic_stack 0
		.amdhsa_system_sgpr_private_segment_wavefront_offset 0
		.amdhsa_system_sgpr_workgroup_id_x 1
		.amdhsa_system_sgpr_workgroup_id_y 0
		.amdhsa_system_sgpr_workgroup_id_z 0
		.amdhsa_system_sgpr_workgroup_info 0
		.amdhsa_system_vgpr_workitem_id 0
		.amdhsa_next_free_vgpr 36
		.amdhsa_next_free_sgpr 16
		.amdhsa_accum_offset 36
		.amdhsa_reserve_vcc 1
		.amdhsa_reserve_flat_scratch 0
		.amdhsa_float_round_mode_32 0
		.amdhsa_float_round_mode_16_64 0
		.amdhsa_float_denorm_mode_32 3
		.amdhsa_float_denorm_mode_16_64 3
		.amdhsa_dx10_clamp 1
		.amdhsa_ieee_mode 1
		.amdhsa_fp16_overflow 0
		.amdhsa_tg_split 0
		.amdhsa_exception_fp_ieee_invalid_op 0
		.amdhsa_exception_fp_denorm_src 0
		.amdhsa_exception_fp_ieee_div_zero 0
		.amdhsa_exception_fp_ieee_overflow 0
		.amdhsa_exception_fp_ieee_underflow 0
		.amdhsa_exception_fp_ieee_inexact 0
		.amdhsa_exception_int_div_zero 0
	.end_amdhsa_kernel
	.section	.text._ZN9rocsparseL32bsr2csr_block_per_row_2_7_kernelILj256ELj7EdiiEEv20rocsparse_direction_T3_S2_21rocsparse_index_base_PKT1_PKT2_PKS2_S2_S3_PS4_PS7_PS2_,"axG",@progbits,_ZN9rocsparseL32bsr2csr_block_per_row_2_7_kernelILj256ELj7EdiiEEv20rocsparse_direction_T3_S2_21rocsparse_index_base_PKT1_PKT2_PKS2_S2_S3_PS4_PS7_PS2_,comdat
.Lfunc_end214:
	.size	_ZN9rocsparseL32bsr2csr_block_per_row_2_7_kernelILj256ELj7EdiiEEv20rocsparse_direction_T3_S2_21rocsparse_index_base_PKT1_PKT2_PKS2_S2_S3_PS4_PS7_PS2_, .Lfunc_end214-_ZN9rocsparseL32bsr2csr_block_per_row_2_7_kernelILj256ELj7EdiiEEv20rocsparse_direction_T3_S2_21rocsparse_index_base_PKT1_PKT2_PKS2_S2_S3_PS4_PS7_PS2_
                                        ; -- End function
	.section	.AMDGPU.csdata,"",@progbits
; Kernel info:
; codeLenInByte = 876
; NumSgprs: 20
; NumVgprs: 36
; NumAgprs: 0
; TotalNumVgprs: 36
; ScratchSize: 0
; MemoryBound: 0
; FloatMode: 240
; IeeeMode: 1
; LDSByteSize: 0 bytes/workgroup (compile time only)
; SGPRBlocks: 2
; VGPRBlocks: 4
; NumSGPRsForWavesPerEU: 20
; NumVGPRsForWavesPerEU: 36
; AccumOffset: 36
; Occupancy: 8
; WaveLimiterHint : 0
; COMPUTE_PGM_RSRC2:SCRATCH_EN: 0
; COMPUTE_PGM_RSRC2:USER_SGPR: 6
; COMPUTE_PGM_RSRC2:TRAP_HANDLER: 0
; COMPUTE_PGM_RSRC2:TGID_X_EN: 1
; COMPUTE_PGM_RSRC2:TGID_Y_EN: 0
; COMPUTE_PGM_RSRC2:TGID_Z_EN: 0
; COMPUTE_PGM_RSRC2:TIDIG_COMP_CNT: 0
; COMPUTE_PGM_RSRC3_GFX90A:ACCUM_OFFSET: 8
; COMPUTE_PGM_RSRC3_GFX90A:TG_SPLIT: 0
	.section	.text._ZN9rocsparseL33bsr2csr_block_per_row_8_32_kernelILj1024ELj8EdiiEEv20rocsparse_direction_T3_S2_21rocsparse_index_base_PKT1_PKT2_PKS2_S2_S3_PS4_PS7_PS2_,"axG",@progbits,_ZN9rocsparseL33bsr2csr_block_per_row_8_32_kernelILj1024ELj8EdiiEEv20rocsparse_direction_T3_S2_21rocsparse_index_base_PKT1_PKT2_PKS2_S2_S3_PS4_PS7_PS2_,comdat
	.globl	_ZN9rocsparseL33bsr2csr_block_per_row_8_32_kernelILj1024ELj8EdiiEEv20rocsparse_direction_T3_S2_21rocsparse_index_base_PKT1_PKT2_PKS2_S2_S3_PS4_PS7_PS2_ ; -- Begin function _ZN9rocsparseL33bsr2csr_block_per_row_8_32_kernelILj1024ELj8EdiiEEv20rocsparse_direction_T3_S2_21rocsparse_index_base_PKT1_PKT2_PKS2_S2_S3_PS4_PS7_PS2_
	.p2align	8
	.type	_ZN9rocsparseL33bsr2csr_block_per_row_8_32_kernelILj1024ELj8EdiiEEv20rocsparse_direction_T3_S2_21rocsparse_index_base_PKT1_PKT2_PKS2_S2_S3_PS4_PS7_PS2_,@function
_ZN9rocsparseL33bsr2csr_block_per_row_8_32_kernelILj1024ELj8EdiiEEv20rocsparse_direction_T3_S2_21rocsparse_index_base_PKT1_PKT2_PKS2_S2_S3_PS4_PS7_PS2_: ; @_ZN9rocsparseL33bsr2csr_block_per_row_8_32_kernelILj1024ELj8EdiiEEv20rocsparse_direction_T3_S2_21rocsparse_index_base_PKT1_PKT2_PKS2_S2_S3_PS4_PS7_PS2_
; %bb.0:
	s_load_dwordx2 s[8:9], s[4:5], 0x18
	s_load_dwordx2 s[0:1], s[4:5], 0x28
	;; [unrolled: 1-line block ×3, first 2 shown]
	s_ashr_i32 s7, s6, 31
	s_lshl_b64 s[10:11], s[6:7], 2
	s_waitcnt lgkmcnt(0)
	s_add_u32 s8, s8, s10
	v_or_b32_e32 v1, s6, v0
	s_addc_u32 s9, s9, s11
	v_cmp_eq_u32_e32 vcc, 0, v1
	s_and_saveexec_b64 s[10:11], vcc
	s_cbranch_execz .LBB215_2
; %bb.1:
	v_mov_b32_e32 v1, 0
	v_mov_b32_e32 v2, s1
	global_store_dword v1, v2, s[2:3]
.LBB215_2:
	s_or_b64 exec, exec, s[10:11]
	v_and_b32_e32 v6, 7, v0
	v_bfe_u32 v8, v0, 3, 3
	v_max_i32_e32 v1, v8, v6
	v_cmp_gt_i32_e32 vcc, s0, v1
	s_and_saveexec_b64 s[10:11], vcc
	s_cbranch_execz .LBB215_6
; %bb.3:
	s_load_dwordx2 s[10:11], s[8:9], 0x0
	s_load_dword s12, s[4:5], 0xc
	s_mul_i32 s6, s6, s0
	v_add_u32_e32 v2, s6, v8
	s_mul_i32 s15, s0, s0
	v_ashrrev_i32_e32 v3, 31, v2
	s_waitcnt lgkmcnt(0)
	s_sub_i32 s14, s10, s12
	s_sub_i32 s13, s11, s12
	;; [unrolled: 1-line block ×3, first 2 shown]
	s_mul_i32 s8, s16, s0
	v_lshrrev_b32_e32 v1, 6, v0
	s_mul_i32 s7, s14, s15
	v_mul_lo_u32 v0, s8, v8
	s_add_i32 s8, s8, s1
	v_lshlrev_b64 v[2:3], 2, v[2:3]
	s_add_i32 s8, s8, s7
	v_mov_b32_e32 v4, s3
	v_add_co_u32_e32 v2, vcc, s2, v2
	v_add_u32_e32 v0, s8, v0
	v_addc_co_u32_e32 v3, vcc, v4, v3, vcc
	global_store_dword v[2:3], v0, off offset:4
	v_add_u32_e32 v0, s14, v1
	v_cmp_gt_i32_e32 vcc, s13, v0
	s_and_b64 exec, exec, vcc
	s_cbranch_execz .LBB215_6
; %bb.4:
	s_load_dwordx2 s[2:3], s[4:5], 0x20
	s_load_dwordx2 s[6:7], s[4:5], 0x30
	s_load_dword s17, s[4:5], 0x0
	s_load_dwordx2 s[8:9], s[4:5], 0x10
	s_load_dwordx2 s[10:11], s[4:5], 0x40
	v_mad_u64_u32 v[4:5], s[4:5], v6, s0, v[8:9]
	s_waitcnt lgkmcnt(0)
	s_cmp_eq_u32 s17, 0
	v_mad_u64_u32 v[10:11], s[4:5], v8, s0, v[6:7]
	s_cselect_b64 vcc, -1, 0
	v_cndmask_b32_e32 v4, v4, v10, vcc
	v_mad_u64_u32 v[4:5], s[4:5], s15, v0, v[4:5]
	s_mul_i32 s4, s0, s14
	v_mul_lo_u32 v3, s16, v8
	v_add3_u32 v1, v1, s4, v3
	v_add_u32_e32 v2, s1, v6
	v_mad_u64_u32 v[6:7], s[4:5], s0, v1, v[6:7]
	s_lshl_b32 s1, s15, 4
	s_lshl_b32 s14, s0, 4
	s_mov_b64 s[4:5], 0
	v_mov_b32_e32 v3, s3
	v_mov_b32_e32 v8, s11
	;; [unrolled: 1-line block ×4, first 2 shown]
.LBB215_5:                              ; =>This Inner Loop Header: Depth=1
	v_ashrrev_i32_e32 v1, 31, v0
	v_lshlrev_b64 v[12:13], 2, v[0:1]
	v_add_co_u32_e32 v12, vcc, s2, v12
	v_addc_co_u32_e32 v13, vcc, v3, v13, vcc
	v_ashrrev_i32_e32 v5, 31, v4
	global_load_dword v1, v[12:13], off
	v_lshlrev_b64 v[12:13], 3, v[4:5]
	v_add_co_u32_e32 v12, vcc, s8, v12
	v_addc_co_u32_e32 v13, vcc, v9, v13, vcc
	global_load_dwordx2 v[12:13], v[12:13], off
	v_ashrrev_i32_e32 v7, 31, v6
	v_lshlrev_b64 v[14:15], 2, v[6:7]
	v_add_co_u32_e32 v14, vcc, s10, v14
	v_lshlrev_b64 v[16:17], 3, v[6:7]
	v_addc_co_u32_e32 v15, vcc, v8, v15, vcc
	v_add_co_u32_e32 v16, vcc, s6, v16
	v_add_u32_e32 v0, 16, v0
	v_addc_co_u32_e32 v17, vcc, v10, v17, vcc
	v_cmp_le_i32_e32 vcc, s13, v0
	v_add_u32_e32 v4, s1, v4
	s_or_b64 s[4:5], vcc, s[4:5]
	v_add_u32_e32 v6, s14, v6
	s_waitcnt vmcnt(1)
	v_subrev_u32_e32 v1, s12, v1
	s_waitcnt vmcnt(0)
	global_store_dwordx2 v[16:17], v[12:13], off
	v_mad_u64_u32 v[12:13], s[16:17], v1, s0, v[2:3]
	global_store_dword v[14:15], v12, off
	s_andn2_b64 exec, exec, s[4:5]
	s_cbranch_execnz .LBB215_5
.LBB215_6:
	s_endpgm
	.section	.rodata,"a",@progbits
	.p2align	6, 0x0
	.amdhsa_kernel _ZN9rocsparseL33bsr2csr_block_per_row_8_32_kernelILj1024ELj8EdiiEEv20rocsparse_direction_T3_S2_21rocsparse_index_base_PKT1_PKT2_PKS2_S2_S3_PS4_PS7_PS2_
		.amdhsa_group_segment_fixed_size 0
		.amdhsa_private_segment_fixed_size 0
		.amdhsa_kernarg_size 72
		.amdhsa_user_sgpr_count 6
		.amdhsa_user_sgpr_private_segment_buffer 1
		.amdhsa_user_sgpr_dispatch_ptr 0
		.amdhsa_user_sgpr_queue_ptr 0
		.amdhsa_user_sgpr_kernarg_segment_ptr 1
		.amdhsa_user_sgpr_dispatch_id 0
		.amdhsa_user_sgpr_flat_scratch_init 0
		.amdhsa_user_sgpr_kernarg_preload_length 0
		.amdhsa_user_sgpr_kernarg_preload_offset 0
		.amdhsa_user_sgpr_private_segment_size 0
		.amdhsa_uses_dynamic_stack 0
		.amdhsa_system_sgpr_private_segment_wavefront_offset 0
		.amdhsa_system_sgpr_workgroup_id_x 1
		.amdhsa_system_sgpr_workgroup_id_y 0
		.amdhsa_system_sgpr_workgroup_id_z 0
		.amdhsa_system_sgpr_workgroup_info 0
		.amdhsa_system_vgpr_workitem_id 0
		.amdhsa_next_free_vgpr 18
		.amdhsa_next_free_sgpr 18
		.amdhsa_accum_offset 20
		.amdhsa_reserve_vcc 1
		.amdhsa_reserve_flat_scratch 0
		.amdhsa_float_round_mode_32 0
		.amdhsa_float_round_mode_16_64 0
		.amdhsa_float_denorm_mode_32 3
		.amdhsa_float_denorm_mode_16_64 3
		.amdhsa_dx10_clamp 1
		.amdhsa_ieee_mode 1
		.amdhsa_fp16_overflow 0
		.amdhsa_tg_split 0
		.amdhsa_exception_fp_ieee_invalid_op 0
		.amdhsa_exception_fp_denorm_src 0
		.amdhsa_exception_fp_ieee_div_zero 0
		.amdhsa_exception_fp_ieee_overflow 0
		.amdhsa_exception_fp_ieee_underflow 0
		.amdhsa_exception_fp_ieee_inexact 0
		.amdhsa_exception_int_div_zero 0
	.end_amdhsa_kernel
	.section	.text._ZN9rocsparseL33bsr2csr_block_per_row_8_32_kernelILj1024ELj8EdiiEEv20rocsparse_direction_T3_S2_21rocsparse_index_base_PKT1_PKT2_PKS2_S2_S3_PS4_PS7_PS2_,"axG",@progbits,_ZN9rocsparseL33bsr2csr_block_per_row_8_32_kernelILj1024ELj8EdiiEEv20rocsparse_direction_T3_S2_21rocsparse_index_base_PKT1_PKT2_PKS2_S2_S3_PS4_PS7_PS2_,comdat
.Lfunc_end215:
	.size	_ZN9rocsparseL33bsr2csr_block_per_row_8_32_kernelILj1024ELj8EdiiEEv20rocsparse_direction_T3_S2_21rocsparse_index_base_PKT1_PKT2_PKS2_S2_S3_PS4_PS7_PS2_, .Lfunc_end215-_ZN9rocsparseL33bsr2csr_block_per_row_8_32_kernelILj1024ELj8EdiiEEv20rocsparse_direction_T3_S2_21rocsparse_index_base_PKT1_PKT2_PKS2_S2_S3_PS4_PS7_PS2_
                                        ; -- End function
	.section	.AMDGPU.csdata,"",@progbits
; Kernel info:
; codeLenInByte = 532
; NumSgprs: 22
; NumVgprs: 18
; NumAgprs: 0
; TotalNumVgprs: 18
; ScratchSize: 0
; MemoryBound: 0
; FloatMode: 240
; IeeeMode: 1
; LDSByteSize: 0 bytes/workgroup (compile time only)
; SGPRBlocks: 2
; VGPRBlocks: 2
; NumSGPRsForWavesPerEU: 22
; NumVGPRsForWavesPerEU: 18
; AccumOffset: 20
; Occupancy: 8
; WaveLimiterHint : 0
; COMPUTE_PGM_RSRC2:SCRATCH_EN: 0
; COMPUTE_PGM_RSRC2:USER_SGPR: 6
; COMPUTE_PGM_RSRC2:TRAP_HANDLER: 0
; COMPUTE_PGM_RSRC2:TGID_X_EN: 1
; COMPUTE_PGM_RSRC2:TGID_Y_EN: 0
; COMPUTE_PGM_RSRC2:TGID_Z_EN: 0
; COMPUTE_PGM_RSRC2:TIDIG_COMP_CNT: 0
; COMPUTE_PGM_RSRC3_GFX90A:ACCUM_OFFSET: 4
; COMPUTE_PGM_RSRC3_GFX90A:TG_SPLIT: 0
	.section	.text._ZN9rocsparseL33bsr2csr_block_per_row_8_32_kernelILj1024ELj16EdiiEEv20rocsparse_direction_T3_S2_21rocsparse_index_base_PKT1_PKT2_PKS2_S2_S3_PS4_PS7_PS2_,"axG",@progbits,_ZN9rocsparseL33bsr2csr_block_per_row_8_32_kernelILj1024ELj16EdiiEEv20rocsparse_direction_T3_S2_21rocsparse_index_base_PKT1_PKT2_PKS2_S2_S3_PS4_PS7_PS2_,comdat
	.globl	_ZN9rocsparseL33bsr2csr_block_per_row_8_32_kernelILj1024ELj16EdiiEEv20rocsparse_direction_T3_S2_21rocsparse_index_base_PKT1_PKT2_PKS2_S2_S3_PS4_PS7_PS2_ ; -- Begin function _ZN9rocsparseL33bsr2csr_block_per_row_8_32_kernelILj1024ELj16EdiiEEv20rocsparse_direction_T3_S2_21rocsparse_index_base_PKT1_PKT2_PKS2_S2_S3_PS4_PS7_PS2_
	.p2align	8
	.type	_ZN9rocsparseL33bsr2csr_block_per_row_8_32_kernelILj1024ELj16EdiiEEv20rocsparse_direction_T3_S2_21rocsparse_index_base_PKT1_PKT2_PKS2_S2_S3_PS4_PS7_PS2_,@function
_ZN9rocsparseL33bsr2csr_block_per_row_8_32_kernelILj1024ELj16EdiiEEv20rocsparse_direction_T3_S2_21rocsparse_index_base_PKT1_PKT2_PKS2_S2_S3_PS4_PS7_PS2_: ; @_ZN9rocsparseL33bsr2csr_block_per_row_8_32_kernelILj1024ELj16EdiiEEv20rocsparse_direction_T3_S2_21rocsparse_index_base_PKT1_PKT2_PKS2_S2_S3_PS4_PS7_PS2_
; %bb.0:
	s_load_dwordx2 s[8:9], s[4:5], 0x18
	s_load_dwordx2 s[0:1], s[4:5], 0x28
	;; [unrolled: 1-line block ×3, first 2 shown]
	s_ashr_i32 s7, s6, 31
	s_lshl_b64 s[10:11], s[6:7], 2
	s_waitcnt lgkmcnt(0)
	s_add_u32 s8, s8, s10
	v_or_b32_e32 v1, s6, v0
	s_addc_u32 s9, s9, s11
	v_cmp_eq_u32_e32 vcc, 0, v1
	s_and_saveexec_b64 s[10:11], vcc
	s_cbranch_execz .LBB216_2
; %bb.1:
	v_mov_b32_e32 v1, 0
	v_mov_b32_e32 v2, s1
	global_store_dword v1, v2, s[2:3]
.LBB216_2:
	s_or_b64 exec, exec, s[10:11]
	v_and_b32_e32 v6, 15, v0
	v_bfe_u32 v8, v0, 4, 4
	v_max_i32_e32 v1, v8, v6
	v_cmp_gt_i32_e32 vcc, s0, v1
	s_and_saveexec_b64 s[10:11], vcc
	s_cbranch_execz .LBB216_6
; %bb.3:
	s_load_dwordx2 s[10:11], s[8:9], 0x0
	s_load_dword s12, s[4:5], 0xc
	s_mul_i32 s6, s6, s0
	v_add_u32_e32 v2, s6, v8
	s_mul_i32 s15, s0, s0
	v_ashrrev_i32_e32 v3, 31, v2
	s_waitcnt lgkmcnt(0)
	s_sub_i32 s14, s10, s12
	s_sub_i32 s13, s11, s12
	;; [unrolled: 1-line block ×3, first 2 shown]
	s_mul_i32 s8, s16, s0
	v_lshrrev_b32_e32 v1, 8, v0
	s_mul_i32 s7, s14, s15
	v_mul_lo_u32 v0, s8, v8
	s_add_i32 s8, s8, s1
	v_lshlrev_b64 v[2:3], 2, v[2:3]
	s_add_i32 s8, s8, s7
	v_mov_b32_e32 v4, s3
	v_add_co_u32_e32 v2, vcc, s2, v2
	v_add_u32_e32 v0, s8, v0
	v_addc_co_u32_e32 v3, vcc, v4, v3, vcc
	global_store_dword v[2:3], v0, off offset:4
	v_add_u32_e32 v0, s14, v1
	v_cmp_gt_i32_e32 vcc, s13, v0
	s_and_b64 exec, exec, vcc
	s_cbranch_execz .LBB216_6
; %bb.4:
	s_load_dwordx2 s[2:3], s[4:5], 0x20
	s_load_dwordx2 s[6:7], s[4:5], 0x30
	s_load_dword s17, s[4:5], 0x0
	s_load_dwordx2 s[8:9], s[4:5], 0x10
	s_load_dwordx2 s[10:11], s[4:5], 0x40
	v_mad_u64_u32 v[4:5], s[4:5], v6, s0, v[8:9]
	s_waitcnt lgkmcnt(0)
	s_cmp_eq_u32 s17, 0
	v_mad_u64_u32 v[10:11], s[4:5], v8, s0, v[6:7]
	s_cselect_b64 vcc, -1, 0
	v_cndmask_b32_e32 v4, v4, v10, vcc
	v_mad_u64_u32 v[4:5], s[4:5], s15, v0, v[4:5]
	s_mul_i32 s4, s0, s14
	v_mul_lo_u32 v3, s16, v8
	v_add3_u32 v1, v1, s4, v3
	v_add_u32_e32 v2, s1, v6
	v_mad_u64_u32 v[6:7], s[4:5], s0, v1, v[6:7]
	s_lshl_b32 s1, s15, 2
	s_lshl_b32 s14, s0, 2
	s_mov_b64 s[4:5], 0
	v_mov_b32_e32 v3, s3
	v_mov_b32_e32 v8, s11
	;; [unrolled: 1-line block ×4, first 2 shown]
.LBB216_5:                              ; =>This Inner Loop Header: Depth=1
	v_ashrrev_i32_e32 v1, 31, v0
	v_lshlrev_b64 v[12:13], 2, v[0:1]
	v_add_co_u32_e32 v12, vcc, s2, v12
	v_addc_co_u32_e32 v13, vcc, v3, v13, vcc
	v_ashrrev_i32_e32 v5, 31, v4
	global_load_dword v1, v[12:13], off
	v_lshlrev_b64 v[12:13], 3, v[4:5]
	v_add_co_u32_e32 v12, vcc, s8, v12
	v_addc_co_u32_e32 v13, vcc, v9, v13, vcc
	global_load_dwordx2 v[12:13], v[12:13], off
	v_ashrrev_i32_e32 v7, 31, v6
	v_lshlrev_b64 v[14:15], 2, v[6:7]
	v_add_co_u32_e32 v14, vcc, s10, v14
	v_lshlrev_b64 v[16:17], 3, v[6:7]
	v_addc_co_u32_e32 v15, vcc, v8, v15, vcc
	v_add_co_u32_e32 v16, vcc, s6, v16
	v_add_u32_e32 v0, 4, v0
	v_addc_co_u32_e32 v17, vcc, v10, v17, vcc
	v_cmp_le_i32_e32 vcc, s13, v0
	v_add_u32_e32 v4, s1, v4
	s_or_b64 s[4:5], vcc, s[4:5]
	v_add_u32_e32 v6, s14, v6
	s_waitcnt vmcnt(1)
	v_subrev_u32_e32 v1, s12, v1
	s_waitcnt vmcnt(0)
	global_store_dwordx2 v[16:17], v[12:13], off
	v_mad_u64_u32 v[12:13], s[16:17], v1, s0, v[2:3]
	global_store_dword v[14:15], v12, off
	s_andn2_b64 exec, exec, s[4:5]
	s_cbranch_execnz .LBB216_5
.LBB216_6:
	s_endpgm
	.section	.rodata,"a",@progbits
	.p2align	6, 0x0
	.amdhsa_kernel _ZN9rocsparseL33bsr2csr_block_per_row_8_32_kernelILj1024ELj16EdiiEEv20rocsparse_direction_T3_S2_21rocsparse_index_base_PKT1_PKT2_PKS2_S2_S3_PS4_PS7_PS2_
		.amdhsa_group_segment_fixed_size 0
		.amdhsa_private_segment_fixed_size 0
		.amdhsa_kernarg_size 72
		.amdhsa_user_sgpr_count 6
		.amdhsa_user_sgpr_private_segment_buffer 1
		.amdhsa_user_sgpr_dispatch_ptr 0
		.amdhsa_user_sgpr_queue_ptr 0
		.amdhsa_user_sgpr_kernarg_segment_ptr 1
		.amdhsa_user_sgpr_dispatch_id 0
		.amdhsa_user_sgpr_flat_scratch_init 0
		.amdhsa_user_sgpr_kernarg_preload_length 0
		.amdhsa_user_sgpr_kernarg_preload_offset 0
		.amdhsa_user_sgpr_private_segment_size 0
		.amdhsa_uses_dynamic_stack 0
		.amdhsa_system_sgpr_private_segment_wavefront_offset 0
		.amdhsa_system_sgpr_workgroup_id_x 1
		.amdhsa_system_sgpr_workgroup_id_y 0
		.amdhsa_system_sgpr_workgroup_id_z 0
		.amdhsa_system_sgpr_workgroup_info 0
		.amdhsa_system_vgpr_workitem_id 0
		.amdhsa_next_free_vgpr 18
		.amdhsa_next_free_sgpr 18
		.amdhsa_accum_offset 20
		.amdhsa_reserve_vcc 1
		.amdhsa_reserve_flat_scratch 0
		.amdhsa_float_round_mode_32 0
		.amdhsa_float_round_mode_16_64 0
		.amdhsa_float_denorm_mode_32 3
		.amdhsa_float_denorm_mode_16_64 3
		.amdhsa_dx10_clamp 1
		.amdhsa_ieee_mode 1
		.amdhsa_fp16_overflow 0
		.amdhsa_tg_split 0
		.amdhsa_exception_fp_ieee_invalid_op 0
		.amdhsa_exception_fp_denorm_src 0
		.amdhsa_exception_fp_ieee_div_zero 0
		.amdhsa_exception_fp_ieee_overflow 0
		.amdhsa_exception_fp_ieee_underflow 0
		.amdhsa_exception_fp_ieee_inexact 0
		.amdhsa_exception_int_div_zero 0
	.end_amdhsa_kernel
	.section	.text._ZN9rocsparseL33bsr2csr_block_per_row_8_32_kernelILj1024ELj16EdiiEEv20rocsparse_direction_T3_S2_21rocsparse_index_base_PKT1_PKT2_PKS2_S2_S3_PS4_PS7_PS2_,"axG",@progbits,_ZN9rocsparseL33bsr2csr_block_per_row_8_32_kernelILj1024ELj16EdiiEEv20rocsparse_direction_T3_S2_21rocsparse_index_base_PKT1_PKT2_PKS2_S2_S3_PS4_PS7_PS2_,comdat
.Lfunc_end216:
	.size	_ZN9rocsparseL33bsr2csr_block_per_row_8_32_kernelILj1024ELj16EdiiEEv20rocsparse_direction_T3_S2_21rocsparse_index_base_PKT1_PKT2_PKS2_S2_S3_PS4_PS7_PS2_, .Lfunc_end216-_ZN9rocsparseL33bsr2csr_block_per_row_8_32_kernelILj1024ELj16EdiiEEv20rocsparse_direction_T3_S2_21rocsparse_index_base_PKT1_PKT2_PKS2_S2_S3_PS4_PS7_PS2_
                                        ; -- End function
	.section	.AMDGPU.csdata,"",@progbits
; Kernel info:
; codeLenInByte = 532
; NumSgprs: 22
; NumVgprs: 18
; NumAgprs: 0
; TotalNumVgprs: 18
; ScratchSize: 0
; MemoryBound: 0
; FloatMode: 240
; IeeeMode: 1
; LDSByteSize: 0 bytes/workgroup (compile time only)
; SGPRBlocks: 2
; VGPRBlocks: 2
; NumSGPRsForWavesPerEU: 22
; NumVGPRsForWavesPerEU: 18
; AccumOffset: 20
; Occupancy: 8
; WaveLimiterHint : 0
; COMPUTE_PGM_RSRC2:SCRATCH_EN: 0
; COMPUTE_PGM_RSRC2:USER_SGPR: 6
; COMPUTE_PGM_RSRC2:TRAP_HANDLER: 0
; COMPUTE_PGM_RSRC2:TGID_X_EN: 1
; COMPUTE_PGM_RSRC2:TGID_Y_EN: 0
; COMPUTE_PGM_RSRC2:TGID_Z_EN: 0
; COMPUTE_PGM_RSRC2:TIDIG_COMP_CNT: 0
; COMPUTE_PGM_RSRC3_GFX90A:ACCUM_OFFSET: 4
; COMPUTE_PGM_RSRC3_GFX90A:TG_SPLIT: 0
	.section	.text._ZN9rocsparseL33bsr2csr_block_per_row_8_32_kernelILj1024ELj32EdiiEEv20rocsparse_direction_T3_S2_21rocsparse_index_base_PKT1_PKT2_PKS2_S2_S3_PS4_PS7_PS2_,"axG",@progbits,_ZN9rocsparseL33bsr2csr_block_per_row_8_32_kernelILj1024ELj32EdiiEEv20rocsparse_direction_T3_S2_21rocsparse_index_base_PKT1_PKT2_PKS2_S2_S3_PS4_PS7_PS2_,comdat
	.globl	_ZN9rocsparseL33bsr2csr_block_per_row_8_32_kernelILj1024ELj32EdiiEEv20rocsparse_direction_T3_S2_21rocsparse_index_base_PKT1_PKT2_PKS2_S2_S3_PS4_PS7_PS2_ ; -- Begin function _ZN9rocsparseL33bsr2csr_block_per_row_8_32_kernelILj1024ELj32EdiiEEv20rocsparse_direction_T3_S2_21rocsparse_index_base_PKT1_PKT2_PKS2_S2_S3_PS4_PS7_PS2_
	.p2align	8
	.type	_ZN9rocsparseL33bsr2csr_block_per_row_8_32_kernelILj1024ELj32EdiiEEv20rocsparse_direction_T3_S2_21rocsparse_index_base_PKT1_PKT2_PKS2_S2_S3_PS4_PS7_PS2_,@function
_ZN9rocsparseL33bsr2csr_block_per_row_8_32_kernelILj1024ELj32EdiiEEv20rocsparse_direction_T3_S2_21rocsparse_index_base_PKT1_PKT2_PKS2_S2_S3_PS4_PS7_PS2_: ; @_ZN9rocsparseL33bsr2csr_block_per_row_8_32_kernelILj1024ELj32EdiiEEv20rocsparse_direction_T3_S2_21rocsparse_index_base_PKT1_PKT2_PKS2_S2_S3_PS4_PS7_PS2_
; %bb.0:
	s_load_dwordx2 s[2:3], s[4:5], 0x18
	s_load_dwordx2 s[0:1], s[4:5], 0x28
	;; [unrolled: 1-line block ×3, first 2 shown]
	s_ashr_i32 s7, s6, 31
	s_lshl_b64 s[10:11], s[6:7], 2
	s_waitcnt lgkmcnt(0)
	s_add_u32 s2, s2, s10
	v_or_b32_e32 v1, s6, v0
	s_addc_u32 s3, s3, s11
	v_cmp_eq_u32_e32 vcc, 0, v1
	s_and_saveexec_b64 s[10:11], vcc
	s_cbranch_execz .LBB217_2
; %bb.1:
	v_mov_b32_e32 v1, 0
	v_mov_b32_e32 v2, s1
	global_store_dword v1, v2, s[8:9]
.LBB217_2:
	s_or_b64 exec, exec, s[10:11]
	v_and_b32_e32 v2, 31, v0
	v_lshrrev_b32_e32 v4, 5, v0
	v_max_i32_e32 v0, v4, v2
	v_cmp_gt_i32_e32 vcc, s0, v0
	s_and_saveexec_b64 s[10:11], vcc
	s_cbranch_execz .LBB217_6
; %bb.3:
	s_load_dwordx2 s[10:11], s[2:3], 0x0
	s_load_dword s12, s[4:5], 0xc
	s_mul_i32 s13, s0, s0
	s_mul_i32 s6, s6, s0
	v_mov_b32_e32 v5, s9
	s_waitcnt lgkmcnt(0)
	s_sub_i32 s2, s10, s12
	s_sub_i32 s14, s11, s12
	;; [unrolled: 1-line block ×3, first 2 shown]
	s_mul_i32 s7, s3, s0
	s_mul_i32 s15, s2, s13
	v_mul_lo_u32 v0, s7, v4
	s_add_i32 s7, s7, s1
	s_add_i32 s7, s7, s15
	v_add_u32_e32 v3, s7, v0
	v_add_u32_e32 v0, s6, v4
	v_ashrrev_i32_e32 v1, 31, v0
	v_lshlrev_b64 v[0:1], 2, v[0:1]
	v_add_co_u32_e32 v0, vcc, s8, v0
	v_addc_co_u32_e32 v1, vcc, v5, v1, vcc
	s_cmp_ge_i32 s10, s11
	global_store_dword v[0:1], v3, off offset:4
	s_cbranch_scc1 .LBB217_6
; %bb.4:
	s_load_dwordx2 s[16:17], s[4:5], 0x20
	s_load_dwordx2 s[6:7], s[4:5], 0x30
	s_load_dword s18, s[4:5], 0x0
	s_load_dwordx2 s[8:9], s[4:5], 0x10
	s_load_dwordx2 s[10:11], s[4:5], 0x40
	v_add_u32_e32 v5, s1, v2
	v_mad_u64_u32 v[0:1], s[4:5], v2, s0, v[4:5]
	s_mul_i32 s1, s0, s2
	v_mul_lo_u32 v1, v4, s3
	s_waitcnt lgkmcnt(0)
	s_cmp_eq_u32 s18, 0
	v_add_u32_e32 v1, s1, v1
	v_mad_u64_u32 v[6:7], s[4:5], v4, s0, v[2:3]
	s_cselect_b64 vcc, -1, 0
	v_mad_u64_u32 v[2:3], s[4:5], s0, v1, v[2:3]
	s_ashr_i32 s3, s2, 31
	s_lshl_b64 s[4:5], s[2:3], 2
	v_cndmask_b32_e32 v0, v0, v6, vcc
	s_add_u32 s4, s16, s4
	v_add_u32_e32 v0, s15, v0
	s_addc_u32 s5, s17, s5
	v_mov_b32_e32 v4, s11
	v_mov_b32_e32 v6, s9
	;; [unrolled: 1-line block ×3, first 2 shown]
.LBB217_5:                              ; =>This Inner Loop Header: Depth=1
	v_ashrrev_i32_e32 v1, 31, v0
	v_lshlrev_b64 v[8:9], 3, v[0:1]
	v_add_co_u32_e32 v8, vcc, s8, v8
	v_addc_co_u32_e32 v9, vcc, v6, v9, vcc
	global_load_dwordx2 v[8:9], v[8:9], off
	s_load_dword s1, s[4:5], 0x0
	v_ashrrev_i32_e32 v3, 31, v2
	v_lshlrev_b64 v[10:11], 2, v[2:3]
	s_add_i32 s2, s2, 1
	v_add_co_u32_e32 v10, vcc, s10, v10
	s_waitcnt lgkmcnt(0)
	s_sub_i32 s1, s1, s12
	v_lshlrev_b64 v[12:13], 3, v[2:3]
	v_addc_co_u32_e32 v11, vcc, v4, v11, vcc
	s_add_u32 s4, s4, 4
	v_add_co_u32_e32 v12, vcc, s6, v12
	s_mul_i32 s1, s1, s0
	s_addc_u32 s5, s5, 0
	v_add_u32_e32 v0, s13, v0
	v_add_u32_e32 v2, s0, v2
	v_addc_co_u32_e32 v13, vcc, v7, v13, vcc
	v_add_u32_e32 v1, s1, v5
	s_cmp_lt_i32 s2, s14
	global_store_dword v[10:11], v1, off
	s_waitcnt vmcnt(1)
	global_store_dwordx2 v[12:13], v[8:9], off
	s_cbranch_scc1 .LBB217_5
.LBB217_6:
	s_endpgm
	.section	.rodata,"a",@progbits
	.p2align	6, 0x0
	.amdhsa_kernel _ZN9rocsparseL33bsr2csr_block_per_row_8_32_kernelILj1024ELj32EdiiEEv20rocsparse_direction_T3_S2_21rocsparse_index_base_PKT1_PKT2_PKS2_S2_S3_PS4_PS7_PS2_
		.amdhsa_group_segment_fixed_size 0
		.amdhsa_private_segment_fixed_size 0
		.amdhsa_kernarg_size 72
		.amdhsa_user_sgpr_count 6
		.amdhsa_user_sgpr_private_segment_buffer 1
		.amdhsa_user_sgpr_dispatch_ptr 0
		.amdhsa_user_sgpr_queue_ptr 0
		.amdhsa_user_sgpr_kernarg_segment_ptr 1
		.amdhsa_user_sgpr_dispatch_id 0
		.amdhsa_user_sgpr_flat_scratch_init 0
		.amdhsa_user_sgpr_kernarg_preload_length 0
		.amdhsa_user_sgpr_kernarg_preload_offset 0
		.amdhsa_user_sgpr_private_segment_size 0
		.amdhsa_uses_dynamic_stack 0
		.amdhsa_system_sgpr_private_segment_wavefront_offset 0
		.amdhsa_system_sgpr_workgroup_id_x 1
		.amdhsa_system_sgpr_workgroup_id_y 0
		.amdhsa_system_sgpr_workgroup_id_z 0
		.amdhsa_system_sgpr_workgroup_info 0
		.amdhsa_system_vgpr_workitem_id 0
		.amdhsa_next_free_vgpr 14
		.amdhsa_next_free_sgpr 19
		.amdhsa_accum_offset 16
		.amdhsa_reserve_vcc 1
		.amdhsa_reserve_flat_scratch 0
		.amdhsa_float_round_mode_32 0
		.amdhsa_float_round_mode_16_64 0
		.amdhsa_float_denorm_mode_32 3
		.amdhsa_float_denorm_mode_16_64 3
		.amdhsa_dx10_clamp 1
		.amdhsa_ieee_mode 1
		.amdhsa_fp16_overflow 0
		.amdhsa_tg_split 0
		.amdhsa_exception_fp_ieee_invalid_op 0
		.amdhsa_exception_fp_denorm_src 0
		.amdhsa_exception_fp_ieee_div_zero 0
		.amdhsa_exception_fp_ieee_overflow 0
		.amdhsa_exception_fp_ieee_underflow 0
		.amdhsa_exception_fp_ieee_inexact 0
		.amdhsa_exception_int_div_zero 0
	.end_amdhsa_kernel
	.section	.text._ZN9rocsparseL33bsr2csr_block_per_row_8_32_kernelILj1024ELj32EdiiEEv20rocsparse_direction_T3_S2_21rocsparse_index_base_PKT1_PKT2_PKS2_S2_S3_PS4_PS7_PS2_,"axG",@progbits,_ZN9rocsparseL33bsr2csr_block_per_row_8_32_kernelILj1024ELj32EdiiEEv20rocsparse_direction_T3_S2_21rocsparse_index_base_PKT1_PKT2_PKS2_S2_S3_PS4_PS7_PS2_,comdat
.Lfunc_end217:
	.size	_ZN9rocsparseL33bsr2csr_block_per_row_8_32_kernelILj1024ELj32EdiiEEv20rocsparse_direction_T3_S2_21rocsparse_index_base_PKT1_PKT2_PKS2_S2_S3_PS4_PS7_PS2_, .Lfunc_end217-_ZN9rocsparseL33bsr2csr_block_per_row_8_32_kernelILj1024ELj32EdiiEEv20rocsparse_direction_T3_S2_21rocsparse_index_base_PKT1_PKT2_PKS2_S2_S3_PS4_PS7_PS2_
                                        ; -- End function
	.section	.AMDGPU.csdata,"",@progbits
; Kernel info:
; codeLenInByte = 488
; NumSgprs: 23
; NumVgprs: 14
; NumAgprs: 0
; TotalNumVgprs: 14
; ScratchSize: 0
; MemoryBound: 0
; FloatMode: 240
; IeeeMode: 1
; LDSByteSize: 0 bytes/workgroup (compile time only)
; SGPRBlocks: 2
; VGPRBlocks: 1
; NumSGPRsForWavesPerEU: 23
; NumVGPRsForWavesPerEU: 14
; AccumOffset: 16
; Occupancy: 8
; WaveLimiterHint : 0
; COMPUTE_PGM_RSRC2:SCRATCH_EN: 0
; COMPUTE_PGM_RSRC2:USER_SGPR: 6
; COMPUTE_PGM_RSRC2:TRAP_HANDLER: 0
; COMPUTE_PGM_RSRC2:TGID_X_EN: 1
; COMPUTE_PGM_RSRC2:TGID_Y_EN: 0
; COMPUTE_PGM_RSRC2:TGID_Z_EN: 0
; COMPUTE_PGM_RSRC2:TIDIG_COMP_CNT: 0
; COMPUTE_PGM_RSRC3_GFX90A:ACCUM_OFFSET: 3
; COMPUTE_PGM_RSRC3_GFX90A:TG_SPLIT: 0
	.section	.text._ZN9rocsparseL35bsr2csr_block_per_row_33_256_kernelILj1024ELj64ELj32EdiiEEv20rocsparse_direction_T4_S2_21rocsparse_index_base_PKT2_PKT3_PKS2_S2_S3_PS4_PS7_PS2_,"axG",@progbits,_ZN9rocsparseL35bsr2csr_block_per_row_33_256_kernelILj1024ELj64ELj32EdiiEEv20rocsparse_direction_T4_S2_21rocsparse_index_base_PKT2_PKT3_PKS2_S2_S3_PS4_PS7_PS2_,comdat
	.globl	_ZN9rocsparseL35bsr2csr_block_per_row_33_256_kernelILj1024ELj64ELj32EdiiEEv20rocsparse_direction_T4_S2_21rocsparse_index_base_PKT2_PKT3_PKS2_S2_S3_PS4_PS7_PS2_ ; -- Begin function _ZN9rocsparseL35bsr2csr_block_per_row_33_256_kernelILj1024ELj64ELj32EdiiEEv20rocsparse_direction_T4_S2_21rocsparse_index_base_PKT2_PKT3_PKS2_S2_S3_PS4_PS7_PS2_
	.p2align	8
	.type	_ZN9rocsparseL35bsr2csr_block_per_row_33_256_kernelILj1024ELj64ELj32EdiiEEv20rocsparse_direction_T4_S2_21rocsparse_index_base_PKT2_PKT3_PKS2_S2_S3_PS4_PS7_PS2_,@function
_ZN9rocsparseL35bsr2csr_block_per_row_33_256_kernelILj1024ELj64ELj32EdiiEEv20rocsparse_direction_T4_S2_21rocsparse_index_base_PKT2_PKT3_PKS2_S2_S3_PS4_PS7_PS2_: ; @_ZN9rocsparseL35bsr2csr_block_per_row_33_256_kernelILj1024ELj64ELj32EdiiEEv20rocsparse_direction_T4_S2_21rocsparse_index_base_PKT2_PKT3_PKS2_S2_S3_PS4_PS7_PS2_
; %bb.0:
	s_load_dwordx2 s[0:1], s[4:5], 0x18
	s_load_dwordx2 s[8:9], s[4:5], 0x28
	;; [unrolled: 1-line block ×3, first 2 shown]
	s_ashr_i32 s7, s6, 31
	s_lshl_b64 s[2:3], s[6:7], 2
	s_waitcnt lgkmcnt(0)
	s_add_u32 s0, s0, s2
	s_addc_u32 s1, s1, s3
	s_load_dwordx2 s[22:23], s[0:1], 0x0
	v_or_b32_e32 v1, s6, v0
	v_cmp_eq_u32_e32 vcc, 0, v1
	s_and_saveexec_b64 s[0:1], vcc
	s_cbranch_execz .LBB218_2
; %bb.1:
	v_mov_b32_e32 v1, 0
	v_mov_b32_e32 v2, s9
	global_store_dword v1, v2, s[12:13]
.LBB218_2:
	s_or_b64 exec, exec, s[0:1]
	s_load_dword s24, s[4:5], 0xc
	v_lshrrev_b32_e32 v1, 5, v0
	s_mul_i32 s14, s6, s8
	s_waitcnt lgkmcnt(0)
	s_sub_i32 s10, s22, s24
	s_sub_i32 s25, s23, s24
	s_mul_i32 s11, s10, s8
	s_sub_i32 s18, s25, s10
	s_mul_i32 s0, s11, s8
	s_mul_i32 s15, s18, s8
	s_add_i32 s16, s0, s9
	s_add_i32 s16, s16, s15
	v_cmp_gt_i32_e64 s[0:1], s8, v1
	s_and_saveexec_b64 s[2:3], s[0:1]
	s_cbranch_execz .LBB218_4
; %bb.3:
	v_mul_lo_u32 v2, v1, s15
	v_add_u32_e32 v4, s16, v2
	v_add_u32_e32 v2, s14, v1
	v_ashrrev_i32_e32 v3, 31, v2
	v_lshlrev_b64 v[2:3], 2, v[2:3]
	v_mov_b32_e32 v5, s13
	v_add_co_u32_e32 v2, vcc, s12, v2
	v_addc_co_u32_e32 v3, vcc, v5, v3, vcc
	global_store_dword v[2:3], v4, off offset:4
.LBB218_4:
	s_or_b64 exec, exec, s[2:3]
	v_or_b32_e32 v2, 32, v1
	v_cmp_gt_i32_e64 s[2:3], s8, v2
	s_and_saveexec_b64 s[6:7], s[2:3]
	s_cbranch_execz .LBB218_6
; %bb.5:
	s_add_u32 s12, s12, 4
	s_addc_u32 s13, s13, 0
	v_mul_lo_u32 v2, v2, s15
	s_ashr_i32 s15, s14, 31
	v_add_u32_e32 v4, s16, v2
	v_mov_b32_e32 v3, s15
	v_add_co_u32_e32 v2, vcc, s14, v1
	v_addc_co_u32_e32 v3, vcc, 0, v3, vcc
	v_lshlrev_b64 v[2:3], 2, v[2:3]
	v_mov_b32_e32 v5, s13
	v_add_co_u32_e32 v2, vcc, s12, v2
	v_addc_co_u32_e32 v3, vcc, v5, v3, vcc
	global_store_dword v[2:3], v4, off offset:128
.LBB218_6:
	s_or_b64 exec, exec, s[6:7]
	s_cmp_lt_i32 s22, s23
	s_cbranch_scc0 .LBB218_17
; %bb.7:
	s_load_dwordx2 s[28:29], s[4:5], 0x20
	s_load_dwordx2 s[12:13], s[4:5], 0x30
	s_load_dword s6, s[4:5], 0x0
	s_load_dwordx2 s[14:15], s[4:5], 0x10
	s_load_dwordx2 s[16:17], s[4:5], 0x40
	v_and_b32_e32 v0, 31, v0
	v_mul_lo_u32 v7, v1, s18
	v_or_b32_e32 v2, 32, v0
	s_waitcnt lgkmcnt(0)
	s_cmp_eq_u32 s6, 0
	v_cmp_gt_i32_e64 s[4:5], s8, v0
	v_cmp_gt_i32_e64 s[6:7], s8, v2
	v_add_u32_e32 v8, s11, v7
	s_cselect_b64 vcc, -1, 0
	s_and_b64 s[18:19], s[0:1], s[4:5]
	s_and_b64 s[20:21], s[0:1], s[6:7]
	v_add_u32_e32 v4, s11, v1
	v_add_u32_e32 v6, s11, v0
	v_lshl_add_u32 v7, s23, 5, v8
	s_lshl_b32 s0, s22, 5
	s_ashr_i32 s11, s10, 31
	s_and_b64 s[4:5], s[2:3], s[4:5]
	s_and_b64 s[2:3], s[2:3], s[6:7]
	v_subrev_u32_e32 v7, s0, v7
	s_lshl_b64 s[0:1], s[10:11], 2
	v_add_u32_e32 v3, 32, v4
	v_add_u32_e32 v5, 32, v6
	s_add_u32 s6, s28, s0
	s_mul_i32 s26, s8, s8
	v_mul_lo_u32 v3, s8, v3
	v_mul_lo_u32 v4, s8, v4
	;; [unrolled: 1-line block ×6, first 2 shown]
	s_addc_u32 s7, s29, s1
	s_branch .LBB218_9
.LBB218_8:                              ;   in Loop: Header=BB218_9 Depth=1
	s_or_b64 exec, exec, s[22:23]
	s_add_i32 s10, s10, 1
	s_add_u32 s6, s6, 4
	s_addc_u32 s7, s7, 0
	v_add_u32_e32 v3, s26, v3
	v_add_u32_e32 v4, s26, v4
	;; [unrolled: 1-line block ×4, first 2 shown]
	s_cmp_ge_i32 s10, s25
	v_add_u32_e32 v8, s8, v8
	s_cbranch_scc1 .LBB218_17
.LBB218_9:                              ; =>This Inner Loop Header: Depth=1
	s_load_dword s0, s[6:7], 0x0
	s_waitcnt lgkmcnt(0)
	s_sub_i32 s0, s0, s24
	s_mul_i32 s11, s0, s8
	s_add_i32 s11, s11, s9
	v_add_u32_e32 v9, s11, v0
	s_and_saveexec_b64 s[22:23], s[18:19]
	s_cbranch_execz .LBB218_11
; %bb.10:                               ;   in Loop: Header=BB218_9 Depth=1
	v_add_u32_e32 v10, v0, v4
	v_add_u32_e32 v11, v6, v1
	v_cndmask_b32_e32 v10, v11, v10, vcc
	v_ashrrev_i32_e32 v11, 31, v10
	v_lshlrev_b64 v[10:11], 3, v[10:11]
	v_mov_b32_e32 v12, s15
	v_add_co_u32_e64 v10, s[0:1], s14, v10
	v_addc_co_u32_e64 v11, s[0:1], v12, v11, s[0:1]
	global_load_dwordx2 v[10:11], v[10:11], off
	v_add_u32_e32 v12, v0, v8
	v_ashrrev_i32_e32 v13, 31, v12
	v_lshlrev_b64 v[14:15], 2, v[12:13]
	v_mov_b32_e32 v16, s17
	v_add_co_u32_e64 v14, s[0:1], s16, v14
	v_addc_co_u32_e64 v15, s[0:1], v16, v15, s[0:1]
	v_lshlrev_b64 v[12:13], 3, v[12:13]
	global_store_dword v[14:15], v9, off
	v_mov_b32_e32 v14, s13
	v_add_co_u32_e64 v12, s[0:1], s12, v12
	v_addc_co_u32_e64 v13, s[0:1], v14, v13, s[0:1]
	s_waitcnt vmcnt(1)
	global_store_dwordx2 v[12:13], v[10:11], off
.LBB218_11:                             ;   in Loop: Header=BB218_9 Depth=1
	s_or_b64 exec, exec, s[22:23]
	v_add_u32_e32 v10, s11, v2
	v_add_u32_e32 v11, v5, v1
	s_and_saveexec_b64 s[22:23], s[20:21]
	s_cbranch_execnz .LBB218_14
; %bb.12:                               ;   in Loop: Header=BB218_9 Depth=1
	s_or_b64 exec, exec, s[22:23]
	v_add_u32_e32 v12, v0, v3
	s_and_saveexec_b64 s[22:23], s[4:5]
	s_cbranch_execnz .LBB218_15
.LBB218_13:                             ;   in Loop: Header=BB218_9 Depth=1
	s_or_b64 exec, exec, s[22:23]
	s_and_saveexec_b64 s[22:23], s[2:3]
	s_cbranch_execz .LBB218_8
	s_branch .LBB218_16
.LBB218_14:                             ;   in Loop: Header=BB218_9 Depth=1
	v_add3_u32 v12, v0, v4, 32
	v_cndmask_b32_e32 v12, v11, v12, vcc
	v_ashrrev_i32_e32 v13, 31, v12
	v_lshlrev_b64 v[12:13], 3, v[12:13]
	v_mov_b32_e32 v14, s15
	v_add_co_u32_e64 v12, s[0:1], s14, v12
	v_addc_co_u32_e64 v13, s[0:1], v14, v13, s[0:1]
	global_load_dwordx2 v[12:13], v[12:13], off
	v_add3_u32 v14, v0, v8, 32
	v_ashrrev_i32_e32 v15, 31, v14
	v_lshlrev_b64 v[16:17], 2, v[14:15]
	v_mov_b32_e32 v18, s17
	v_add_co_u32_e64 v16, s[0:1], s16, v16
	v_addc_co_u32_e64 v17, s[0:1], v18, v17, s[0:1]
	v_lshlrev_b64 v[14:15], 3, v[14:15]
	global_store_dword v[16:17], v10, off
	v_mov_b32_e32 v16, s13
	v_add_co_u32_e64 v14, s[0:1], s12, v14
	v_addc_co_u32_e64 v15, s[0:1], v16, v15, s[0:1]
	s_waitcnt vmcnt(1)
	global_store_dwordx2 v[14:15], v[12:13], off
	s_or_b64 exec, exec, s[22:23]
	v_add_u32_e32 v12, v0, v3
	s_and_saveexec_b64 s[22:23], s[4:5]
	s_cbranch_execz .LBB218_13
.LBB218_15:                             ;   in Loop: Header=BB218_9 Depth=1
	v_add3_u32 v13, v6, v1, 32
	v_cndmask_b32_e32 v14, v13, v12, vcc
	v_ashrrev_i32_e32 v15, 31, v14
	v_lshlrev_b64 v[14:15], 3, v[14:15]
	v_mov_b32_e32 v13, s15
	v_add_co_u32_e64 v14, s[0:1], s14, v14
	v_addc_co_u32_e64 v15, s[0:1], v13, v15, s[0:1]
	global_load_dwordx2 v[14:15], v[14:15], off
	v_add_u32_e32 v16, v0, v7
	v_ashrrev_i32_e32 v17, 31, v16
	v_lshlrev_b64 v[18:19], 2, v[16:17]
	v_mov_b32_e32 v13, s17
	v_add_co_u32_e64 v18, s[0:1], s16, v18
	v_addc_co_u32_e64 v19, s[0:1], v13, v19, s[0:1]
	v_lshlrev_b64 v[16:17], 3, v[16:17]
	global_store_dword v[18:19], v9, off
	v_mov_b32_e32 v9, s13
	v_add_co_u32_e64 v16, s[0:1], s12, v16
	v_addc_co_u32_e64 v17, s[0:1], v9, v17, s[0:1]
	s_waitcnt vmcnt(1)
	global_store_dwordx2 v[16:17], v[14:15], off
	s_or_b64 exec, exec, s[22:23]
	s_and_saveexec_b64 s[22:23], s[2:3]
	s_cbranch_execz .LBB218_8
.LBB218_16:                             ;   in Loop: Header=BB218_9 Depth=1
	v_cndmask_b32_e32 v9, v11, v12, vcc
	v_add_u32_e32 v12, 32, v9
	v_ashrrev_i32_e32 v13, 31, v12
	v_lshlrev_b64 v[12:13], 3, v[12:13]
	v_mov_b32_e32 v9, s15
	v_add_co_u32_e64 v12, s[0:1], s14, v12
	v_addc_co_u32_e64 v13, s[0:1], v9, v13, s[0:1]
	global_load_dwordx2 v[12:13], v[12:13], off
	v_add3_u32 v14, v0, v7, 32
	v_ashrrev_i32_e32 v15, 31, v14
	v_lshlrev_b64 v[16:17], 2, v[14:15]
	v_mov_b32_e32 v9, s17
	v_add_co_u32_e64 v16, s[0:1], s16, v16
	v_addc_co_u32_e64 v17, s[0:1], v9, v17, s[0:1]
	global_store_dword v[16:17], v10, off
	v_lshlrev_b64 v[10:11], 3, v[14:15]
	v_mov_b32_e32 v9, s13
	v_add_co_u32_e64 v10, s[0:1], s12, v10
	v_addc_co_u32_e64 v11, s[0:1], v9, v11, s[0:1]
	s_waitcnt vmcnt(1)
	global_store_dwordx2 v[10:11], v[12:13], off
	s_branch .LBB218_8
.LBB218_17:
	s_endpgm
	.section	.rodata,"a",@progbits
	.p2align	6, 0x0
	.amdhsa_kernel _ZN9rocsparseL35bsr2csr_block_per_row_33_256_kernelILj1024ELj64ELj32EdiiEEv20rocsparse_direction_T4_S2_21rocsparse_index_base_PKT2_PKT3_PKS2_S2_S3_PS4_PS7_PS2_
		.amdhsa_group_segment_fixed_size 0
		.amdhsa_private_segment_fixed_size 0
		.amdhsa_kernarg_size 72
		.amdhsa_user_sgpr_count 6
		.amdhsa_user_sgpr_private_segment_buffer 1
		.amdhsa_user_sgpr_dispatch_ptr 0
		.amdhsa_user_sgpr_queue_ptr 0
		.amdhsa_user_sgpr_kernarg_segment_ptr 1
		.amdhsa_user_sgpr_dispatch_id 0
		.amdhsa_user_sgpr_flat_scratch_init 0
		.amdhsa_user_sgpr_kernarg_preload_length 0
		.amdhsa_user_sgpr_kernarg_preload_offset 0
		.amdhsa_user_sgpr_private_segment_size 0
		.amdhsa_uses_dynamic_stack 0
		.amdhsa_system_sgpr_private_segment_wavefront_offset 0
		.amdhsa_system_sgpr_workgroup_id_x 1
		.amdhsa_system_sgpr_workgroup_id_y 0
		.amdhsa_system_sgpr_workgroup_id_z 0
		.amdhsa_system_sgpr_workgroup_info 0
		.amdhsa_system_vgpr_workitem_id 0
		.amdhsa_next_free_vgpr 20
		.amdhsa_next_free_sgpr 30
		.amdhsa_accum_offset 20
		.amdhsa_reserve_vcc 1
		.amdhsa_reserve_flat_scratch 0
		.amdhsa_float_round_mode_32 0
		.amdhsa_float_round_mode_16_64 0
		.amdhsa_float_denorm_mode_32 3
		.amdhsa_float_denorm_mode_16_64 3
		.amdhsa_dx10_clamp 1
		.amdhsa_ieee_mode 1
		.amdhsa_fp16_overflow 0
		.amdhsa_tg_split 0
		.amdhsa_exception_fp_ieee_invalid_op 0
		.amdhsa_exception_fp_denorm_src 0
		.amdhsa_exception_fp_ieee_div_zero 0
		.amdhsa_exception_fp_ieee_overflow 0
		.amdhsa_exception_fp_ieee_underflow 0
		.amdhsa_exception_fp_ieee_inexact 0
		.amdhsa_exception_int_div_zero 0
	.end_amdhsa_kernel
	.section	.text._ZN9rocsparseL35bsr2csr_block_per_row_33_256_kernelILj1024ELj64ELj32EdiiEEv20rocsparse_direction_T4_S2_21rocsparse_index_base_PKT2_PKT3_PKS2_S2_S3_PS4_PS7_PS2_,"axG",@progbits,_ZN9rocsparseL35bsr2csr_block_per_row_33_256_kernelILj1024ELj64ELj32EdiiEEv20rocsparse_direction_T4_S2_21rocsparse_index_base_PKT2_PKT3_PKS2_S2_S3_PS4_PS7_PS2_,comdat
.Lfunc_end218:
	.size	_ZN9rocsparseL35bsr2csr_block_per_row_33_256_kernelILj1024ELj64ELj32EdiiEEv20rocsparse_direction_T4_S2_21rocsparse_index_base_PKT2_PKT3_PKS2_S2_S3_PS4_PS7_PS2_, .Lfunc_end218-_ZN9rocsparseL35bsr2csr_block_per_row_33_256_kernelILj1024ELj64ELj32EdiiEEv20rocsparse_direction_T4_S2_21rocsparse_index_base_PKT2_PKT3_PKS2_S2_S3_PS4_PS7_PS2_
                                        ; -- End function
	.section	.AMDGPU.csdata,"",@progbits
; Kernel info:
; codeLenInByte = 1228
; NumSgprs: 34
; NumVgprs: 20
; NumAgprs: 0
; TotalNumVgprs: 20
; ScratchSize: 0
; MemoryBound: 0
; FloatMode: 240
; IeeeMode: 1
; LDSByteSize: 0 bytes/workgroup (compile time only)
; SGPRBlocks: 4
; VGPRBlocks: 2
; NumSGPRsForWavesPerEU: 34
; NumVGPRsForWavesPerEU: 20
; AccumOffset: 20
; Occupancy: 8
; WaveLimiterHint : 1
; COMPUTE_PGM_RSRC2:SCRATCH_EN: 0
; COMPUTE_PGM_RSRC2:USER_SGPR: 6
; COMPUTE_PGM_RSRC2:TRAP_HANDLER: 0
; COMPUTE_PGM_RSRC2:TGID_X_EN: 1
; COMPUTE_PGM_RSRC2:TGID_Y_EN: 0
; COMPUTE_PGM_RSRC2:TGID_Z_EN: 0
; COMPUTE_PGM_RSRC2:TIDIG_COMP_CNT: 0
; COMPUTE_PGM_RSRC3_GFX90A:ACCUM_OFFSET: 4
; COMPUTE_PGM_RSRC3_GFX90A:TG_SPLIT: 0
	.section	.text._ZN9rocsparseL35bsr2csr_block_per_row_33_256_kernelILj1024ELj128ELj32EdiiEEv20rocsparse_direction_T4_S2_21rocsparse_index_base_PKT2_PKT3_PKS2_S2_S3_PS4_PS7_PS2_,"axG",@progbits,_ZN9rocsparseL35bsr2csr_block_per_row_33_256_kernelILj1024ELj128ELj32EdiiEEv20rocsparse_direction_T4_S2_21rocsparse_index_base_PKT2_PKT3_PKS2_S2_S3_PS4_PS7_PS2_,comdat
	.globl	_ZN9rocsparseL35bsr2csr_block_per_row_33_256_kernelILj1024ELj128ELj32EdiiEEv20rocsparse_direction_T4_S2_21rocsparse_index_base_PKT2_PKT3_PKS2_S2_S3_PS4_PS7_PS2_ ; -- Begin function _ZN9rocsparseL35bsr2csr_block_per_row_33_256_kernelILj1024ELj128ELj32EdiiEEv20rocsparse_direction_T4_S2_21rocsparse_index_base_PKT2_PKT3_PKS2_S2_S3_PS4_PS7_PS2_
	.p2align	8
	.type	_ZN9rocsparseL35bsr2csr_block_per_row_33_256_kernelILj1024ELj128ELj32EdiiEEv20rocsparse_direction_T4_S2_21rocsparse_index_base_PKT2_PKT3_PKS2_S2_S3_PS4_PS7_PS2_,@function
_ZN9rocsparseL35bsr2csr_block_per_row_33_256_kernelILj1024ELj128ELj32EdiiEEv20rocsparse_direction_T4_S2_21rocsparse_index_base_PKT2_PKT3_PKS2_S2_S3_PS4_PS7_PS2_: ; @_ZN9rocsparseL35bsr2csr_block_per_row_33_256_kernelILj1024ELj128ELj32EdiiEEv20rocsparse_direction_T4_S2_21rocsparse_index_base_PKT2_PKT3_PKS2_S2_S3_PS4_PS7_PS2_
; %bb.0:
	s_load_dwordx2 s[0:1], s[4:5], 0x18
	s_load_dwordx2 s[16:17], s[4:5], 0x28
	;; [unrolled: 1-line block ×3, first 2 shown]
	s_ashr_i32 s7, s6, 31
	s_lshl_b64 s[8:9], s[6:7], 2
	s_waitcnt lgkmcnt(0)
	s_add_u32 s0, s0, s8
	s_addc_u32 s1, s1, s9
	s_load_dwordx2 s[48:49], s[0:1], 0x0
	v_or_b32_e32 v1, s6, v0
	v_cmp_eq_u32_e32 vcc, 0, v1
	s_and_saveexec_b64 s[0:1], vcc
	s_cbranch_execz .LBB219_2
; %bb.1:
	v_mov_b32_e32 v1, 0
	v_mov_b32_e32 v2, s17
	global_store_dword v1, v2, s[2:3]
.LBB219_2:
	s_or_b64 exec, exec, s[0:1]
	s_load_dword s33, s[4:5], 0xc
	v_lshrrev_b32_e32 v6, 5, v0
	s_mul_i32 s13, s6, s16
	s_waitcnt lgkmcnt(0)
	s_sub_i32 s18, s48, s33
	s_sub_i32 s50, s49, s33
	s_mul_i32 s19, s18, s16
	s_sub_i32 s12, s50, s18
	s_mul_i32 s0, s19, s16
	s_mul_i32 s14, s12, s16
	s_add_i32 s15, s0, s17
	s_add_i32 s15, s15, s14
	v_cmp_gt_i32_e64 s[0:1], s16, v6
	s_and_saveexec_b64 s[6:7], s[0:1]
	s_cbranch_execz .LBB219_4
; %bb.3:
	v_add_u32_e32 v2, s13, v6
	v_ashrrev_i32_e32 v3, 31, v2
	v_lshlrev_b64 v[2:3], 2, v[2:3]
	v_mul_lo_u32 v1, v6, s14
	v_mov_b32_e32 v4, s3
	v_add_co_u32_e32 v2, vcc, s2, v2
	v_add_u32_e32 v1, s15, v1
	v_addc_co_u32_e32 v3, vcc, v4, v3, vcc
	global_store_dword v[2:3], v1, off offset:4
.LBB219_4:
	s_or_b64 exec, exec, s[6:7]
	s_add_u32 s20, s2, 4
	v_or_b32_e32 v1, 32, v6
	s_addc_u32 s21, s3, 0
	v_cmp_gt_i32_e64 s[2:3], s16, v1
	s_and_saveexec_b64 s[6:7], s[2:3]
	s_cbranch_execz .LBB219_6
; %bb.5:
	s_ashr_i32 s8, s13, 31
	v_mov_b32_e32 v3, s8
	v_add_co_u32_e32 v2, vcc, s13, v6
	v_addc_co_u32_e32 v3, vcc, 0, v3, vcc
	v_lshlrev_b64 v[2:3], 2, v[2:3]
	v_mul_lo_u32 v1, v1, s14
	v_mov_b32_e32 v4, s21
	v_add_co_u32_e32 v2, vcc, s20, v2
	v_add_u32_e32 v1, s15, v1
	v_addc_co_u32_e32 v3, vcc, v4, v3, vcc
	global_store_dword v[2:3], v1, off offset:128
.LBB219_6:
	s_or_b64 exec, exec, s[6:7]
	v_or_b32_e32 v1, 64, v6
	v_cmp_gt_i32_e64 s[6:7], s16, v1
	s_and_saveexec_b64 s[8:9], s[6:7]
	s_cbranch_execz .LBB219_8
; %bb.7:
	s_ashr_i32 s10, s13, 31
	v_mov_b32_e32 v3, s10
	v_add_co_u32_e32 v2, vcc, s13, v6
	v_addc_co_u32_e32 v3, vcc, 0, v3, vcc
	v_lshlrev_b64 v[2:3], 2, v[2:3]
	v_mul_lo_u32 v1, v1, s14
	v_mov_b32_e32 v4, s21
	v_add_co_u32_e32 v2, vcc, s20, v2
	v_add_u32_e32 v1, s15, v1
	v_addc_co_u32_e32 v3, vcc, v4, v3, vcc
	global_store_dword v[2:3], v1, off offset:256
.LBB219_8:
	s_or_b64 exec, exec, s[8:9]
	v_or_b32_e32 v1, 0x60, v6
	v_cmp_gt_i32_e64 s[8:9], s16, v1
	s_and_saveexec_b64 s[10:11], s[8:9]
	s_cbranch_execz .LBB219_10
; %bb.9:
	v_mul_lo_u32 v1, v1, s14
	s_ashr_i32 s14, s13, 31
	v_mov_b32_e32 v3, s14
	v_add_co_u32_e32 v2, vcc, s13, v6
	v_addc_co_u32_e32 v3, vcc, 0, v3, vcc
	v_lshlrev_b64 v[2:3], 2, v[2:3]
	v_mov_b32_e32 v4, s21
	v_add_co_u32_e32 v2, vcc, s20, v2
	v_add_u32_e32 v1, s15, v1
	v_addc_co_u32_e32 v3, vcc, v4, v3, vcc
	global_store_dword v[2:3], v1, off offset:384
.LBB219_10:
	s_or_b64 exec, exec, s[10:11]
	s_cmp_lt_i32 s48, s49
	s_cbranch_scc0 .LBB219_45
; %bb.11:
	s_load_dwordx2 s[54:55], s[4:5], 0x20
	s_load_dwordx2 s[20:21], s[4:5], 0x30
	s_load_dwordx2 s[22:23], s[4:5], 0x10
	s_load_dword s10, s[4:5], 0x0
	s_load_dwordx2 s[24:25], s[4:5], 0x40
	v_and_b32_e32 v8, 31, v0
	v_add_u32_e32 v0, s19, v6
	v_add_u32_e32 v1, 32, v0
	v_or_b32_e32 v9, 32, v8
	v_or_b32_e32 v10, 64, v8
	;; [unrolled: 1-line block ×3, first 2 shown]
	v_mul_lo_u32 v12, s16, v1
	v_add_u32_e32 v1, 64, v0
	v_add_u32_e32 v7, s19, v8
	s_waitcnt lgkmcnt(0)
	s_cmp_eq_u32 s10, 0
	v_mul_lo_u32 v16, v6, s12
	v_cmp_gt_i32_e64 s[4:5], s16, v8
	v_cmp_gt_i32_e64 s[10:11], s16, v9
	;; [unrolled: 1-line block ×4, first 2 shown]
	v_mul_lo_u32 v13, s16, v1
	v_add_u32_e32 v1, 0x60, v0
	v_mul_lo_u32 v15, s16, v0
	v_add_u32_e32 v0, 0x60, v7
	s_cselect_b64 vcc, -1, 0
	s_and_b64 s[26:27], s[0:1], s[4:5]
	s_and_b64 s[28:29], s[0:1], s[10:11]
	;; [unrolled: 1-line block ×4, first 2 shown]
	v_mul_lo_u32 v14, s16, v1
	v_mad_u64_u32 v[0:1], s[0:1], s16, v0, v[6:7]
	v_add_u32_e32 v1, 64, v7
	v_mad_u64_u32 v[2:3], s[0:1], s16, v1, v[6:7]
	v_add_u32_e32 v1, 32, v7
	v_mad_u64_u32 v[4:5], s[0:1], s16, v1, v[6:7]
	v_mad_u64_u32 v[6:7], s[0:1], s16, v7, v[6:7]
	v_add_u32_e32 v7, s19, v16
	v_lshl_add_u32 v1, s49, 5, v7
	s_lshl_b32 s0, s48, 5
	v_subrev_u32_e32 v1, s0, v1
	v_lshl_add_u32 v3, s49, 6, v7
	s_lshl_b32 s0, s48, 6
	v_subrev_u32_e32 v3, s0, v3
	s_mul_i32 s0, s49, 0x60
	v_add_u32_e32 v5, s0, v7
	s_mul_i32 s0, s48, 0x60
	s_ashr_i32 s19, s18, 31
	s_and_b64 s[36:37], s[2:3], s[4:5]
	s_and_b64 s[38:39], s[2:3], s[10:11]
	s_and_b64 s[40:41], s[2:3], s[12:13]
	s_and_b64 s[2:3], s[2:3], s[14:15]
	s_and_b64 s[42:43], s[6:7], s[4:5]
	s_and_b64 s[44:45], s[6:7], s[10:11]
	s_and_b64 s[46:47], s[6:7], s[12:13]
	s_and_b64 s[6:7], s[6:7], s[14:15]
	s_and_b64 s[4:5], s[8:9], s[4:5]
	s_and_b64 s[10:11], s[8:9], s[10:11]
	s_and_b64 s[12:13], s[8:9], s[12:13]
	s_and_b64 s[8:9], s[8:9], s[14:15]
	v_subrev_u32_e32 v5, s0, v5
	s_lshl_b64 s[0:1], s[18:19], 2
	s_add_u32 s14, s54, s0
	s_mul_i32 s51, s16, s16
	s_mov_b32 s52, 0
	s_movk_i32 s53, 0x60
	v_mul_lo_u32 v1, s16, v1
	v_mul_lo_u32 v3, s16, v3
	;; [unrolled: 1-line block ×4, first 2 shown]
	s_addc_u32 s15, s55, s1
	s_branch .LBB219_13
.LBB219_12:                             ;   in Loop: Header=BB219_13 Depth=1
	s_or_b64 exec, exec, s[48:49]
	s_add_i32 s18, s18, 1
	s_add_i32 s52, s52, s51
	s_add_u32 s14, s14, 4
	s_addc_u32 s15, s15, 0
	v_add_u32_e32 v12, s51, v12
	v_add_u32_e32 v13, s51, v13
	;; [unrolled: 1-line block ×7, first 2 shown]
	s_cmp_ge_i32 s18, s50
	v_add_u32_e32 v7, s16, v7
	s_cbranch_scc1 .LBB219_45
.LBB219_13:                             ; =>This Inner Loop Header: Depth=1
	s_load_dword s0, s[14:15], 0x0
	v_add_u32_e32 v20, s52, v6
	s_waitcnt lgkmcnt(0)
	s_sub_i32 s0, s0, s33
	s_mul_i32 s19, s0, s16
	s_add_i32 s19, s19, s17
	v_add_u32_e32 v16, s19, v8
	s_and_saveexec_b64 s[48:49], s[26:27]
	s_cbranch_execz .LBB219_15
; %bb.14:                               ;   in Loop: Header=BB219_13 Depth=1
	v_add_u32_e32 v17, v8, v15
	v_cndmask_b32_e32 v18, v20, v17, vcc
	v_ashrrev_i32_e32 v19, 31, v18
	v_lshlrev_b64 v[18:19], 3, v[18:19]
	v_mov_b32_e32 v17, s23
	v_add_co_u32_e64 v18, s[0:1], s22, v18
	v_addc_co_u32_e64 v19, s[0:1], v17, v19, s[0:1]
	global_load_dwordx2 v[18:19], v[18:19], off
	v_add_u32_e32 v22, v8, v7
	v_ashrrev_i32_e32 v23, 31, v22
	v_lshlrev_b64 v[24:25], 2, v[22:23]
	v_mov_b32_e32 v17, s25
	v_add_co_u32_e64 v24, s[0:1], s24, v24
	v_addc_co_u32_e64 v25, s[0:1], v17, v25, s[0:1]
	v_lshlrev_b64 v[22:23], 3, v[22:23]
	v_mov_b32_e32 v17, s21
	v_add_co_u32_e64 v22, s[0:1], s20, v22
	v_addc_co_u32_e64 v23, s[0:1], v17, v23, s[0:1]
	global_store_dword v[24:25], v16, off
	s_waitcnt vmcnt(1)
	global_store_dwordx2 v[22:23], v[18:19], off
.LBB219_15:                             ;   in Loop: Header=BB219_13 Depth=1
	s_or_b64 exec, exec, s[48:49]
	v_add_u32_e32 v17, s19, v9
	v_add_u32_e32 v21, s52, v4
	s_and_saveexec_b64 s[48:49], s[28:29]
	s_cbranch_execz .LBB219_17
; %bb.16:                               ;   in Loop: Header=BB219_13 Depth=1
	v_add3_u32 v18, v8, v15, 32
	v_cndmask_b32_e32 v18, v21, v18, vcc
	v_ashrrev_i32_e32 v19, 31, v18
	v_lshlrev_b64 v[18:19], 3, v[18:19]
	v_mov_b32_e32 v22, s23
	v_add_co_u32_e64 v18, s[0:1], s22, v18
	v_addc_co_u32_e64 v19, s[0:1], v22, v19, s[0:1]
	global_load_dwordx2 v[18:19], v[18:19], off
	v_add3_u32 v22, v8, v7, 32
	v_ashrrev_i32_e32 v23, 31, v22
	v_lshlrev_b64 v[24:25], 2, v[22:23]
	v_mov_b32_e32 v26, s25
	v_add_co_u32_e64 v24, s[0:1], s24, v24
	v_addc_co_u32_e64 v25, s[0:1], v26, v25, s[0:1]
	v_lshlrev_b64 v[22:23], 3, v[22:23]
	global_store_dword v[24:25], v17, off
	v_mov_b32_e32 v24, s21
	v_add_co_u32_e64 v22, s[0:1], s20, v22
	v_addc_co_u32_e64 v23, s[0:1], v24, v23, s[0:1]
	s_waitcnt vmcnt(1)
	global_store_dwordx2 v[22:23], v[18:19], off
.LBB219_17:                             ;   in Loop: Header=BB219_13 Depth=1
	s_or_b64 exec, exec, s[48:49]
	v_add_u32_e32 v18, s19, v10
	v_add_u32_e32 v22, s52, v2
	s_and_saveexec_b64 s[48:49], s[30:31]
	s_cbranch_execz .LBB219_19
; %bb.18:                               ;   in Loop: Header=BB219_13 Depth=1
	v_add3_u32 v19, v8, v15, 64
	v_cndmask_b32_e32 v24, v22, v19, vcc
	v_ashrrev_i32_e32 v25, 31, v24
	v_lshlrev_b64 v[24:25], 3, v[24:25]
	v_mov_b32_e32 v19, s23
	v_add_co_u32_e64 v24, s[0:1], s22, v24
	v_addc_co_u32_e64 v25, s[0:1], v19, v25, s[0:1]
	global_load_dwordx2 v[24:25], v[24:25], off
	v_add3_u32 v26, v8, v7, 64
	v_ashrrev_i32_e32 v27, 31, v26
	v_lshlrev_b64 v[28:29], 2, v[26:27]
	v_mov_b32_e32 v19, s25
	v_add_co_u32_e64 v28, s[0:1], s24, v28
	v_addc_co_u32_e64 v29, s[0:1], v19, v29, s[0:1]
	v_lshlrev_b64 v[26:27], 3, v[26:27]
	v_mov_b32_e32 v19, s21
	v_add_co_u32_e64 v26, s[0:1], s20, v26
	v_addc_co_u32_e64 v27, s[0:1], v19, v27, s[0:1]
	global_store_dword v[28:29], v18, off
	s_waitcnt vmcnt(1)
	global_store_dwordx2 v[26:27], v[24:25], off
.LBB219_19:                             ;   in Loop: Header=BB219_13 Depth=1
	s_or_b64 exec, exec, s[48:49]
	v_add_u32_e32 v19, s19, v11
	v_add_u32_e32 v23, s52, v0
	s_and_saveexec_b64 s[48:49], s[34:35]
	s_cbranch_execnz .LBB219_32
; %bb.20:                               ;   in Loop: Header=BB219_13 Depth=1
	s_or_b64 exec, exec, s[48:49]
	v_add_u32_e32 v24, v8, v12
	s_and_saveexec_b64 s[48:49], s[36:37]
	s_cbranch_execnz .LBB219_33
.LBB219_21:                             ;   in Loop: Header=BB219_13 Depth=1
	s_or_b64 exec, exec, s[48:49]
	s_and_saveexec_b64 s[48:49], s[38:39]
	s_cbranch_execnz .LBB219_34
.LBB219_22:                             ;   in Loop: Header=BB219_13 Depth=1
	s_or_b64 exec, exec, s[48:49]
	s_and_saveexec_b64 s[48:49], s[40:41]
	s_cbranch_execnz .LBB219_35
.LBB219_23:                             ;   in Loop: Header=BB219_13 Depth=1
	s_or_b64 exec, exec, s[48:49]
	s_and_saveexec_b64 s[48:49], s[2:3]
	s_cbranch_execnz .LBB219_36
.LBB219_24:                             ;   in Loop: Header=BB219_13 Depth=1
	s_or_b64 exec, exec, s[48:49]
	v_add_u32_e32 v24, v8, v13
	s_and_saveexec_b64 s[48:49], s[42:43]
	s_cbranch_execnz .LBB219_37
.LBB219_25:                             ;   in Loop: Header=BB219_13 Depth=1
	s_or_b64 exec, exec, s[48:49]
	s_and_saveexec_b64 s[48:49], s[44:45]
	s_cbranch_execnz .LBB219_38
.LBB219_26:                             ;   in Loop: Header=BB219_13 Depth=1
	s_or_b64 exec, exec, s[48:49]
	s_and_saveexec_b64 s[48:49], s[46:47]
	s_cbranch_execnz .LBB219_39
.LBB219_27:                             ;   in Loop: Header=BB219_13 Depth=1
	s_or_b64 exec, exec, s[48:49]
	s_and_saveexec_b64 s[48:49], s[6:7]
	s_cbranch_execnz .LBB219_40
.LBB219_28:                             ;   in Loop: Header=BB219_13 Depth=1
	s_or_b64 exec, exec, s[48:49]
	v_add_u32_e32 v24, v8, v14
	s_and_saveexec_b64 s[48:49], s[4:5]
	s_cbranch_execnz .LBB219_41
.LBB219_29:                             ;   in Loop: Header=BB219_13 Depth=1
	s_or_b64 exec, exec, s[48:49]
	s_and_saveexec_b64 s[48:49], s[10:11]
	s_cbranch_execnz .LBB219_42
.LBB219_30:                             ;   in Loop: Header=BB219_13 Depth=1
	s_or_b64 exec, exec, s[48:49]
	s_and_saveexec_b64 s[48:49], s[12:13]
	s_cbranch_execnz .LBB219_43
.LBB219_31:                             ;   in Loop: Header=BB219_13 Depth=1
	s_or_b64 exec, exec, s[48:49]
	s_and_saveexec_b64 s[48:49], s[8:9]
	s_cbranch_execz .LBB219_12
	s_branch .LBB219_44
.LBB219_32:                             ;   in Loop: Header=BB219_13 Depth=1
	v_add3_u32 v24, v8, v15, s53
	v_cndmask_b32_e32 v24, v23, v24, vcc
	v_ashrrev_i32_e32 v25, 31, v24
	v_lshlrev_b64 v[24:25], 3, v[24:25]
	v_mov_b32_e32 v26, s23
	v_add_co_u32_e64 v24, s[0:1], s22, v24
	v_addc_co_u32_e64 v25, s[0:1], v26, v25, s[0:1]
	global_load_dwordx2 v[24:25], v[24:25], off
	v_add3_u32 v26, v8, v7, s53
	v_ashrrev_i32_e32 v27, 31, v26
	v_lshlrev_b64 v[28:29], 2, v[26:27]
	v_mov_b32_e32 v30, s25
	v_add_co_u32_e64 v28, s[0:1], s24, v28
	v_addc_co_u32_e64 v29, s[0:1], v30, v29, s[0:1]
	v_lshlrev_b64 v[26:27], 3, v[26:27]
	global_store_dword v[28:29], v19, off
	v_mov_b32_e32 v28, s21
	v_add_co_u32_e64 v26, s[0:1], s20, v26
	v_addc_co_u32_e64 v27, s[0:1], v28, v27, s[0:1]
	s_waitcnt vmcnt(1)
	global_store_dwordx2 v[26:27], v[24:25], off
	s_or_b64 exec, exec, s[48:49]
	v_add_u32_e32 v24, v8, v12
	s_and_saveexec_b64 s[48:49], s[36:37]
	s_cbranch_execz .LBB219_21
.LBB219_33:                             ;   in Loop: Header=BB219_13 Depth=1
	v_add3_u32 v25, v6, s52, 32
	v_cndmask_b32_e32 v26, v25, v24, vcc
	v_ashrrev_i32_e32 v27, 31, v26
	v_lshlrev_b64 v[26:27], 3, v[26:27]
	v_mov_b32_e32 v25, s23
	v_add_co_u32_e64 v26, s[0:1], s22, v26
	v_addc_co_u32_e64 v27, s[0:1], v25, v27, s[0:1]
	global_load_dwordx2 v[26:27], v[26:27], off
	v_add_u32_e32 v28, v8, v1
	v_ashrrev_i32_e32 v29, 31, v28
	v_lshlrev_b64 v[30:31], 2, v[28:29]
	v_mov_b32_e32 v25, s25
	v_add_co_u32_e64 v30, s[0:1], s24, v30
	v_addc_co_u32_e64 v31, s[0:1], v25, v31, s[0:1]
	v_lshlrev_b64 v[28:29], 3, v[28:29]
	v_mov_b32_e32 v25, s21
	v_add_co_u32_e64 v28, s[0:1], s20, v28
	v_addc_co_u32_e64 v29, s[0:1], v25, v29, s[0:1]
	global_store_dword v[30:31], v16, off
	s_waitcnt vmcnt(1)
	global_store_dwordx2 v[28:29], v[26:27], off
	s_or_b64 exec, exec, s[48:49]
	s_and_saveexec_b64 s[48:49], s[38:39]
	s_cbranch_execz .LBB219_22
.LBB219_34:                             ;   in Loop: Header=BB219_13 Depth=1
	v_cndmask_b32_e32 v24, v21, v24, vcc
	v_add_u32_e32 v24, 32, v24
	v_ashrrev_i32_e32 v25, 31, v24
	v_lshlrev_b64 v[24:25], 3, v[24:25]
	v_mov_b32_e32 v26, s23
	v_add_co_u32_e64 v24, s[0:1], s22, v24
	v_addc_co_u32_e64 v25, s[0:1], v26, v25, s[0:1]
	global_load_dwordx2 v[24:25], v[24:25], off
	v_add3_u32 v26, v8, v1, 32
	v_ashrrev_i32_e32 v27, 31, v26
	v_lshlrev_b64 v[28:29], 2, v[26:27]
	v_mov_b32_e32 v30, s25
	v_add_co_u32_e64 v28, s[0:1], s24, v28
	v_addc_co_u32_e64 v29, s[0:1], v30, v29, s[0:1]
	v_lshlrev_b64 v[26:27], 3, v[26:27]
	global_store_dword v[28:29], v17, off
	v_mov_b32_e32 v28, s21
	v_add_co_u32_e64 v26, s[0:1], s20, v26
	v_addc_co_u32_e64 v27, s[0:1], v28, v27, s[0:1]
	s_waitcnt vmcnt(1)
	global_store_dwordx2 v[26:27], v[24:25], off
	s_or_b64 exec, exec, s[48:49]
	s_and_saveexec_b64 s[48:49], s[40:41]
	s_cbranch_execz .LBB219_23
.LBB219_35:                             ;   in Loop: Header=BB219_13 Depth=1
	v_add3_u32 v24, v8, v12, 64
	v_add3_u32 v25, v2, s52, 32
	v_cndmask_b32_e32 v24, v25, v24, vcc
	v_ashrrev_i32_e32 v25, 31, v24
	v_lshlrev_b64 v[24:25], 3, v[24:25]
	v_mov_b32_e32 v26, s23
	v_add_co_u32_e64 v24, s[0:1], s22, v24
	v_addc_co_u32_e64 v25, s[0:1], v26, v25, s[0:1]
	global_load_dwordx2 v[24:25], v[24:25], off
	v_add3_u32 v26, v8, v1, 64
	v_ashrrev_i32_e32 v27, 31, v26
	v_lshlrev_b64 v[28:29], 2, v[26:27]
	v_mov_b32_e32 v30, s25
	v_add_co_u32_e64 v28, s[0:1], s24, v28
	v_addc_co_u32_e64 v29, s[0:1], v30, v29, s[0:1]
	v_lshlrev_b64 v[26:27], 3, v[26:27]
	global_store_dword v[28:29], v18, off
	v_mov_b32_e32 v28, s21
	v_add_co_u32_e64 v26, s[0:1], s20, v26
	v_addc_co_u32_e64 v27, s[0:1], v28, v27, s[0:1]
	s_waitcnt vmcnt(1)
	global_store_dwordx2 v[26:27], v[24:25], off
	s_or_b64 exec, exec, s[48:49]
	s_and_saveexec_b64 s[48:49], s[2:3]
	s_cbranch_execz .LBB219_24
.LBB219_36:                             ;   in Loop: Header=BB219_13 Depth=1
	v_add3_u32 v24, v8, v12, s53
	v_add3_u32 v25, v0, s52, 32
	v_cndmask_b32_e32 v24, v25, v24, vcc
	v_ashrrev_i32_e32 v25, 31, v24
	v_lshlrev_b64 v[24:25], 3, v[24:25]
	v_mov_b32_e32 v26, s23
	v_add_co_u32_e64 v24, s[0:1], s22, v24
	v_addc_co_u32_e64 v25, s[0:1], v26, v25, s[0:1]
	global_load_dwordx2 v[24:25], v[24:25], off
	v_add3_u32 v26, v8, v1, s53
	v_ashrrev_i32_e32 v27, 31, v26
	v_lshlrev_b64 v[28:29], 2, v[26:27]
	v_mov_b32_e32 v30, s25
	v_add_co_u32_e64 v28, s[0:1], s24, v28
	v_addc_co_u32_e64 v29, s[0:1], v30, v29, s[0:1]
	v_lshlrev_b64 v[26:27], 3, v[26:27]
	global_store_dword v[28:29], v19, off
	v_mov_b32_e32 v28, s21
	v_add_co_u32_e64 v26, s[0:1], s20, v26
	v_addc_co_u32_e64 v27, s[0:1], v28, v27, s[0:1]
	s_waitcnt vmcnt(1)
	global_store_dwordx2 v[26:27], v[24:25], off
	s_or_b64 exec, exec, s[48:49]
	v_add_u32_e32 v24, v8, v13
	s_and_saveexec_b64 s[48:49], s[42:43]
	s_cbranch_execz .LBB219_25
.LBB219_37:                             ;   in Loop: Header=BB219_13 Depth=1
	v_add3_u32 v25, v6, s52, 64
	v_cndmask_b32_e32 v26, v25, v24, vcc
	v_ashrrev_i32_e32 v27, 31, v26
	v_lshlrev_b64 v[26:27], 3, v[26:27]
	v_mov_b32_e32 v25, s23
	v_add_co_u32_e64 v26, s[0:1], s22, v26
	v_addc_co_u32_e64 v27, s[0:1], v25, v27, s[0:1]
	global_load_dwordx2 v[26:27], v[26:27], off
	v_add_u32_e32 v28, v8, v3
	v_ashrrev_i32_e32 v29, 31, v28
	v_lshlrev_b64 v[30:31], 2, v[28:29]
	v_mov_b32_e32 v25, s25
	v_add_co_u32_e64 v30, s[0:1], s24, v30
	v_addc_co_u32_e64 v31, s[0:1], v25, v31, s[0:1]
	v_lshlrev_b64 v[28:29], 3, v[28:29]
	v_mov_b32_e32 v25, s21
	v_add_co_u32_e64 v28, s[0:1], s20, v28
	v_addc_co_u32_e64 v29, s[0:1], v25, v29, s[0:1]
	global_store_dword v[30:31], v16, off
	s_waitcnt vmcnt(1)
	global_store_dwordx2 v[28:29], v[26:27], off
	s_or_b64 exec, exec, s[48:49]
	s_and_saveexec_b64 s[48:49], s[44:45]
	s_cbranch_execz .LBB219_26
.LBB219_38:                             ;   in Loop: Header=BB219_13 Depth=1
	v_add3_u32 v25, v8, v13, 32
	v_add3_u32 v26, v4, s52, 64
	v_cndmask_b32_e32 v26, v26, v25, vcc
	v_ashrrev_i32_e32 v27, 31, v26
	v_lshlrev_b64 v[26:27], 3, v[26:27]
	v_mov_b32_e32 v25, s23
	v_add_co_u32_e64 v26, s[0:1], s22, v26
	v_addc_co_u32_e64 v27, s[0:1], v25, v27, s[0:1]
	global_load_dwordx2 v[26:27], v[26:27], off
	v_add3_u32 v28, v8, v3, 32
	v_ashrrev_i32_e32 v29, 31, v28
	v_lshlrev_b64 v[30:31], 2, v[28:29]
	v_mov_b32_e32 v25, s25
	v_add_co_u32_e64 v30, s[0:1], s24, v30
	v_addc_co_u32_e64 v31, s[0:1], v25, v31, s[0:1]
	v_lshlrev_b64 v[28:29], 3, v[28:29]
	v_mov_b32_e32 v25, s21
	v_add_co_u32_e64 v28, s[0:1], s20, v28
	v_addc_co_u32_e64 v29, s[0:1], v25, v29, s[0:1]
	global_store_dword v[30:31], v17, off
	s_waitcnt vmcnt(1)
	global_store_dwordx2 v[28:29], v[26:27], off
	s_or_b64 exec, exec, s[48:49]
	s_and_saveexec_b64 s[48:49], s[46:47]
	s_cbranch_execz .LBB219_27
.LBB219_39:                             ;   in Loop: Header=BB219_13 Depth=1
	v_cndmask_b32_e32 v24, v22, v24, vcc
	v_add_u32_e32 v24, 64, v24
	v_ashrrev_i32_e32 v25, 31, v24
	v_lshlrev_b64 v[24:25], 3, v[24:25]
	v_mov_b32_e32 v26, s23
	v_add_co_u32_e64 v24, s[0:1], s22, v24
	v_addc_co_u32_e64 v25, s[0:1], v26, v25, s[0:1]
	global_load_dwordx2 v[24:25], v[24:25], off
	v_add3_u32 v26, v8, v3, 64
	v_ashrrev_i32_e32 v27, 31, v26
	v_lshlrev_b64 v[28:29], 2, v[26:27]
	v_mov_b32_e32 v30, s25
	v_add_co_u32_e64 v28, s[0:1], s24, v28
	v_addc_co_u32_e64 v29, s[0:1], v30, v29, s[0:1]
	v_lshlrev_b64 v[26:27], 3, v[26:27]
	global_store_dword v[28:29], v18, off
	v_mov_b32_e32 v28, s21
	v_add_co_u32_e64 v26, s[0:1], s20, v26
	v_addc_co_u32_e64 v27, s[0:1], v28, v27, s[0:1]
	s_waitcnt vmcnt(1)
	global_store_dwordx2 v[26:27], v[24:25], off
	s_or_b64 exec, exec, s[48:49]
	s_and_saveexec_b64 s[48:49], s[6:7]
	s_cbranch_execz .LBB219_28
.LBB219_40:                             ;   in Loop: Header=BB219_13 Depth=1
	v_add3_u32 v24, v8, v13, s53
	v_add3_u32 v25, v0, s52, 64
	v_cndmask_b32_e32 v24, v25, v24, vcc
	v_ashrrev_i32_e32 v25, 31, v24
	v_lshlrev_b64 v[24:25], 3, v[24:25]
	v_mov_b32_e32 v26, s23
	v_add_co_u32_e64 v24, s[0:1], s22, v24
	v_addc_co_u32_e64 v25, s[0:1], v26, v25, s[0:1]
	global_load_dwordx2 v[24:25], v[24:25], off
	v_add3_u32 v26, v8, v3, s53
	v_ashrrev_i32_e32 v27, 31, v26
	v_lshlrev_b64 v[28:29], 2, v[26:27]
	v_mov_b32_e32 v30, s25
	v_add_co_u32_e64 v28, s[0:1], s24, v28
	v_addc_co_u32_e64 v29, s[0:1], v30, v29, s[0:1]
	v_lshlrev_b64 v[26:27], 3, v[26:27]
	global_store_dword v[28:29], v19, off
	v_mov_b32_e32 v28, s21
	v_add_co_u32_e64 v26, s[0:1], s20, v26
	v_addc_co_u32_e64 v27, s[0:1], v28, v27, s[0:1]
	s_waitcnt vmcnt(1)
	global_store_dwordx2 v[26:27], v[24:25], off
	s_or_b64 exec, exec, s[48:49]
	v_add_u32_e32 v24, v8, v14
	s_and_saveexec_b64 s[48:49], s[4:5]
	s_cbranch_execz .LBB219_29
.LBB219_41:                             ;   in Loop: Header=BB219_13 Depth=1
	v_add_u32_e32 v20, 0x60, v20
	v_cndmask_b32_e32 v26, v20, v24, vcc
	v_ashrrev_i32_e32 v27, 31, v26
	v_lshlrev_b64 v[26:27], 3, v[26:27]
	v_mov_b32_e32 v20, s23
	v_add_co_u32_e64 v26, s[0:1], s22, v26
	v_addc_co_u32_e64 v27, s[0:1], v20, v27, s[0:1]
	global_load_dwordx2 v[26:27], v[26:27], off
	v_add_u32_e32 v28, v8, v5
	v_ashrrev_i32_e32 v29, 31, v28
	v_lshlrev_b64 v[30:31], 2, v[28:29]
	v_mov_b32_e32 v20, s25
	v_add_co_u32_e64 v30, s[0:1], s24, v30
	v_addc_co_u32_e64 v31, s[0:1], v20, v31, s[0:1]
	v_lshlrev_b64 v[28:29], 3, v[28:29]
	global_store_dword v[30:31], v16, off
	v_mov_b32_e32 v16, s21
	v_add_co_u32_e64 v28, s[0:1], s20, v28
	v_addc_co_u32_e64 v29, s[0:1], v16, v29, s[0:1]
	s_waitcnt vmcnt(1)
	global_store_dwordx2 v[28:29], v[26:27], off
	s_or_b64 exec, exec, s[48:49]
	s_and_saveexec_b64 s[48:49], s[10:11]
	s_cbranch_execz .LBB219_30
.LBB219_42:                             ;   in Loop: Header=BB219_13 Depth=1
	v_add3_u32 v16, v8, v14, 32
	v_add_u32_e32 v20, 0x60, v21
	v_cndmask_b32_e32 v20, v20, v16, vcc
	v_ashrrev_i32_e32 v21, 31, v20
	v_lshlrev_b64 v[20:21], 3, v[20:21]
	v_mov_b32_e32 v16, s23
	v_add_co_u32_e64 v20, s[0:1], s22, v20
	v_addc_co_u32_e64 v21, s[0:1], v16, v21, s[0:1]
	global_load_dwordx2 v[20:21], v[20:21], off
	v_add3_u32 v26, v8, v5, 32
	v_ashrrev_i32_e32 v27, 31, v26
	v_lshlrev_b64 v[28:29], 2, v[26:27]
	v_mov_b32_e32 v16, s25
	v_add_co_u32_e64 v28, s[0:1], s24, v28
	v_addc_co_u32_e64 v29, s[0:1], v16, v29, s[0:1]
	global_store_dword v[28:29], v17, off
	v_lshlrev_b64 v[16:17], 3, v[26:27]
	v_mov_b32_e32 v25, s21
	v_add_co_u32_e64 v16, s[0:1], s20, v16
	v_addc_co_u32_e64 v17, s[0:1], v25, v17, s[0:1]
	s_waitcnt vmcnt(1)
	global_store_dwordx2 v[16:17], v[20:21], off
	s_or_b64 exec, exec, s[48:49]
	s_and_saveexec_b64 s[48:49], s[12:13]
	s_cbranch_execz .LBB219_31
.LBB219_43:                             ;   in Loop: Header=BB219_13 Depth=1
	v_add3_u32 v16, v8, v14, 64
	v_add_u32_e32 v17, 0x60, v22
	v_cndmask_b32_e32 v16, v17, v16, vcc
	v_ashrrev_i32_e32 v17, 31, v16
	v_lshlrev_b64 v[16:17], 3, v[16:17]
	v_mov_b32_e32 v20, s23
	v_add_co_u32_e64 v16, s[0:1], s22, v16
	v_addc_co_u32_e64 v17, s[0:1], v20, v17, s[0:1]
	global_load_dwordx2 v[16:17], v[16:17], off
	v_add3_u32 v20, v8, v5, 64
	v_ashrrev_i32_e32 v21, 31, v20
	v_lshlrev_b64 v[26:27], 2, v[20:21]
	v_mov_b32_e32 v22, s25
	v_add_co_u32_e64 v26, s[0:1], s24, v26
	v_addc_co_u32_e64 v27, s[0:1], v22, v27, s[0:1]
	v_lshlrev_b64 v[20:21], 3, v[20:21]
	global_store_dword v[26:27], v18, off
	v_mov_b32_e32 v18, s21
	v_add_co_u32_e64 v20, s[0:1], s20, v20
	v_addc_co_u32_e64 v21, s[0:1], v18, v21, s[0:1]
	s_waitcnt vmcnt(1)
	global_store_dwordx2 v[20:21], v[16:17], off
	s_or_b64 exec, exec, s[48:49]
	s_and_saveexec_b64 s[48:49], s[8:9]
	s_cbranch_execz .LBB219_12
.LBB219_44:                             ;   in Loop: Header=BB219_13 Depth=1
	v_cndmask_b32_e32 v16, v23, v24, vcc
	v_add_u32_e32 v16, 0x60, v16
	v_ashrrev_i32_e32 v17, 31, v16
	v_lshlrev_b64 v[16:17], 3, v[16:17]
	v_mov_b32_e32 v18, s23
	v_add_co_u32_e64 v16, s[0:1], s22, v16
	v_addc_co_u32_e64 v17, s[0:1], v18, v17, s[0:1]
	global_load_dwordx2 v[16:17], v[16:17], off
	v_add3_u32 v20, v8, v5, s53
	v_ashrrev_i32_e32 v21, 31, v20
	v_lshlrev_b64 v[22:23], 2, v[20:21]
	v_mov_b32_e32 v18, s25
	v_add_co_u32_e64 v22, s[0:1], s24, v22
	v_addc_co_u32_e64 v23, s[0:1], v18, v23, s[0:1]
	global_store_dword v[22:23], v19, off
	v_lshlrev_b64 v[18:19], 3, v[20:21]
	v_mov_b32_e32 v20, s21
	v_add_co_u32_e64 v18, s[0:1], s20, v18
	v_addc_co_u32_e64 v19, s[0:1], v20, v19, s[0:1]
	s_waitcnt vmcnt(1)
	global_store_dwordx2 v[18:19], v[16:17], off
	s_branch .LBB219_12
.LBB219_45:
	s_endpgm
	.section	.rodata,"a",@progbits
	.p2align	6, 0x0
	.amdhsa_kernel _ZN9rocsparseL35bsr2csr_block_per_row_33_256_kernelILj1024ELj128ELj32EdiiEEv20rocsparse_direction_T4_S2_21rocsparse_index_base_PKT2_PKT3_PKS2_S2_S3_PS4_PS7_PS2_
		.amdhsa_group_segment_fixed_size 0
		.amdhsa_private_segment_fixed_size 0
		.amdhsa_kernarg_size 72
		.amdhsa_user_sgpr_count 6
		.amdhsa_user_sgpr_private_segment_buffer 1
		.amdhsa_user_sgpr_dispatch_ptr 0
		.amdhsa_user_sgpr_queue_ptr 0
		.amdhsa_user_sgpr_kernarg_segment_ptr 1
		.amdhsa_user_sgpr_dispatch_id 0
		.amdhsa_user_sgpr_flat_scratch_init 0
		.amdhsa_user_sgpr_kernarg_preload_length 0
		.amdhsa_user_sgpr_kernarg_preload_offset 0
		.amdhsa_user_sgpr_private_segment_size 0
		.amdhsa_uses_dynamic_stack 0
		.amdhsa_system_sgpr_private_segment_wavefront_offset 0
		.amdhsa_system_sgpr_workgroup_id_x 1
		.amdhsa_system_sgpr_workgroup_id_y 0
		.amdhsa_system_sgpr_workgroup_id_z 0
		.amdhsa_system_sgpr_workgroup_info 0
		.amdhsa_system_vgpr_workitem_id 0
		.amdhsa_next_free_vgpr 32
		.amdhsa_next_free_sgpr 56
		.amdhsa_accum_offset 32
		.amdhsa_reserve_vcc 1
		.amdhsa_reserve_flat_scratch 0
		.amdhsa_float_round_mode_32 0
		.amdhsa_float_round_mode_16_64 0
		.amdhsa_float_denorm_mode_32 3
		.amdhsa_float_denorm_mode_16_64 3
		.amdhsa_dx10_clamp 1
		.amdhsa_ieee_mode 1
		.amdhsa_fp16_overflow 0
		.amdhsa_tg_split 0
		.amdhsa_exception_fp_ieee_invalid_op 0
		.amdhsa_exception_fp_denorm_src 0
		.amdhsa_exception_fp_ieee_div_zero 0
		.amdhsa_exception_fp_ieee_overflow 0
		.amdhsa_exception_fp_ieee_underflow 0
		.amdhsa_exception_fp_ieee_inexact 0
		.amdhsa_exception_int_div_zero 0
	.end_amdhsa_kernel
	.section	.text._ZN9rocsparseL35bsr2csr_block_per_row_33_256_kernelILj1024ELj128ELj32EdiiEEv20rocsparse_direction_T4_S2_21rocsparse_index_base_PKT2_PKT3_PKS2_S2_S3_PS4_PS7_PS2_,"axG",@progbits,_ZN9rocsparseL35bsr2csr_block_per_row_33_256_kernelILj1024ELj128ELj32EdiiEEv20rocsparse_direction_T4_S2_21rocsparse_index_base_PKT2_PKT3_PKS2_S2_S3_PS4_PS7_PS2_,comdat
.Lfunc_end219:
	.size	_ZN9rocsparseL35bsr2csr_block_per_row_33_256_kernelILj1024ELj128ELj32EdiiEEv20rocsparse_direction_T4_S2_21rocsparse_index_base_PKT2_PKT3_PKS2_S2_S3_PS4_PS7_PS2_, .Lfunc_end219-_ZN9rocsparseL35bsr2csr_block_per_row_33_256_kernelILj1024ELj128ELj32EdiiEEv20rocsparse_direction_T4_S2_21rocsparse_index_base_PKT2_PKT3_PKS2_S2_S3_PS4_PS7_PS2_
                                        ; -- End function
	.section	.AMDGPU.csdata,"",@progbits
; Kernel info:
; codeLenInByte = 3616
; NumSgprs: 60
; NumVgprs: 32
; NumAgprs: 0
; TotalNumVgprs: 32
; ScratchSize: 0
; MemoryBound: 0
; FloatMode: 240
; IeeeMode: 1
; LDSByteSize: 0 bytes/workgroup (compile time only)
; SGPRBlocks: 7
; VGPRBlocks: 3
; NumSGPRsForWavesPerEU: 60
; NumVGPRsForWavesPerEU: 32
; AccumOffset: 32
; Occupancy: 8
; WaveLimiterHint : 1
; COMPUTE_PGM_RSRC2:SCRATCH_EN: 0
; COMPUTE_PGM_RSRC2:USER_SGPR: 6
; COMPUTE_PGM_RSRC2:TRAP_HANDLER: 0
; COMPUTE_PGM_RSRC2:TGID_X_EN: 1
; COMPUTE_PGM_RSRC2:TGID_Y_EN: 0
; COMPUTE_PGM_RSRC2:TGID_Z_EN: 0
; COMPUTE_PGM_RSRC2:TIDIG_COMP_CNT: 0
; COMPUTE_PGM_RSRC3_GFX90A:ACCUM_OFFSET: 7
; COMPUTE_PGM_RSRC3_GFX90A:TG_SPLIT: 0
	.section	.text._ZN9rocsparseL35bsr2csr_block_per_row_33_256_kernelILj1024ELj256ELj32EdiiEEv20rocsparse_direction_T4_S2_21rocsparse_index_base_PKT2_PKT3_PKS2_S2_S3_PS4_PS7_PS2_,"axG",@progbits,_ZN9rocsparseL35bsr2csr_block_per_row_33_256_kernelILj1024ELj256ELj32EdiiEEv20rocsparse_direction_T4_S2_21rocsparse_index_base_PKT2_PKT3_PKS2_S2_S3_PS4_PS7_PS2_,comdat
	.globl	_ZN9rocsparseL35bsr2csr_block_per_row_33_256_kernelILj1024ELj256ELj32EdiiEEv20rocsparse_direction_T4_S2_21rocsparse_index_base_PKT2_PKT3_PKS2_S2_S3_PS4_PS7_PS2_ ; -- Begin function _ZN9rocsparseL35bsr2csr_block_per_row_33_256_kernelILj1024ELj256ELj32EdiiEEv20rocsparse_direction_T4_S2_21rocsparse_index_base_PKT2_PKT3_PKS2_S2_S3_PS4_PS7_PS2_
	.p2align	8
	.type	_ZN9rocsparseL35bsr2csr_block_per_row_33_256_kernelILj1024ELj256ELj32EdiiEEv20rocsparse_direction_T4_S2_21rocsparse_index_base_PKT2_PKT3_PKS2_S2_S3_PS4_PS7_PS2_,@function
_ZN9rocsparseL35bsr2csr_block_per_row_33_256_kernelILj1024ELj256ELj32EdiiEEv20rocsparse_direction_T4_S2_21rocsparse_index_base_PKT2_PKT3_PKS2_S2_S3_PS4_PS7_PS2_: ; @_ZN9rocsparseL35bsr2csr_block_per_row_33_256_kernelILj1024ELj256ELj32EdiiEEv20rocsparse_direction_T4_S2_21rocsparse_index_base_PKT2_PKT3_PKS2_S2_S3_PS4_PS7_PS2_
; %bb.0:
	s_load_dwordx2 s[0:1], s[4:5], 0x18
	s_load_dwordx2 s[36:37], s[4:5], 0x28
	;; [unrolled: 1-line block ×3, first 2 shown]
	s_ashr_i32 s7, s6, 31
	s_lshl_b64 s[8:9], s[6:7], 2
	s_waitcnt lgkmcnt(0)
	s_add_u32 s0, s0, s8
	s_addc_u32 s1, s1, s9
	s_load_dwordx2 s[88:89], s[0:1], 0x0
	v_or_b32_e32 v1, s6, v0
	v_cmp_eq_u32_e32 vcc, 0, v1
	s_and_saveexec_b64 s[0:1], vcc
	s_cbranch_execz .LBB220_2
; %bb.1:
	v_mov_b32_e32 v1, 0
	v_mov_b32_e32 v2, s37
	global_store_dword v1, v2, s[2:3]
.LBB220_2:
	s_or_b64 exec, exec, s[0:1]
	s_load_dword s0, s[4:5], 0xc
                                        ; implicit-def: $vgpr57 : SGPR spill to VGPR lane
	v_lshrrev_b32_e32 v18, 5, v0
	s_mul_i32 s20, s6, s36
	s_waitcnt lgkmcnt(0)
	s_sub_i32 s38, s88, s0
	v_writelane_b32 v57, s0, 0
	s_sub_i32 s0, s89, s0
	s_mul_i32 s33, s38, s36
	s_mov_b32 s95, s0
	s_sub_i32 s90, s0, s38
	s_mul_i32 s0, s33, s36
	s_mul_i32 s21, s90, s36
	s_add_i32 s22, s0, s37
	s_add_i32 s22, s22, s21
	v_cmp_gt_i32_e64 s[0:1], s36, v18
	s_and_saveexec_b64 s[6:7], s[0:1]
	s_cbranch_execz .LBB220_4
; %bb.3:
	v_add_u32_e32 v2, s20, v18
	v_ashrrev_i32_e32 v3, 31, v2
	v_lshlrev_b64 v[2:3], 2, v[2:3]
	v_mul_lo_u32 v1, v18, s21
	v_mov_b32_e32 v4, s3
	v_add_co_u32_e32 v2, vcc, s2, v2
	v_add_u32_e32 v1, s22, v1
	v_addc_co_u32_e32 v3, vcc, v4, v3, vcc
	global_store_dword v[2:3], v1, off offset:4
.LBB220_4:
	s_or_b64 exec, exec, s[6:7]
	s_add_u32 s23, s2, 4
	v_or_b32_e32 v1, 32, v18
	s_addc_u32 s24, s3, 0
	v_cmp_gt_i32_e64 s[2:3], s36, v1
	s_and_saveexec_b64 s[6:7], s[2:3]
	s_cbranch_execz .LBB220_6
; %bb.5:
	s_ashr_i32 s8, s20, 31
	v_mov_b32_e32 v3, s8
	v_add_co_u32_e32 v2, vcc, s20, v18
	v_addc_co_u32_e32 v3, vcc, 0, v3, vcc
	v_lshlrev_b64 v[2:3], 2, v[2:3]
	v_mul_lo_u32 v1, v1, s21
	v_mov_b32_e32 v4, s24
	v_add_co_u32_e32 v2, vcc, s23, v2
	v_add_u32_e32 v1, s22, v1
	v_addc_co_u32_e32 v3, vcc, v4, v3, vcc
	global_store_dword v[2:3], v1, off offset:128
.LBB220_6:
	s_or_b64 exec, exec, s[6:7]
	v_or_b32_e32 v1, 64, v18
	v_cmp_gt_i32_e64 s[6:7], s36, v1
	s_and_saveexec_b64 s[8:9], s[6:7]
	s_cbranch_execz .LBB220_8
; %bb.7:
	s_ashr_i32 s10, s20, 31
	v_mov_b32_e32 v3, s10
	v_add_co_u32_e32 v2, vcc, s20, v18
	v_addc_co_u32_e32 v3, vcc, 0, v3, vcc
	v_lshlrev_b64 v[2:3], 2, v[2:3]
	v_mul_lo_u32 v1, v1, s21
	v_mov_b32_e32 v4, s24
	v_add_co_u32_e32 v2, vcc, s23, v2
	v_add_u32_e32 v1, s22, v1
	v_addc_co_u32_e32 v3, vcc, v4, v3, vcc
	global_store_dword v[2:3], v1, off offset:256
.LBB220_8:
	s_or_b64 exec, exec, s[8:9]
	v_or_b32_e32 v1, 0x60, v18
	;; [unrolled: 18-line block ×6, first 2 shown]
	v_cmp_gt_i32_e64 s[16:17], s36, v1
	s_and_saveexec_b64 s[18:19], s[16:17]
	s_cbranch_execz .LBB220_18
; %bb.17:
	v_mul_lo_u32 v1, v1, s21
	s_ashr_i32 s21, s20, 31
	v_mov_b32_e32 v3, s21
	v_add_co_u32_e32 v2, vcc, s20, v18
	v_addc_co_u32_e32 v3, vcc, 0, v3, vcc
	v_lshlrev_b64 v[2:3], 2, v[2:3]
	v_mov_b32_e32 v4, s24
	v_add_co_u32_e32 v2, vcc, s23, v2
	v_add_u32_e32 v1, s22, v1
	v_addc_co_u32_e32 v3, vcc, v4, v3, vcc
	global_store_dword v[2:3], v1, off offset:896
.LBB220_18:
	s_or_b64 exec, exec, s[18:19]
	s_cmp_lt_i32 s88, s89
	s_cbranch_scc0 .LBB220_149
; %bb.19:
	s_load_dword s22, s[4:5], 0x0
	v_and_b32_e32 v0, 31, v0
	v_or_b32_e32 v1, 32, v0
	v_add_u32_e32 v19, s33, v0
	v_add_u32_e32 v32, s33, v18
	v_cmp_gt_i32_e64 s[18:19], s36, v0
	s_waitcnt lgkmcnt(0)
	s_cmp_eq_u32 s22, 0
	v_mad_u64_u32 v[2:3], s[44:45], s36, v19, v[18:19]
	v_mad_u64_u32 v[4:5], s[44:45], s36, v32, v[0:1]
	s_cselect_b64 vcc, -1, 0
	s_and_b64 s[44:45], s[0:1], s[18:19]
	v_cmp_gt_i32_e64 s[20:21], s36, v1
	v_writelane_b32 v57, s44, 1
	v_or_b32_e32 v34, 64, v0
	v_writelane_b32 v57, s45, 2
	s_and_b64 s[44:45], s[0:1], s[20:21]
	v_cmp_gt_i32_e64 s[22:23], s36, v34
	v_writelane_b32 v57, s44, 3
	v_or_b32_e32 v35, 0x60, v0
	v_writelane_b32 v57, s45, 4
	s_and_b64 s[44:45], s[0:1], s[22:23]
	v_cmp_gt_i32_e64 s[24:25], s36, v35
	v_writelane_b32 v57, s44, 5
	v_or_b32_e32 v36, 0x80, v0
	v_writelane_b32 v57, s45, 6
	s_and_b64 s[44:45], s[0:1], s[24:25]
	v_cmp_gt_i32_e64 s[26:27], s36, v36
	v_writelane_b32 v57, s44, 7
	v_or_b32_e32 v37, 0xa0, v0
	v_writelane_b32 v57, s45, 8
	s_and_b64 s[44:45], s[0:1], s[26:27]
	v_cmp_gt_i32_e64 s[28:29], s36, v37
	v_writelane_b32 v57, s44, 9
	v_or_b32_e32 v38, 0xc0, v0
	v_writelane_b32 v57, s45, 10
	s_and_b64 s[44:45], s[0:1], s[28:29]
	v_cmp_gt_i32_e64 s[30:31], s36, v38
	v_writelane_b32 v57, s44, 11
	v_or_b32_e32 v39, 0xe0, v0
	v_writelane_b32 v57, s45, 12
	s_and_b64 s[44:45], s[0:1], s[30:31]
	v_cmp_gt_i32_e64 s[34:35], s36, v39
	v_writelane_b32 v57, s44, 13
	v_writelane_b32 v57, s45, 14
	s_and_b64 s[0:1], s[0:1], s[34:35]
	v_writelane_b32 v57, s0, 15
	v_writelane_b32 v57, s1, 16
	s_and_b64 s[0:1], s[2:3], s[18:19]
	;; [unrolled: 3-line block ×21, first 2 shown]
	v_writelane_b32 v57, s0, 55
	v_writelane_b32 v57, s1, 56
	s_load_dwordx2 s[0:1], s[4:5], 0x20
	s_ashr_i32 s39, s38, 31
	s_and_b64 s[44:45], s[8:9], s[26:27]
	s_and_b64 s[46:47], s[8:9], s[28:29]
	s_and_b64 s[48:49], s[8:9], s[30:31]
	s_and_b64 s[8:9], s[8:9], s[34:35]
	s_and_b64 s[50:51], s[10:11], s[18:19]
	s_and_b64 s[52:53], s[10:11], s[20:21]
	s_and_b64 s[54:55], s[10:11], s[22:23]
	s_and_b64 s[56:57], s[10:11], s[24:25]
	s_and_b64 s[58:59], s[10:11], s[26:27]
	s_and_b64 s[60:61], s[10:11], s[28:29]
	s_and_b64 s[62:63], s[10:11], s[30:31]
	s_and_b64 s[10:11], s[10:11], s[34:35]
	s_and_b64 s[64:65], s[12:13], s[18:19]
	s_and_b64 s[66:67], s[12:13], s[20:21]
	s_and_b64 s[68:69], s[12:13], s[22:23]
	s_and_b64 s[70:71], s[12:13], s[24:25]
	s_and_b64 s[72:73], s[12:13], s[26:27]
	s_and_b64 s[2:3], s[12:13], s[28:29]
	s_and_b64 s[74:75], s[12:13], s[30:31]
	s_and_b64 s[12:13], s[12:13], s[34:35]
	s_and_b64 s[76:77], s[14:15], s[18:19]
	s_and_b64 s[78:79], s[14:15], s[20:21]
	s_and_b64 s[80:81], s[14:15], s[22:23]
	s_and_b64 s[82:83], s[14:15], s[24:25]
	s_and_b64 s[84:85], s[14:15], s[26:27]
	s_and_b64 s[86:87], s[14:15], s[28:29]
	s_and_b64 s[6:7], s[14:15], s[30:31]
	s_and_b64 s[14:15], s[14:15], s[34:35]
	s_and_b64 s[18:19], s[16:17], s[18:19]
	s_and_b64 s[20:21], s[16:17], s[20:21]
	s_and_b64 s[22:23], s[16:17], s[22:23]
	s_and_b64 s[24:25], s[16:17], s[24:25]
	s_and_b64 s[26:27], s[16:17], s[26:27]
	s_and_b64 s[28:29], s[16:17], s[28:29]
	s_and_b64 s[30:31], s[16:17], s[30:31]
	s_and_b64 s[16:17], s[16:17], s[34:35]
	s_lshl_b32 s91, s88, 7
	s_lshl_b32 s92, s88, 6
	;; [unrolled: 1-line block ×3, first 2 shown]
	s_lshl_b64 s[34:35], s[38:39], 2
	v_mul_lo_u32 v3, v18, s90
	s_waitcnt lgkmcnt(0)
	s_add_u32 s34, s0, s34
	v_add_u32_e32 v40, s33, v3
	s_mul_i32 s0, s89, 0xe0
	v_add_u32_e32 v3, s0, v40
	s_mul_i32 s0, s88, 0xe0
	v_subrev_u32_e32 v3, s0, v3
	s_mul_i32 s0, s89, 0xc0
	v_add_u32_e32 v5, s0, v40
	s_mul_i32 s0, s88, 0xc0
	v_subrev_u32_e32 v5, s0, v5
	;; [unrolled: 4-line block ×3, first 2 shown]
	v_lshl_add_u32 v6, s89, 7, v40
	s_mul_i32 s0, s89, 0x60
	v_subrev_u32_e32 v42, s91, v6
	v_add_u32_e32 v6, s0, v40
	s_mul_i32 s0, s88, 0x60
	v_lshl_add_u32 v7, s89, 6, v40
	v_subrev_u32_e32 v43, s0, v6
	v_add_u32_e32 v6, 0xe0, v19
	s_addc_u32 s35, s1, s35
	v_subrev_u32_e32 v44, s92, v7
	v_mad_u64_u32 v[6:7], s[0:1], s36, v6, v[18:19]
	v_lshl_add_u32 v8, s89, 5, v40
	v_add_u32_e32 v7, 0xc0, v19
	v_subrev_u32_e32 v45, s93, v8
	v_mad_u64_u32 v[8:9], s[0:1], s36, v7, v[18:19]
	v_add_u32_e32 v7, 0xa0, v19
	v_mad_u64_u32 v[10:11], s[0:1], s36, v7, v[18:19]
	v_add_u32_e32 v7, 0x80, v19
	;; [unrolled: 2-line block ×8, first 2 shown]
	s_load_dwordx2 s[40:41], s[4:5], 0x30
	s_load_dwordx2 s[42:43], s[4:5], 0x10
	v_mad_u64_u32 v[24:25], s[0:1], s36, v7, v[0:1]
	s_load_dwordx2 s[4:5], s[4:5], 0x40
	v_add_u32_e32 v7, 0x80, v32
	v_mad_u64_u32 v[26:27], s[0:1], s36, v7, v[0:1]
	v_add_u32_e32 v7, 0xa0, v32
	v_mad_u64_u32 v[28:29], s[0:1], s36, v7, v[0:1]
	v_add_u32_e32 v7, 0xc0, v32
	v_mad_u64_u32 v[30:31], s[0:1], s36, v7, v[0:1]
	v_add_u32_e32 v7, 0xe0, v32
	v_mad_u64_u32 v[32:33], s[0:1], s36, v7, v[0:1]
	v_mul_lo_u32 v3, s36, v3
	v_mul_lo_u32 v5, s36, v5
	;; [unrolled: 1-line block ×8, first 2 shown]
	v_cndmask_b32_e32 v19, v2, v4, vcc
	s_mov_b32 s39, 0
	s_movk_i32 s33, 0x60
	s_movk_i32 s90, 0x80
	;; [unrolled: 1-line block ×5, first 2 shown]
	s_branch .LBB220_21
.LBB220_20:                             ;   in Loop: Header=BB220_21 Depth=1
	s_or_b64 exec, exec, s[88:89]
	s_mul_i32 s0, s36, s36
	s_add_i32 s38, s38, 1
	s_add_i32 s39, s39, s0
	s_add_u32 s34, s34, 4
	s_addc_u32 s35, s35, 0
	v_add_u32_e32 v3, s36, v3
	v_add_u32_e32 v5, s36, v5
	;; [unrolled: 1-line block ×7, first 2 shown]
	s_cmp_ge_i32 s38, s95
	v_add_u32_e32 v17, s36, v17
	s_cbranch_scc1 .LBB220_149
.LBB220_21:                             ; =>This Inner Loop Header: Depth=1
	s_load_dword s0, s[34:35], 0x0
	v_readlane_b32 s1, v57, 0
	s_waitcnt lgkmcnt(0)
	s_sub_i32 s0, s0, s1
	s_mul_i32 s94, s0, s36
	s_add_i32 s94, s94, s37
	v_add_u32_e32 v21, s94, v0
	s_mov_b64 s[88:89], exec
	v_readlane_b32 s0, v57, 1
	v_readlane_b32 s1, v57, 2
	s_and_b64 s[0:1], s[88:89], s[0:1]
	s_mov_b64 exec, s[0:1]
	s_cbranch_execz .LBB220_23
; %bb.22:                               ;   in Loop: Header=BB220_21 Depth=1
	v_add_u32_e32 v40, s39, v19
	v_ashrrev_i32_e32 v41, 31, v40
	v_lshlrev_b64 v[40:41], 3, v[40:41]
	v_mov_b32_e32 v23, s43
	v_add_co_u32_e64 v40, s[0:1], s42, v40
	v_addc_co_u32_e64 v41, s[0:1], v23, v41, s[0:1]
	global_load_dwordx2 v[40:41], v[40:41], off
	v_add_u32_e32 v42, v0, v17
	v_ashrrev_i32_e32 v43, 31, v42
	v_lshlrev_b64 v[44:45], 2, v[42:43]
	v_mov_b32_e32 v23, s5
	v_add_co_u32_e64 v44, s[0:1], s4, v44
	v_addc_co_u32_e64 v45, s[0:1], v23, v45, s[0:1]
	v_lshlrev_b64 v[42:43], 3, v[42:43]
	v_mov_b32_e32 v23, s41
	v_add_co_u32_e64 v42, s[0:1], s40, v42
	v_addc_co_u32_e64 v43, s[0:1], v23, v43, s[0:1]
	global_store_dword v[44:45], v21, off
	s_waitcnt vmcnt(1)
	global_store_dwordx2 v[42:43], v[40:41], off
.LBB220_23:                             ;   in Loop: Header=BB220_21 Depth=1
	s_or_b64 exec, exec, s[88:89]
	v_add_u32_e32 v23, s94, v1
	v_add_u32_e32 v41, s39, v18
	s_mov_b64 s[88:89], exec
	v_readlane_b32 s0, v57, 3
	v_readlane_b32 s1, v57, 4
	s_and_b64 s[0:1], s[88:89], s[0:1]
	s_mov_b64 exec, s[0:1]
	s_cbranch_execz .LBB220_25
; %bb.24:                               ;   in Loop: Header=BB220_21 Depth=1
	v_add3_u32 v25, v4, s39, 32
	v_cndmask_b32_e32 v42, v41, v25, vcc
	v_ashrrev_i32_e32 v43, 31, v42
	v_lshlrev_b64 v[42:43], 3, v[42:43]
	v_mov_b32_e32 v25, s43
	v_add_co_u32_e64 v42, s[0:1], s42, v42
	v_addc_co_u32_e64 v43, s[0:1], v25, v43, s[0:1]
	global_load_dwordx2 v[42:43], v[42:43], off
	v_add3_u32 v44, v0, v17, 32
	v_ashrrev_i32_e32 v45, 31, v44
	v_lshlrev_b64 v[46:47], 2, v[44:45]
	v_mov_b32_e32 v25, s5
	v_add_co_u32_e64 v46, s[0:1], s4, v46
	v_addc_co_u32_e64 v47, s[0:1], v25, v47, s[0:1]
	v_lshlrev_b64 v[44:45], 3, v[44:45]
	v_mov_b32_e32 v25, s41
	v_add_co_u32_e64 v44, s[0:1], s40, v44
	v_addc_co_u32_e64 v45, s[0:1], v25, v45, s[0:1]
	global_store_dword v[46:47], v23, off
	s_waitcnt vmcnt(1)
	global_store_dwordx2 v[44:45], v[42:43], off
.LBB220_25:                             ;   in Loop: Header=BB220_21 Depth=1
	s_or_b64 exec, exec, s[88:89]
	v_add_u32_e32 v25, s94, v34
	v_add_u32_e32 v42, s39, v16
	s_mov_b64 s[88:89], exec
	v_readlane_b32 s0, v57, 5
	v_readlane_b32 s1, v57, 6
	s_and_b64 s[0:1], s[88:89], s[0:1]
	s_mov_b64 exec, s[0:1]
	s_cbranch_execz .LBB220_27
; %bb.26:                               ;   in Loop: Header=BB220_21 Depth=1
	v_add3_u32 v27, v4, s39, 64
	v_cndmask_b32_e32 v44, v42, v27, vcc
	v_ashrrev_i32_e32 v45, 31, v44
	v_lshlrev_b64 v[44:45], 3, v[44:45]
	v_mov_b32_e32 v27, s43
	v_add_co_u32_e64 v44, s[0:1], s42, v44
	v_addc_co_u32_e64 v45, s[0:1], v27, v45, s[0:1]
	global_load_dwordx2 v[44:45], v[44:45], off
	v_add3_u32 v46, v0, v17, 64
	v_ashrrev_i32_e32 v47, 31, v46
	v_lshlrev_b64 v[48:49], 2, v[46:47]
	v_mov_b32_e32 v27, s5
	v_add_co_u32_e64 v48, s[0:1], s4, v48
	v_addc_co_u32_e64 v49, s[0:1], v27, v49, s[0:1]
	v_lshlrev_b64 v[46:47], 3, v[46:47]
	v_mov_b32_e32 v27, s41
	v_add_co_u32_e64 v46, s[0:1], s40, v46
	v_addc_co_u32_e64 v47, s[0:1], v27, v47, s[0:1]
	global_store_dword v[48:49], v25, off
	s_waitcnt vmcnt(1)
	global_store_dwordx2 v[46:47], v[44:45], off
.LBB220_27:                             ;   in Loop: Header=BB220_21 Depth=1
	s_or_b64 exec, exec, s[88:89]
	v_add_u32_e32 v27, s94, v35
	v_add_u32_e32 v48, s39, v4
	;; [unrolled: 1-line block ×3, first 2 shown]
	s_mov_b64 s[88:89], exec
	v_readlane_b32 s0, v57, 7
	v_readlane_b32 s1, v57, 8
	s_and_b64 s[0:1], s[88:89], s[0:1]
	s_mov_b64 exec, s[0:1]
	s_cbranch_execz .LBB220_29
; %bb.28:                               ;   in Loop: Header=BB220_21 Depth=1
	v_add_u32_e32 v29, 0x60, v48
	v_cndmask_b32_e32 v44, v43, v29, vcc
	v_ashrrev_i32_e32 v45, 31, v44
	v_lshlrev_b64 v[44:45], 3, v[44:45]
	v_mov_b32_e32 v29, s43
	v_add_co_u32_e64 v44, s[0:1], s42, v44
	v_addc_co_u32_e64 v45, s[0:1], v29, v45, s[0:1]
	global_load_dwordx2 v[44:45], v[44:45], off
	v_add3_u32 v46, v0, v17, s33
	v_ashrrev_i32_e32 v47, 31, v46
	v_lshlrev_b64 v[50:51], 2, v[46:47]
	v_mov_b32_e32 v29, s5
	v_add_co_u32_e64 v50, s[0:1], s4, v50
	v_addc_co_u32_e64 v51, s[0:1], v29, v51, s[0:1]
	v_lshlrev_b64 v[46:47], 3, v[46:47]
	v_mov_b32_e32 v29, s41
	v_add_co_u32_e64 v46, s[0:1], s40, v46
	v_addc_co_u32_e64 v47, s[0:1], v29, v47, s[0:1]
	global_store_dword v[50:51], v27, off
	s_waitcnt vmcnt(1)
	global_store_dwordx2 v[46:47], v[44:45], off
.LBB220_29:                             ;   in Loop: Header=BB220_21 Depth=1
	s_or_b64 exec, exec, s[88:89]
	v_add_u32_e32 v29, s94, v36
	v_add_u32_e32 v44, s39, v12
	s_mov_b64 s[88:89], exec
	v_readlane_b32 s0, v57, 9
	v_readlane_b32 s1, v57, 10
	s_and_b64 s[0:1], s[88:89], s[0:1]
	s_mov_b64 exec, s[0:1]
	s_cbranch_execz .LBB220_31
; %bb.30:                               ;   in Loop: Header=BB220_21 Depth=1
	v_add_u32_e32 v31, 0x80, v48
	v_cndmask_b32_e32 v46, v44, v31, vcc
	v_ashrrev_i32_e32 v47, 31, v46
	v_lshlrev_b64 v[46:47], 3, v[46:47]
	v_mov_b32_e32 v31, s43
	v_add_co_u32_e64 v46, s[0:1], s42, v46
	v_addc_co_u32_e64 v47, s[0:1], v31, v47, s[0:1]
	global_load_dwordx2 v[46:47], v[46:47], off
	v_add3_u32 v50, v0, v17, s90
	v_ashrrev_i32_e32 v51, 31, v50
	v_lshlrev_b64 v[52:53], 2, v[50:51]
	v_mov_b32_e32 v31, s5
	v_add_co_u32_e64 v52, s[0:1], s4, v52
	v_addc_co_u32_e64 v53, s[0:1], v31, v53, s[0:1]
	v_lshlrev_b64 v[50:51], 3, v[50:51]
	v_mov_b32_e32 v31, s41
	v_add_co_u32_e64 v50, s[0:1], s40, v50
	v_addc_co_u32_e64 v51, s[0:1], v31, v51, s[0:1]
	global_store_dword v[52:53], v29, off
	s_waitcnt vmcnt(1)
	global_store_dwordx2 v[50:51], v[46:47], off
.LBB220_31:                             ;   in Loop: Header=BB220_21 Depth=1
	s_or_b64 exec, exec, s[88:89]
	v_add_u32_e32 v31, s94, v37
	v_add_u32_e32 v45, s39, v10
	;; [unrolled: 32-line block ×4, first 2 shown]
	s_mov_b64 s[88:89], exec
	v_readlane_b32 s0, v57, 15
	v_readlane_b32 s1, v57, 16
	s_and_b64 s[0:1], s[88:89], s[0:1]
	s_mov_b64 exec, s[0:1]
	s_cbranch_execz .LBB220_37
; %bb.36:                               ;   in Loop: Header=BB220_21 Depth=1
	v_add_u32_e32 v48, 0xe0, v48
	v_cndmask_b32_e32 v48, v47, v48, vcc
	v_ashrrev_i32_e32 v49, 31, v48
	v_lshlrev_b64 v[48:49], 3, v[48:49]
	v_mov_b32_e32 v50, s43
	v_add_co_u32_e64 v48, s[0:1], s42, v48
	v_addc_co_u32_e64 v49, s[0:1], v50, v49, s[0:1]
	global_load_dwordx2 v[48:49], v[48:49], off
	v_add3_u32 v50, v0, v17, s93
	v_ashrrev_i32_e32 v51, 31, v50
	v_lshlrev_b64 v[52:53], 2, v[50:51]
	v_mov_b32_e32 v54, s5
	v_add_co_u32_e64 v52, s[0:1], s4, v52
	v_addc_co_u32_e64 v53, s[0:1], v54, v53, s[0:1]
	v_lshlrev_b64 v[50:51], 3, v[50:51]
	global_store_dword v[52:53], v40, off
	v_mov_b32_e32 v52, s41
	v_add_co_u32_e64 v50, s[0:1], s40, v50
	v_addc_co_u32_e64 v51, s[0:1], v52, v51, s[0:1]
	s_waitcnt vmcnt(1)
	global_store_dwordx2 v[50:51], v[48:49], off
.LBB220_37:                             ;   in Loop: Header=BB220_21 Depth=1
	s_or_b64 exec, exec, s[88:89]
	v_add_u32_e32 v48, s39, v20
	s_mov_b64 s[88:89], exec
	v_readlane_b32 s0, v57, 17
	v_readlane_b32 s1, v57, 18
	s_and_b64 s[0:1], s[88:89], s[0:1]
	s_mov_b64 exec, s[0:1]
	s_cbranch_execz .LBB220_39
; %bb.38:                               ;   in Loop: Header=BB220_21 Depth=1
	v_add3_u32 v49, v2, s39, 32
	v_cndmask_b32_e32 v50, v49, v48, vcc
	v_ashrrev_i32_e32 v51, 31, v50
	v_lshlrev_b64 v[50:51], 3, v[50:51]
	v_mov_b32_e32 v49, s43
	v_add_co_u32_e64 v50, s[0:1], s42, v50
	v_addc_co_u32_e64 v51, s[0:1], v49, v51, s[0:1]
	global_load_dwordx2 v[50:51], v[50:51], off
	v_add_u32_e32 v52, v0, v15
	v_ashrrev_i32_e32 v53, 31, v52
	v_lshlrev_b64 v[54:55], 2, v[52:53]
	v_mov_b32_e32 v49, s5
	v_add_co_u32_e64 v54, s[0:1], s4, v54
	v_addc_co_u32_e64 v55, s[0:1], v49, v55, s[0:1]
	v_lshlrev_b64 v[52:53], 3, v[52:53]
	v_mov_b32_e32 v49, s41
	v_add_co_u32_e64 v52, s[0:1], s40, v52
	v_addc_co_u32_e64 v53, s[0:1], v49, v53, s[0:1]
	global_store_dword v[54:55], v21, off
	s_waitcnt vmcnt(1)
	global_store_dwordx2 v[52:53], v[50:51], off
.LBB220_39:                             ;   in Loop: Header=BB220_21 Depth=1
	s_or_b64 exec, exec, s[88:89]
	s_mov_b64 s[88:89], exec
	v_readlane_b32 s0, v57, 19
	v_readlane_b32 s1, v57, 20
	s_and_b64 s[0:1], s[88:89], s[0:1]
	s_mov_b64 exec, s[0:1]
	s_cbranch_execz .LBB220_41
; %bb.40:                               ;   in Loop: Header=BB220_21 Depth=1
	v_cndmask_b32_e32 v49, v18, v20, vcc
	v_add3_u32 v50, v49, s39, 32
	v_ashrrev_i32_e32 v51, 31, v50
	v_lshlrev_b64 v[50:51], 3, v[50:51]
	v_mov_b32_e32 v49, s43
	v_add_co_u32_e64 v50, s[0:1], s42, v50
	v_addc_co_u32_e64 v51, s[0:1], v49, v51, s[0:1]
	global_load_dwordx2 v[50:51], v[50:51], off
	v_add3_u32 v52, v0, v15, 32
	v_ashrrev_i32_e32 v53, 31, v52
	v_lshlrev_b64 v[54:55], 2, v[52:53]
	v_mov_b32_e32 v49, s5
	v_add_co_u32_e64 v54, s[0:1], s4, v54
	v_addc_co_u32_e64 v55, s[0:1], v49, v55, s[0:1]
	v_lshlrev_b64 v[52:53], 3, v[52:53]
	v_mov_b32_e32 v49, s41
	v_add_co_u32_e64 v52, s[0:1], s40, v52
	v_addc_co_u32_e64 v53, s[0:1], v49, v53, s[0:1]
	global_store_dword v[54:55], v23, off
	s_waitcnt vmcnt(1)
	global_store_dwordx2 v[52:53], v[50:51], off
.LBB220_41:                             ;   in Loop: Header=BB220_21 Depth=1
	s_or_b64 exec, exec, s[88:89]
	s_mov_b64 s[88:89], exec
	v_readlane_b32 s0, v57, 21
	v_readlane_b32 s1, v57, 22
	s_and_b64 s[0:1], s[88:89], s[0:1]
	s_mov_b64 exec, s[0:1]
	s_cbranch_execz .LBB220_43
; %bb.42:                               ;   in Loop: Header=BB220_21 Depth=1
	v_add3_u32 v49, v20, s39, 64
	v_add3_u32 v50, v16, s39, 32
	v_cndmask_b32_e32 v50, v50, v49, vcc
	v_ashrrev_i32_e32 v51, 31, v50
	v_lshlrev_b64 v[50:51], 3, v[50:51]
	v_mov_b32_e32 v49, s43
	v_add_co_u32_e64 v50, s[0:1], s42, v50
	v_addc_co_u32_e64 v51, s[0:1], v49, v51, s[0:1]
	global_load_dwordx2 v[50:51], v[50:51], off
	v_add3_u32 v52, v0, v15, 64
	v_ashrrev_i32_e32 v53, 31, v52
	v_lshlrev_b64 v[54:55], 2, v[52:53]
	v_mov_b32_e32 v49, s5
	v_add_co_u32_e64 v54, s[0:1], s4, v54
	v_addc_co_u32_e64 v55, s[0:1], v49, v55, s[0:1]
	v_lshlrev_b64 v[52:53], 3, v[52:53]
	v_mov_b32_e32 v49, s41
	v_add_co_u32_e64 v52, s[0:1], s40, v52
	v_addc_co_u32_e64 v53, s[0:1], v49, v53, s[0:1]
	global_store_dword v[54:55], v25, off
	s_waitcnt vmcnt(1)
	global_store_dwordx2 v[52:53], v[50:51], off
.LBB220_43:                             ;   in Loop: Header=BB220_21 Depth=1
	s_or_b64 exec, exec, s[88:89]
	s_mov_b64 s[88:89], exec
	v_readlane_b32 s0, v57, 23
	v_readlane_b32 s1, v57, 24
	s_and_b64 s[0:1], s[88:89], s[0:1]
	s_mov_b64 exec, s[0:1]
	s_cbranch_execz .LBB220_45
; %bb.44:                               ;   in Loop: Header=BB220_21 Depth=1
	v_add_u32_e32 v49, 0x60, v48
	v_add3_u32 v50, v14, s39, 32
	v_cndmask_b32_e32 v50, v50, v49, vcc
	v_ashrrev_i32_e32 v51, 31, v50
	v_lshlrev_b64 v[50:51], 3, v[50:51]
	v_mov_b32_e32 v49, s43
	v_add_co_u32_e64 v50, s[0:1], s42, v50
	v_addc_co_u32_e64 v51, s[0:1], v49, v51, s[0:1]
	global_load_dwordx2 v[50:51], v[50:51], off
	v_add3_u32 v52, v0, v15, s33
	v_ashrrev_i32_e32 v53, 31, v52
	v_lshlrev_b64 v[54:55], 2, v[52:53]
	v_mov_b32_e32 v49, s5
	v_add_co_u32_e64 v54, s[0:1], s4, v54
	v_addc_co_u32_e64 v55, s[0:1], v49, v55, s[0:1]
	v_lshlrev_b64 v[52:53], 3, v[52:53]
	v_mov_b32_e32 v49, s41
	v_add_co_u32_e64 v52, s[0:1], s40, v52
	v_addc_co_u32_e64 v53, s[0:1], v49, v53, s[0:1]
	global_store_dword v[54:55], v27, off
	s_waitcnt vmcnt(1)
	global_store_dwordx2 v[52:53], v[50:51], off
.LBB220_45:                             ;   in Loop: Header=BB220_21 Depth=1
	s_or_b64 exec, exec, s[88:89]
	s_mov_b64 s[88:89], exec
	v_readlane_b32 s0, v57, 25
	v_readlane_b32 s1, v57, 26
	s_and_b64 s[0:1], s[88:89], s[0:1]
	s_mov_b64 exec, s[0:1]
	s_cbranch_execz .LBB220_47
; %bb.46:                               ;   in Loop: Header=BB220_21 Depth=1
	v_add_u32_e32 v49, 0x80, v48
	v_add3_u32 v50, v12, s39, 32
	v_cndmask_b32_e32 v50, v50, v49, vcc
	v_ashrrev_i32_e32 v51, 31, v50
	v_lshlrev_b64 v[50:51], 3, v[50:51]
	v_mov_b32_e32 v49, s43
	v_add_co_u32_e64 v50, s[0:1], s42, v50
	v_addc_co_u32_e64 v51, s[0:1], v49, v51, s[0:1]
	global_load_dwordx2 v[50:51], v[50:51], off
	v_add3_u32 v52, v0, v15, s90
	v_ashrrev_i32_e32 v53, 31, v52
	v_lshlrev_b64 v[54:55], 2, v[52:53]
	v_mov_b32_e32 v49, s5
	v_add_co_u32_e64 v54, s[0:1], s4, v54
	v_addc_co_u32_e64 v55, s[0:1], v49, v55, s[0:1]
	v_lshlrev_b64 v[52:53], 3, v[52:53]
	v_mov_b32_e32 v49, s41
	v_add_co_u32_e64 v52, s[0:1], s40, v52
	v_addc_co_u32_e64 v53, s[0:1], v49, v53, s[0:1]
	global_store_dword v[54:55], v29, off
	s_waitcnt vmcnt(1)
	global_store_dwordx2 v[52:53], v[50:51], off
.LBB220_47:                             ;   in Loop: Header=BB220_21 Depth=1
	;; [unrolled: 31-line block ×4, first 2 shown]
	s_or_b64 exec, exec, s[88:89]
	s_mov_b64 s[88:89], exec
	v_readlane_b32 s0, v57, 31
	v_readlane_b32 s1, v57, 32
	s_and_b64 s[0:1], s[88:89], s[0:1]
	s_mov_b64 exec, s[0:1]
	s_cbranch_execz .LBB220_53
; %bb.52:                               ;   in Loop: Header=BB220_21 Depth=1
	v_add_u32_e32 v48, 0xe0, v48
	v_add3_u32 v49, v6, s39, 32
	v_cndmask_b32_e32 v48, v49, v48, vcc
	v_ashrrev_i32_e32 v49, 31, v48
	v_lshlrev_b64 v[48:49], 3, v[48:49]
	v_mov_b32_e32 v50, s43
	v_add_co_u32_e64 v48, s[0:1], s42, v48
	v_addc_co_u32_e64 v49, s[0:1], v50, v49, s[0:1]
	global_load_dwordx2 v[48:49], v[48:49], off
	v_add3_u32 v50, v0, v15, s93
	v_ashrrev_i32_e32 v51, 31, v50
	v_lshlrev_b64 v[52:53], 2, v[50:51]
	v_mov_b32_e32 v54, s5
	v_add_co_u32_e64 v52, s[0:1], s4, v52
	v_addc_co_u32_e64 v53, s[0:1], v54, v53, s[0:1]
	v_lshlrev_b64 v[50:51], 3, v[50:51]
	global_store_dword v[52:53], v40, off
	v_mov_b32_e32 v52, s41
	v_add_co_u32_e64 v50, s[0:1], s40, v50
	v_addc_co_u32_e64 v51, s[0:1], v52, v51, s[0:1]
	s_waitcnt vmcnt(1)
	global_store_dwordx2 v[50:51], v[48:49], off
.LBB220_53:                             ;   in Loop: Header=BB220_21 Depth=1
	s_or_b64 exec, exec, s[88:89]
	v_add_u32_e32 v48, s39, v22
	s_mov_b64 s[88:89], exec
	v_readlane_b32 s0, v57, 33
	v_readlane_b32 s1, v57, 34
	s_and_b64 s[0:1], s[88:89], s[0:1]
	s_mov_b64 exec, s[0:1]
	s_cbranch_execz .LBB220_55
; %bb.54:                               ;   in Loop: Header=BB220_21 Depth=1
	v_add3_u32 v49, v2, s39, 64
	v_cndmask_b32_e32 v50, v49, v48, vcc
	v_ashrrev_i32_e32 v51, 31, v50
	v_lshlrev_b64 v[50:51], 3, v[50:51]
	v_mov_b32_e32 v49, s43
	v_add_co_u32_e64 v50, s[0:1], s42, v50
	v_addc_co_u32_e64 v51, s[0:1], v49, v51, s[0:1]
	global_load_dwordx2 v[50:51], v[50:51], off
	v_add_u32_e32 v52, v0, v13
	v_ashrrev_i32_e32 v53, 31, v52
	v_lshlrev_b64 v[54:55], 2, v[52:53]
	v_mov_b32_e32 v49, s5
	v_add_co_u32_e64 v54, s[0:1], s4, v54
	v_addc_co_u32_e64 v55, s[0:1], v49, v55, s[0:1]
	v_lshlrev_b64 v[52:53], 3, v[52:53]
	v_mov_b32_e32 v49, s41
	v_add_co_u32_e64 v52, s[0:1], s40, v52
	v_addc_co_u32_e64 v53, s[0:1], v49, v53, s[0:1]
	global_store_dword v[54:55], v21, off
	s_waitcnt vmcnt(1)
	global_store_dwordx2 v[52:53], v[50:51], off
.LBB220_55:                             ;   in Loop: Header=BB220_21 Depth=1
	s_or_b64 exec, exec, s[88:89]
	s_mov_b64 s[88:89], exec
	v_readlane_b32 s0, v57, 35
	v_readlane_b32 s1, v57, 36
	s_and_b64 s[0:1], s[88:89], s[0:1]
	s_mov_b64 exec, s[0:1]
	s_cbranch_execz .LBB220_57
; %bb.56:                               ;   in Loop: Header=BB220_21 Depth=1
	v_add3_u32 v49, v22, s39, 32
	v_add3_u32 v50, v18, s39, 64
	v_cndmask_b32_e32 v50, v50, v49, vcc
	v_ashrrev_i32_e32 v51, 31, v50
	v_lshlrev_b64 v[50:51], 3, v[50:51]
	v_mov_b32_e32 v49, s43
	v_add_co_u32_e64 v50, s[0:1], s42, v50
	v_addc_co_u32_e64 v51, s[0:1], v49, v51, s[0:1]
	global_load_dwordx2 v[50:51], v[50:51], off
	v_add3_u32 v52, v0, v13, 32
	v_ashrrev_i32_e32 v53, 31, v52
	v_lshlrev_b64 v[54:55], 2, v[52:53]
	v_mov_b32_e32 v49, s5
	v_add_co_u32_e64 v54, s[0:1], s4, v54
	v_addc_co_u32_e64 v55, s[0:1], v49, v55, s[0:1]
	v_lshlrev_b64 v[52:53], 3, v[52:53]
	v_mov_b32_e32 v49, s41
	v_add_co_u32_e64 v52, s[0:1], s40, v52
	v_addc_co_u32_e64 v53, s[0:1], v49, v53, s[0:1]
	global_store_dword v[54:55], v23, off
	s_waitcnt vmcnt(1)
	global_store_dwordx2 v[52:53], v[50:51], off
.LBB220_57:                             ;   in Loop: Header=BB220_21 Depth=1
	s_or_b64 exec, exec, s[88:89]
	s_mov_b64 s[88:89], exec
	v_readlane_b32 s0, v57, 37
	v_readlane_b32 s1, v57, 38
	s_and_b64 s[0:1], s[88:89], s[0:1]
	s_mov_b64 exec, s[0:1]
	s_cbranch_execz .LBB220_59
; %bb.58:                               ;   in Loop: Header=BB220_21 Depth=1
	v_cndmask_b32_e32 v49, v16, v22, vcc
	v_add3_u32 v50, v49, s39, 64
	v_ashrrev_i32_e32 v51, 31, v50
	v_lshlrev_b64 v[50:51], 3, v[50:51]
	v_mov_b32_e32 v49, s43
	v_add_co_u32_e64 v50, s[0:1], s42, v50
	v_addc_co_u32_e64 v51, s[0:1], v49, v51, s[0:1]
	global_load_dwordx2 v[50:51], v[50:51], off
	v_add3_u32 v52, v0, v13, 64
	v_ashrrev_i32_e32 v53, 31, v52
	v_lshlrev_b64 v[54:55], 2, v[52:53]
	v_mov_b32_e32 v49, s5
	v_add_co_u32_e64 v54, s[0:1], s4, v54
	v_addc_co_u32_e64 v55, s[0:1], v49, v55, s[0:1]
	v_lshlrev_b64 v[52:53], 3, v[52:53]
	v_mov_b32_e32 v49, s41
	v_add_co_u32_e64 v52, s[0:1], s40, v52
	v_addc_co_u32_e64 v53, s[0:1], v49, v53, s[0:1]
	global_store_dword v[54:55], v25, off
	s_waitcnt vmcnt(1)
	global_store_dwordx2 v[52:53], v[50:51], off
.LBB220_59:                             ;   in Loop: Header=BB220_21 Depth=1
	s_or_b64 exec, exec, s[88:89]
	s_mov_b64 s[88:89], exec
	v_readlane_b32 s0, v57, 39
	v_readlane_b32 s1, v57, 40
	s_and_b64 s[0:1], s[88:89], s[0:1]
	s_mov_b64 exec, s[0:1]
	s_cbranch_execz .LBB220_61
; %bb.60:                               ;   in Loop: Header=BB220_21 Depth=1
	v_add_u32_e32 v49, 0x60, v48
	v_add3_u32 v50, v14, s39, 64
	v_cndmask_b32_e32 v50, v50, v49, vcc
	v_ashrrev_i32_e32 v51, 31, v50
	v_lshlrev_b64 v[50:51], 3, v[50:51]
	v_mov_b32_e32 v49, s43
	v_add_co_u32_e64 v50, s[0:1], s42, v50
	v_addc_co_u32_e64 v51, s[0:1], v49, v51, s[0:1]
	global_load_dwordx2 v[50:51], v[50:51], off
	v_add3_u32 v52, v0, v13, s33
	v_ashrrev_i32_e32 v53, 31, v52
	v_lshlrev_b64 v[54:55], 2, v[52:53]
	v_mov_b32_e32 v49, s5
	v_add_co_u32_e64 v54, s[0:1], s4, v54
	v_addc_co_u32_e64 v55, s[0:1], v49, v55, s[0:1]
	v_lshlrev_b64 v[52:53], 3, v[52:53]
	v_mov_b32_e32 v49, s41
	v_add_co_u32_e64 v52, s[0:1], s40, v52
	v_addc_co_u32_e64 v53, s[0:1], v49, v53, s[0:1]
	global_store_dword v[54:55], v27, off
	s_waitcnt vmcnt(1)
	global_store_dwordx2 v[52:53], v[50:51], off
.LBB220_61:                             ;   in Loop: Header=BB220_21 Depth=1
	s_or_b64 exec, exec, s[88:89]
	s_mov_b64 s[88:89], exec
	v_readlane_b32 s0, v57, 41
	v_readlane_b32 s1, v57, 42
	s_and_b64 s[0:1], s[88:89], s[0:1]
	s_mov_b64 exec, s[0:1]
	s_cbranch_execz .LBB220_63
; %bb.62:                               ;   in Loop: Header=BB220_21 Depth=1
	v_add_u32_e32 v49, 0x80, v48
	v_add3_u32 v50, v12, s39, 64
	v_cndmask_b32_e32 v50, v50, v49, vcc
	v_ashrrev_i32_e32 v51, 31, v50
	v_lshlrev_b64 v[50:51], 3, v[50:51]
	v_mov_b32_e32 v49, s43
	v_add_co_u32_e64 v50, s[0:1], s42, v50
	v_addc_co_u32_e64 v51, s[0:1], v49, v51, s[0:1]
	global_load_dwordx2 v[50:51], v[50:51], off
	v_add3_u32 v52, v0, v13, s90
	v_ashrrev_i32_e32 v53, 31, v52
	v_lshlrev_b64 v[54:55], 2, v[52:53]
	v_mov_b32_e32 v49, s5
	v_add_co_u32_e64 v54, s[0:1], s4, v54
	v_addc_co_u32_e64 v55, s[0:1], v49, v55, s[0:1]
	v_lshlrev_b64 v[52:53], 3, v[52:53]
	v_mov_b32_e32 v49, s41
	v_add_co_u32_e64 v52, s[0:1], s40, v52
	v_addc_co_u32_e64 v53, s[0:1], v49, v53, s[0:1]
	global_store_dword v[54:55], v29, off
	s_waitcnt vmcnt(1)
	global_store_dwordx2 v[52:53], v[50:51], off
.LBB220_63:                             ;   in Loop: Header=BB220_21 Depth=1
	;; [unrolled: 31-line block ×4, first 2 shown]
	s_or_b64 exec, exec, s[88:89]
	s_mov_b64 s[88:89], exec
	v_readlane_b32 s0, v57, 47
	v_readlane_b32 s1, v57, 48
	s_and_b64 s[0:1], s[88:89], s[0:1]
	s_mov_b64 exec, s[0:1]
	s_cbranch_execz .LBB220_69
; %bb.68:                               ;   in Loop: Header=BB220_21 Depth=1
	v_add_u32_e32 v48, 0xe0, v48
	v_add3_u32 v49, v6, s39, 64
	v_cndmask_b32_e32 v48, v49, v48, vcc
	v_ashrrev_i32_e32 v49, 31, v48
	v_lshlrev_b64 v[48:49], 3, v[48:49]
	v_mov_b32_e32 v50, s43
	v_add_co_u32_e64 v48, s[0:1], s42, v48
	v_addc_co_u32_e64 v49, s[0:1], v50, v49, s[0:1]
	global_load_dwordx2 v[48:49], v[48:49], off
	v_add3_u32 v50, v0, v13, s93
	v_ashrrev_i32_e32 v51, 31, v50
	v_lshlrev_b64 v[52:53], 2, v[50:51]
	v_mov_b32_e32 v54, s5
	v_add_co_u32_e64 v52, s[0:1], s4, v52
	v_addc_co_u32_e64 v53, s[0:1], v54, v53, s[0:1]
	v_lshlrev_b64 v[50:51], 3, v[50:51]
	global_store_dword v[52:53], v40, off
	v_mov_b32_e32 v52, s41
	v_add_co_u32_e64 v50, s[0:1], s40, v50
	v_addc_co_u32_e64 v51, s[0:1], v52, v51, s[0:1]
	s_waitcnt vmcnt(1)
	global_store_dwordx2 v[50:51], v[48:49], off
.LBB220_69:                             ;   in Loop: Header=BB220_21 Depth=1
	s_or_b64 exec, exec, s[88:89]
	v_add_u32_e32 v49, s39, v24
	v_add_u32_e32 v48, s39, v2
	s_mov_b64 s[88:89], exec
	v_readlane_b32 s0, v57, 49
	v_readlane_b32 s1, v57, 50
	s_and_b64 s[0:1], s[88:89], s[0:1]
	s_mov_b64 exec, s[0:1]
	s_cbranch_execz .LBB220_71
; %bb.70:                               ;   in Loop: Header=BB220_21 Depth=1
	v_add_u32_e32 v50, 0x60, v48
	v_cndmask_b32_e32 v50, v50, v49, vcc
	v_ashrrev_i32_e32 v51, 31, v50
	v_lshlrev_b64 v[50:51], 3, v[50:51]
	v_mov_b32_e32 v52, s43
	v_add_co_u32_e64 v50, s[0:1], s42, v50
	v_addc_co_u32_e64 v51, s[0:1], v52, v51, s[0:1]
	global_load_dwordx2 v[50:51], v[50:51], off
	v_add_u32_e32 v52, v0, v11
	v_ashrrev_i32_e32 v53, 31, v52
	v_lshlrev_b64 v[54:55], 2, v[52:53]
	v_mov_b32_e32 v56, s5
	v_add_co_u32_e64 v54, s[0:1], s4, v54
	v_addc_co_u32_e64 v55, s[0:1], v56, v55, s[0:1]
	v_lshlrev_b64 v[52:53], 3, v[52:53]
	global_store_dword v[54:55], v21, off
	v_mov_b32_e32 v54, s41
	v_add_co_u32_e64 v52, s[0:1], s40, v52
	v_addc_co_u32_e64 v53, s[0:1], v54, v53, s[0:1]
	s_waitcnt vmcnt(1)
	global_store_dwordx2 v[52:53], v[50:51], off
.LBB220_71:                             ;   in Loop: Header=BB220_21 Depth=1
	s_or_b64 exec, exec, s[88:89]
	s_mov_b64 s[88:89], exec
	v_readlane_b32 s0, v57, 51
	v_readlane_b32 s1, v57, 52
	s_and_b64 s[0:1], s[88:89], s[0:1]
	s_mov_b64 exec, s[0:1]
	s_cbranch_execz .LBB220_73
; %bb.72:                               ;   in Loop: Header=BB220_21 Depth=1
	v_add3_u32 v50, v24, s39, 32
	v_add_u32_e32 v51, 0x60, v41
	v_cndmask_b32_e32 v50, v51, v50, vcc
	v_ashrrev_i32_e32 v51, 31, v50
	v_lshlrev_b64 v[50:51], 3, v[50:51]
	v_mov_b32_e32 v52, s43
	v_add_co_u32_e64 v50, s[0:1], s42, v50
	v_addc_co_u32_e64 v51, s[0:1], v52, v51, s[0:1]
	global_load_dwordx2 v[50:51], v[50:51], off
	v_add3_u32 v52, v0, v11, 32
	v_ashrrev_i32_e32 v53, 31, v52
	v_lshlrev_b64 v[54:55], 2, v[52:53]
	v_mov_b32_e32 v56, s5
	v_add_co_u32_e64 v54, s[0:1], s4, v54
	v_addc_co_u32_e64 v55, s[0:1], v56, v55, s[0:1]
	v_lshlrev_b64 v[52:53], 3, v[52:53]
	global_store_dword v[54:55], v23, off
	v_mov_b32_e32 v54, s41
	v_add_co_u32_e64 v52, s[0:1], s40, v52
	v_addc_co_u32_e64 v53, s[0:1], v54, v53, s[0:1]
	s_waitcnt vmcnt(1)
	global_store_dwordx2 v[52:53], v[50:51], off
.LBB220_73:                             ;   in Loop: Header=BB220_21 Depth=1
	s_or_b64 exec, exec, s[88:89]
	s_mov_b64 s[88:89], exec
	v_readlane_b32 s0, v57, 53
	v_readlane_b32 s1, v57, 54
	s_and_b64 s[0:1], s[88:89], s[0:1]
	s_mov_b64 exec, s[0:1]
	s_cbranch_execz .LBB220_75
; %bb.74:                               ;   in Loop: Header=BB220_21 Depth=1
	v_add3_u32 v50, v24, s39, 64
	v_add_u32_e32 v51, 0x60, v42
	v_cndmask_b32_e32 v50, v51, v50, vcc
	v_ashrrev_i32_e32 v51, 31, v50
	v_lshlrev_b64 v[50:51], 3, v[50:51]
	v_mov_b32_e32 v52, s43
	v_add_co_u32_e64 v50, s[0:1], s42, v50
	v_addc_co_u32_e64 v51, s[0:1], v52, v51, s[0:1]
	global_load_dwordx2 v[50:51], v[50:51], off
	v_add3_u32 v52, v0, v11, 64
	v_ashrrev_i32_e32 v53, 31, v52
	v_lshlrev_b64 v[54:55], 2, v[52:53]
	v_mov_b32_e32 v56, s5
	v_add_co_u32_e64 v54, s[0:1], s4, v54
	v_addc_co_u32_e64 v55, s[0:1], v56, v55, s[0:1]
	v_lshlrev_b64 v[52:53], 3, v[52:53]
	global_store_dword v[54:55], v25, off
	v_mov_b32_e32 v54, s41
	v_add_co_u32_e64 v52, s[0:1], s40, v52
	v_addc_co_u32_e64 v53, s[0:1], v54, v53, s[0:1]
	s_waitcnt vmcnt(1)
	global_store_dwordx2 v[52:53], v[50:51], off
.LBB220_75:                             ;   in Loop: Header=BB220_21 Depth=1
	s_or_b64 exec, exec, s[88:89]
	s_mov_b64 s[88:89], exec
	v_readlane_b32 s0, v57, 55
	v_readlane_b32 s1, v57, 56
	s_and_b64 s[0:1], s[88:89], s[0:1]
	s_mov_b64 exec, s[0:1]
	s_cbranch_execnz .LBB220_112
; %bb.76:                               ;   in Loop: Header=BB220_21 Depth=1
	s_or_b64 exec, exec, s[88:89]
	s_and_saveexec_b64 s[88:89], s[44:45]
	s_cbranch_execnz .LBB220_113
.LBB220_77:                             ;   in Loop: Header=BB220_21 Depth=1
	s_or_b64 exec, exec, s[88:89]
	s_and_saveexec_b64 s[88:89], s[46:47]
	s_cbranch_execnz .LBB220_114
.LBB220_78:                             ;   in Loop: Header=BB220_21 Depth=1
	s_or_b64 exec, exec, s[88:89]
	s_and_saveexec_b64 s[88:89], s[48:49]
	s_cbranch_execnz .LBB220_115
.LBB220_79:                             ;   in Loop: Header=BB220_21 Depth=1
	s_or_b64 exec, exec, s[88:89]
	s_and_saveexec_b64 s[88:89], s[8:9]
	s_cbranch_execnz .LBB220_116
.LBB220_80:                             ;   in Loop: Header=BB220_21 Depth=1
	s_or_b64 exec, exec, s[88:89]
	v_add_u32_e32 v49, s39, v26
	s_and_saveexec_b64 s[88:89], s[50:51]
	s_cbranch_execnz .LBB220_117
.LBB220_81:                             ;   in Loop: Header=BB220_21 Depth=1
	s_or_b64 exec, exec, s[88:89]
	s_and_saveexec_b64 s[88:89], s[52:53]
	s_cbranch_execnz .LBB220_118
.LBB220_82:                             ;   in Loop: Header=BB220_21 Depth=1
	s_or_b64 exec, exec, s[88:89]
	s_and_saveexec_b64 s[88:89], s[54:55]
	s_cbranch_execnz .LBB220_119
.LBB220_83:                             ;   in Loop: Header=BB220_21 Depth=1
	s_or_b64 exec, exec, s[88:89]
	s_and_saveexec_b64 s[88:89], s[56:57]
	s_cbranch_execnz .LBB220_120
.LBB220_84:                             ;   in Loop: Header=BB220_21 Depth=1
	s_or_b64 exec, exec, s[88:89]
	s_and_saveexec_b64 s[88:89], s[58:59]
	s_cbranch_execnz .LBB220_121
.LBB220_85:                             ;   in Loop: Header=BB220_21 Depth=1
	s_or_b64 exec, exec, s[88:89]
	s_and_saveexec_b64 s[88:89], s[60:61]
	s_cbranch_execnz .LBB220_122
.LBB220_86:                             ;   in Loop: Header=BB220_21 Depth=1
	s_or_b64 exec, exec, s[88:89]
	s_and_saveexec_b64 s[88:89], s[62:63]
	s_cbranch_execnz .LBB220_123
.LBB220_87:                             ;   in Loop: Header=BB220_21 Depth=1
	s_or_b64 exec, exec, s[88:89]
	s_and_saveexec_b64 s[88:89], s[10:11]
	s_cbranch_execnz .LBB220_124
.LBB220_88:                             ;   in Loop: Header=BB220_21 Depth=1
	s_or_b64 exec, exec, s[88:89]
	v_add_u32_e32 v49, s39, v28
	s_and_saveexec_b64 s[88:89], s[64:65]
	s_cbranch_execnz .LBB220_125
.LBB220_89:                             ;   in Loop: Header=BB220_21 Depth=1
	s_or_b64 exec, exec, s[88:89]
	s_and_saveexec_b64 s[88:89], s[66:67]
	s_cbranch_execnz .LBB220_126
.LBB220_90:                             ;   in Loop: Header=BB220_21 Depth=1
	s_or_b64 exec, exec, s[88:89]
	s_and_saveexec_b64 s[88:89], s[68:69]
	s_cbranch_execnz .LBB220_127
.LBB220_91:                             ;   in Loop: Header=BB220_21 Depth=1
	s_or_b64 exec, exec, s[88:89]
	s_and_saveexec_b64 s[88:89], s[70:71]
	s_cbranch_execnz .LBB220_128
.LBB220_92:                             ;   in Loop: Header=BB220_21 Depth=1
	s_or_b64 exec, exec, s[88:89]
	s_and_saveexec_b64 s[88:89], s[72:73]
	s_cbranch_execnz .LBB220_129
.LBB220_93:                             ;   in Loop: Header=BB220_21 Depth=1
	s_or_b64 exec, exec, s[88:89]
	s_and_saveexec_b64 s[88:89], s[2:3]
	s_cbranch_execnz .LBB220_130
.LBB220_94:                             ;   in Loop: Header=BB220_21 Depth=1
	s_or_b64 exec, exec, s[88:89]
	s_and_saveexec_b64 s[88:89], s[74:75]
	s_cbranch_execnz .LBB220_131
.LBB220_95:                             ;   in Loop: Header=BB220_21 Depth=1
	s_or_b64 exec, exec, s[88:89]
	s_and_saveexec_b64 s[88:89], s[12:13]
	s_cbranch_execnz .LBB220_132
.LBB220_96:                             ;   in Loop: Header=BB220_21 Depth=1
	s_or_b64 exec, exec, s[88:89]
	v_add_u32_e32 v49, s39, v30
	s_and_saveexec_b64 s[88:89], s[76:77]
	s_cbranch_execnz .LBB220_133
.LBB220_97:                             ;   in Loop: Header=BB220_21 Depth=1
	s_or_b64 exec, exec, s[88:89]
	s_and_saveexec_b64 s[88:89], s[78:79]
	s_cbranch_execnz .LBB220_134
.LBB220_98:                             ;   in Loop: Header=BB220_21 Depth=1
	s_or_b64 exec, exec, s[88:89]
	s_and_saveexec_b64 s[88:89], s[80:81]
	s_cbranch_execnz .LBB220_135
.LBB220_99:                             ;   in Loop: Header=BB220_21 Depth=1
	s_or_b64 exec, exec, s[88:89]
	s_and_saveexec_b64 s[88:89], s[82:83]
	s_cbranch_execnz .LBB220_136
.LBB220_100:                            ;   in Loop: Header=BB220_21 Depth=1
	s_or_b64 exec, exec, s[88:89]
	s_and_saveexec_b64 s[88:89], s[84:85]
	s_cbranch_execnz .LBB220_137
.LBB220_101:                            ;   in Loop: Header=BB220_21 Depth=1
	s_or_b64 exec, exec, s[88:89]
	s_and_saveexec_b64 s[88:89], s[86:87]
	s_cbranch_execnz .LBB220_138
.LBB220_102:                            ;   in Loop: Header=BB220_21 Depth=1
	s_or_b64 exec, exec, s[88:89]
	s_and_saveexec_b64 s[88:89], s[6:7]
	s_cbranch_execnz .LBB220_139
.LBB220_103:                            ;   in Loop: Header=BB220_21 Depth=1
	s_or_b64 exec, exec, s[88:89]
	s_and_saveexec_b64 s[88:89], s[14:15]
	s_cbranch_execnz .LBB220_140
.LBB220_104:                            ;   in Loop: Header=BB220_21 Depth=1
	s_or_b64 exec, exec, s[88:89]
	v_add_u32_e32 v47, s39, v32
	s_and_saveexec_b64 s[88:89], s[18:19]
	s_cbranch_execnz .LBB220_141
.LBB220_105:                            ;   in Loop: Header=BB220_21 Depth=1
	s_or_b64 exec, exec, s[88:89]
	s_and_saveexec_b64 s[88:89], s[20:21]
	s_cbranch_execnz .LBB220_142
.LBB220_106:                            ;   in Loop: Header=BB220_21 Depth=1
	s_or_b64 exec, exec, s[88:89]
	s_and_saveexec_b64 s[88:89], s[22:23]
	s_cbranch_execnz .LBB220_143
.LBB220_107:                            ;   in Loop: Header=BB220_21 Depth=1
	s_or_b64 exec, exec, s[88:89]
	s_and_saveexec_b64 s[88:89], s[24:25]
	s_cbranch_execnz .LBB220_144
.LBB220_108:                            ;   in Loop: Header=BB220_21 Depth=1
	s_or_b64 exec, exec, s[88:89]
	s_and_saveexec_b64 s[88:89], s[26:27]
	s_cbranch_execnz .LBB220_145
.LBB220_109:                            ;   in Loop: Header=BB220_21 Depth=1
	s_or_b64 exec, exec, s[88:89]
	s_and_saveexec_b64 s[88:89], s[28:29]
	s_cbranch_execnz .LBB220_146
.LBB220_110:                            ;   in Loop: Header=BB220_21 Depth=1
	s_or_b64 exec, exec, s[88:89]
	s_and_saveexec_b64 s[88:89], s[30:31]
	s_cbranch_execnz .LBB220_147
.LBB220_111:                            ;   in Loop: Header=BB220_21 Depth=1
	s_or_b64 exec, exec, s[88:89]
	s_and_saveexec_b64 s[88:89], s[16:17]
	s_cbranch_execz .LBB220_20
	s_branch .LBB220_148
.LBB220_112:                            ;   in Loop: Header=BB220_21 Depth=1
	v_cndmask_b32_e32 v50, v14, v24, vcc
	v_add_u32_e32 v50, s39, v50
	v_add_u32_e32 v50, 0x60, v50
	v_ashrrev_i32_e32 v51, 31, v50
	v_lshlrev_b64 v[50:51], 3, v[50:51]
	v_mov_b32_e32 v52, s43
	v_add_co_u32_e64 v50, s[0:1], s42, v50
	v_addc_co_u32_e64 v51, s[0:1], v52, v51, s[0:1]
	global_load_dwordx2 v[50:51], v[50:51], off
	v_add3_u32 v52, v0, v11, s33
	v_ashrrev_i32_e32 v53, 31, v52
	v_lshlrev_b64 v[54:55], 2, v[52:53]
	v_mov_b32_e32 v56, s5
	v_add_co_u32_e64 v54, s[0:1], s4, v54
	v_addc_co_u32_e64 v55, s[0:1], v56, v55, s[0:1]
	v_lshlrev_b64 v[52:53], 3, v[52:53]
	global_store_dword v[54:55], v27, off
	v_mov_b32_e32 v54, s41
	v_add_co_u32_e64 v52, s[0:1], s40, v52
	v_addc_co_u32_e64 v53, s[0:1], v54, v53, s[0:1]
	s_waitcnt vmcnt(1)
	global_store_dwordx2 v[52:53], v[50:51], off
	s_or_b64 exec, exec, s[88:89]
	s_and_saveexec_b64 s[88:89], s[44:45]
	s_cbranch_execz .LBB220_77
.LBB220_113:                            ;   in Loop: Header=BB220_21 Depth=1
	v_add_u32_e32 v50, 0x80, v49
	v_add_u32_e32 v51, 0x60, v44
	v_cndmask_b32_e32 v50, v51, v50, vcc
	v_ashrrev_i32_e32 v51, 31, v50
	v_lshlrev_b64 v[50:51], 3, v[50:51]
	v_mov_b32_e32 v52, s43
	v_add_co_u32_e64 v50, s[0:1], s42, v50
	v_addc_co_u32_e64 v51, s[0:1], v52, v51, s[0:1]
	global_load_dwordx2 v[50:51], v[50:51], off
	v_add3_u32 v52, v0, v11, s90
	v_ashrrev_i32_e32 v53, 31, v52
	v_lshlrev_b64 v[54:55], 2, v[52:53]
	v_mov_b32_e32 v56, s5
	v_add_co_u32_e64 v54, s[0:1], s4, v54
	v_addc_co_u32_e64 v55, s[0:1], v56, v55, s[0:1]
	v_lshlrev_b64 v[52:53], 3, v[52:53]
	global_store_dword v[54:55], v29, off
	v_mov_b32_e32 v54, s41
	v_add_co_u32_e64 v52, s[0:1], s40, v52
	v_addc_co_u32_e64 v53, s[0:1], v54, v53, s[0:1]
	s_waitcnt vmcnt(1)
	global_store_dwordx2 v[52:53], v[50:51], off
	s_or_b64 exec, exec, s[88:89]
	s_and_saveexec_b64 s[88:89], s[46:47]
	s_cbranch_execz .LBB220_78
.LBB220_114:                            ;   in Loop: Header=BB220_21 Depth=1
	v_add_u32_e32 v50, 0xa0, v49
	v_add_u32_e32 v51, 0x60, v45
	v_cndmask_b32_e32 v50, v51, v50, vcc
	v_ashrrev_i32_e32 v51, 31, v50
	v_lshlrev_b64 v[50:51], 3, v[50:51]
	v_mov_b32_e32 v52, s43
	v_add_co_u32_e64 v50, s[0:1], s42, v50
	v_addc_co_u32_e64 v51, s[0:1], v52, v51, s[0:1]
	global_load_dwordx2 v[50:51], v[50:51], off
	v_add3_u32 v52, v0, v11, s91
	v_ashrrev_i32_e32 v53, 31, v52
	v_lshlrev_b64 v[54:55], 2, v[52:53]
	v_mov_b32_e32 v56, s5
	v_add_co_u32_e64 v54, s[0:1], s4, v54
	v_addc_co_u32_e64 v55, s[0:1], v56, v55, s[0:1]
	v_lshlrev_b64 v[52:53], 3, v[52:53]
	global_store_dword v[54:55], v31, off
	v_mov_b32_e32 v54, s41
	v_add_co_u32_e64 v52, s[0:1], s40, v52
	v_addc_co_u32_e64 v53, s[0:1], v54, v53, s[0:1]
	s_waitcnt vmcnt(1)
	global_store_dwordx2 v[52:53], v[50:51], off
	s_or_b64 exec, exec, s[88:89]
	s_and_saveexec_b64 s[88:89], s[48:49]
	s_cbranch_execz .LBB220_79
.LBB220_115:                            ;   in Loop: Header=BB220_21 Depth=1
	v_add_u32_e32 v50, 0xc0, v49
	v_add_u32_e32 v51, 0x60, v46
	v_cndmask_b32_e32 v50, v51, v50, vcc
	v_ashrrev_i32_e32 v51, 31, v50
	v_lshlrev_b64 v[50:51], 3, v[50:51]
	v_mov_b32_e32 v52, s43
	v_add_co_u32_e64 v50, s[0:1], s42, v50
	v_addc_co_u32_e64 v51, s[0:1], v52, v51, s[0:1]
	global_load_dwordx2 v[50:51], v[50:51], off
	v_add3_u32 v52, v0, v11, s92
	v_ashrrev_i32_e32 v53, 31, v52
	v_lshlrev_b64 v[54:55], 2, v[52:53]
	v_mov_b32_e32 v56, s5
	v_add_co_u32_e64 v54, s[0:1], s4, v54
	v_addc_co_u32_e64 v55, s[0:1], v56, v55, s[0:1]
	v_lshlrev_b64 v[52:53], 3, v[52:53]
	global_store_dword v[54:55], v33, off
	v_mov_b32_e32 v54, s41
	v_add_co_u32_e64 v52, s[0:1], s40, v52
	v_addc_co_u32_e64 v53, s[0:1], v54, v53, s[0:1]
	s_waitcnt vmcnt(1)
	global_store_dwordx2 v[52:53], v[50:51], off
	s_or_b64 exec, exec, s[88:89]
	s_and_saveexec_b64 s[88:89], s[8:9]
	s_cbranch_execz .LBB220_80
.LBB220_116:                            ;   in Loop: Header=BB220_21 Depth=1
	v_add_u32_e32 v49, 0xe0, v49
	v_add_u32_e32 v50, 0x60, v47
	v_cndmask_b32_e32 v50, v50, v49, vcc
	v_ashrrev_i32_e32 v51, 31, v50
	v_lshlrev_b64 v[50:51], 3, v[50:51]
	v_mov_b32_e32 v49, s43
	v_add_co_u32_e64 v50, s[0:1], s42, v50
	v_addc_co_u32_e64 v51, s[0:1], v49, v51, s[0:1]
	global_load_dwordx2 v[50:51], v[50:51], off
	v_add3_u32 v52, v0, v11, s93
	v_ashrrev_i32_e32 v53, 31, v52
	v_lshlrev_b64 v[54:55], 2, v[52:53]
	v_mov_b32_e32 v49, s5
	v_add_co_u32_e64 v54, s[0:1], s4, v54
	v_addc_co_u32_e64 v55, s[0:1], v49, v55, s[0:1]
	v_lshlrev_b64 v[52:53], 3, v[52:53]
	v_mov_b32_e32 v49, s41
	v_add_co_u32_e64 v52, s[0:1], s40, v52
	v_addc_co_u32_e64 v53, s[0:1], v49, v53, s[0:1]
	global_store_dword v[54:55], v40, off
	s_waitcnt vmcnt(1)
	global_store_dwordx2 v[52:53], v[50:51], off
	s_or_b64 exec, exec, s[88:89]
	v_add_u32_e32 v49, s39, v26
	s_and_saveexec_b64 s[88:89], s[50:51]
	s_cbranch_execz .LBB220_81
.LBB220_117:                            ;   in Loop: Header=BB220_21 Depth=1
	v_add_u32_e32 v50, 0x80, v48
	v_cndmask_b32_e32 v50, v50, v49, vcc
	v_ashrrev_i32_e32 v51, 31, v50
	v_lshlrev_b64 v[50:51], 3, v[50:51]
	v_mov_b32_e32 v52, s43
	v_add_co_u32_e64 v50, s[0:1], s42, v50
	v_addc_co_u32_e64 v51, s[0:1], v52, v51, s[0:1]
	global_load_dwordx2 v[50:51], v[50:51], off
	v_add_u32_e32 v52, v0, v9
	v_ashrrev_i32_e32 v53, 31, v52
	v_lshlrev_b64 v[54:55], 2, v[52:53]
	v_mov_b32_e32 v56, s5
	v_add_co_u32_e64 v54, s[0:1], s4, v54
	v_addc_co_u32_e64 v55, s[0:1], v56, v55, s[0:1]
	v_lshlrev_b64 v[52:53], 3, v[52:53]
	global_store_dword v[54:55], v21, off
	v_mov_b32_e32 v54, s41
	v_add_co_u32_e64 v52, s[0:1], s40, v52
	v_addc_co_u32_e64 v53, s[0:1], v54, v53, s[0:1]
	s_waitcnt vmcnt(1)
	global_store_dwordx2 v[52:53], v[50:51], off
	s_or_b64 exec, exec, s[88:89]
	s_and_saveexec_b64 s[88:89], s[52:53]
	s_cbranch_execz .LBB220_82
.LBB220_118:                            ;   in Loop: Header=BB220_21 Depth=1
	v_add3_u32 v50, v26, s39, 32
	v_add_u32_e32 v51, 0x80, v41
	v_cndmask_b32_e32 v50, v51, v50, vcc
	v_ashrrev_i32_e32 v51, 31, v50
	v_lshlrev_b64 v[50:51], 3, v[50:51]
	v_mov_b32_e32 v52, s43
	v_add_co_u32_e64 v50, s[0:1], s42, v50
	v_addc_co_u32_e64 v51, s[0:1], v52, v51, s[0:1]
	global_load_dwordx2 v[50:51], v[50:51], off
	v_add3_u32 v52, v0, v9, 32
	v_ashrrev_i32_e32 v53, 31, v52
	v_lshlrev_b64 v[54:55], 2, v[52:53]
	v_mov_b32_e32 v56, s5
	v_add_co_u32_e64 v54, s[0:1], s4, v54
	v_addc_co_u32_e64 v55, s[0:1], v56, v55, s[0:1]
	v_lshlrev_b64 v[52:53], 3, v[52:53]
	global_store_dword v[54:55], v23, off
	v_mov_b32_e32 v54, s41
	v_add_co_u32_e64 v52, s[0:1], s40, v52
	v_addc_co_u32_e64 v53, s[0:1], v54, v53, s[0:1]
	s_waitcnt vmcnt(1)
	global_store_dwordx2 v[52:53], v[50:51], off
	s_or_b64 exec, exec, s[88:89]
	s_and_saveexec_b64 s[88:89], s[54:55]
	s_cbranch_execz .LBB220_83
.LBB220_119:                            ;   in Loop: Header=BB220_21 Depth=1
	v_add3_u32 v50, v26, s39, 64
	v_add_u32_e32 v51, 0x80, v42
	v_cndmask_b32_e32 v50, v51, v50, vcc
	v_ashrrev_i32_e32 v51, 31, v50
	v_lshlrev_b64 v[50:51], 3, v[50:51]
	v_mov_b32_e32 v52, s43
	v_add_co_u32_e64 v50, s[0:1], s42, v50
	v_addc_co_u32_e64 v51, s[0:1], v52, v51, s[0:1]
	global_load_dwordx2 v[50:51], v[50:51], off
	v_add3_u32 v52, v0, v9, 64
	v_ashrrev_i32_e32 v53, 31, v52
	v_lshlrev_b64 v[54:55], 2, v[52:53]
	v_mov_b32_e32 v56, s5
	v_add_co_u32_e64 v54, s[0:1], s4, v54
	v_addc_co_u32_e64 v55, s[0:1], v56, v55, s[0:1]
	v_lshlrev_b64 v[52:53], 3, v[52:53]
	global_store_dword v[54:55], v25, off
	v_mov_b32_e32 v54, s41
	v_add_co_u32_e64 v52, s[0:1], s40, v52
	v_addc_co_u32_e64 v53, s[0:1], v54, v53, s[0:1]
	s_waitcnt vmcnt(1)
	global_store_dwordx2 v[52:53], v[50:51], off
	s_or_b64 exec, exec, s[88:89]
	s_and_saveexec_b64 s[88:89], s[56:57]
	s_cbranch_execz .LBB220_84
.LBB220_120:                            ;   in Loop: Header=BB220_21 Depth=1
	v_add_u32_e32 v50, 0x60, v49
	v_add_u32_e32 v51, 0x80, v43
	v_cndmask_b32_e32 v50, v51, v50, vcc
	v_ashrrev_i32_e32 v51, 31, v50
	v_lshlrev_b64 v[50:51], 3, v[50:51]
	v_mov_b32_e32 v52, s43
	v_add_co_u32_e64 v50, s[0:1], s42, v50
	v_addc_co_u32_e64 v51, s[0:1], v52, v51, s[0:1]
	global_load_dwordx2 v[50:51], v[50:51], off
	v_add3_u32 v52, v0, v9, s33
	v_ashrrev_i32_e32 v53, 31, v52
	v_lshlrev_b64 v[54:55], 2, v[52:53]
	v_mov_b32_e32 v56, s5
	v_add_co_u32_e64 v54, s[0:1], s4, v54
	v_addc_co_u32_e64 v55, s[0:1], v56, v55, s[0:1]
	v_lshlrev_b64 v[52:53], 3, v[52:53]
	global_store_dword v[54:55], v27, off
	v_mov_b32_e32 v54, s41
	v_add_co_u32_e64 v52, s[0:1], s40, v52
	v_addc_co_u32_e64 v53, s[0:1], v54, v53, s[0:1]
	s_waitcnt vmcnt(1)
	global_store_dwordx2 v[52:53], v[50:51], off
	s_or_b64 exec, exec, s[88:89]
	s_and_saveexec_b64 s[88:89], s[58:59]
	s_cbranch_execz .LBB220_85
.LBB220_121:                            ;   in Loop: Header=BB220_21 Depth=1
	v_cndmask_b32_e32 v50, v12, v26, vcc
	v_add_u32_e32 v50, s39, v50
	v_add_u32_e32 v50, 0x80, v50
	v_ashrrev_i32_e32 v51, 31, v50
	v_lshlrev_b64 v[50:51], 3, v[50:51]
	v_mov_b32_e32 v52, s43
	v_add_co_u32_e64 v50, s[0:1], s42, v50
	v_addc_co_u32_e64 v51, s[0:1], v52, v51, s[0:1]
	global_load_dwordx2 v[50:51], v[50:51], off
	v_add3_u32 v52, v0, v9, s90
	v_ashrrev_i32_e32 v53, 31, v52
	v_lshlrev_b64 v[54:55], 2, v[52:53]
	v_mov_b32_e32 v56, s5
	v_add_co_u32_e64 v54, s[0:1], s4, v54
	v_addc_co_u32_e64 v55, s[0:1], v56, v55, s[0:1]
	v_lshlrev_b64 v[52:53], 3, v[52:53]
	global_store_dword v[54:55], v29, off
	v_mov_b32_e32 v54, s41
	v_add_co_u32_e64 v52, s[0:1], s40, v52
	v_addc_co_u32_e64 v53, s[0:1], v54, v53, s[0:1]
	s_waitcnt vmcnt(1)
	global_store_dwordx2 v[52:53], v[50:51], off
	s_or_b64 exec, exec, s[88:89]
	s_and_saveexec_b64 s[88:89], s[60:61]
	s_cbranch_execz .LBB220_86
.LBB220_122:                            ;   in Loop: Header=BB220_21 Depth=1
	v_add_u32_e32 v50, 0xa0, v49
	v_add_u32_e32 v51, 0x80, v45
	v_cndmask_b32_e32 v50, v51, v50, vcc
	v_ashrrev_i32_e32 v51, 31, v50
	v_lshlrev_b64 v[50:51], 3, v[50:51]
	v_mov_b32_e32 v52, s43
	v_add_co_u32_e64 v50, s[0:1], s42, v50
	v_addc_co_u32_e64 v51, s[0:1], v52, v51, s[0:1]
	global_load_dwordx2 v[50:51], v[50:51], off
	v_add3_u32 v52, v0, v9, s91
	v_ashrrev_i32_e32 v53, 31, v52
	v_lshlrev_b64 v[54:55], 2, v[52:53]
	v_mov_b32_e32 v56, s5
	v_add_co_u32_e64 v54, s[0:1], s4, v54
	v_addc_co_u32_e64 v55, s[0:1], v56, v55, s[0:1]
	v_lshlrev_b64 v[52:53], 3, v[52:53]
	global_store_dword v[54:55], v31, off
	v_mov_b32_e32 v54, s41
	v_add_co_u32_e64 v52, s[0:1], s40, v52
	v_addc_co_u32_e64 v53, s[0:1], v54, v53, s[0:1]
	s_waitcnt vmcnt(1)
	global_store_dwordx2 v[52:53], v[50:51], off
	s_or_b64 exec, exec, s[88:89]
	s_and_saveexec_b64 s[88:89], s[62:63]
	s_cbranch_execz .LBB220_87
.LBB220_123:                            ;   in Loop: Header=BB220_21 Depth=1
	v_add_u32_e32 v50, 0xc0, v49
	v_add_u32_e32 v51, 0x80, v46
	v_cndmask_b32_e32 v50, v51, v50, vcc
	v_ashrrev_i32_e32 v51, 31, v50
	v_lshlrev_b64 v[50:51], 3, v[50:51]
	v_mov_b32_e32 v52, s43
	v_add_co_u32_e64 v50, s[0:1], s42, v50
	v_addc_co_u32_e64 v51, s[0:1], v52, v51, s[0:1]
	global_load_dwordx2 v[50:51], v[50:51], off
	v_add3_u32 v52, v0, v9, s92
	v_ashrrev_i32_e32 v53, 31, v52
	v_lshlrev_b64 v[54:55], 2, v[52:53]
	v_mov_b32_e32 v56, s5
	v_add_co_u32_e64 v54, s[0:1], s4, v54
	v_addc_co_u32_e64 v55, s[0:1], v56, v55, s[0:1]
	v_lshlrev_b64 v[52:53], 3, v[52:53]
	global_store_dword v[54:55], v33, off
	v_mov_b32_e32 v54, s41
	v_add_co_u32_e64 v52, s[0:1], s40, v52
	v_addc_co_u32_e64 v53, s[0:1], v54, v53, s[0:1]
	s_waitcnt vmcnt(1)
	global_store_dwordx2 v[52:53], v[50:51], off
	s_or_b64 exec, exec, s[88:89]
	s_and_saveexec_b64 s[88:89], s[10:11]
	s_cbranch_execz .LBB220_88
.LBB220_124:                            ;   in Loop: Header=BB220_21 Depth=1
	v_add_u32_e32 v49, 0xe0, v49
	v_add_u32_e32 v50, 0x80, v47
	v_cndmask_b32_e32 v50, v50, v49, vcc
	v_ashrrev_i32_e32 v51, 31, v50
	v_lshlrev_b64 v[50:51], 3, v[50:51]
	v_mov_b32_e32 v49, s43
	v_add_co_u32_e64 v50, s[0:1], s42, v50
	v_addc_co_u32_e64 v51, s[0:1], v49, v51, s[0:1]
	global_load_dwordx2 v[50:51], v[50:51], off
	v_add3_u32 v52, v0, v9, s93
	v_ashrrev_i32_e32 v53, 31, v52
	v_lshlrev_b64 v[54:55], 2, v[52:53]
	v_mov_b32_e32 v49, s5
	v_add_co_u32_e64 v54, s[0:1], s4, v54
	v_addc_co_u32_e64 v55, s[0:1], v49, v55, s[0:1]
	v_lshlrev_b64 v[52:53], 3, v[52:53]
	v_mov_b32_e32 v49, s41
	v_add_co_u32_e64 v52, s[0:1], s40, v52
	v_addc_co_u32_e64 v53, s[0:1], v49, v53, s[0:1]
	global_store_dword v[54:55], v40, off
	s_waitcnt vmcnt(1)
	global_store_dwordx2 v[52:53], v[50:51], off
	s_or_b64 exec, exec, s[88:89]
	v_add_u32_e32 v49, s39, v28
	s_and_saveexec_b64 s[88:89], s[64:65]
	s_cbranch_execz .LBB220_89
.LBB220_125:                            ;   in Loop: Header=BB220_21 Depth=1
	v_add_u32_e32 v50, 0xa0, v48
	v_cndmask_b32_e32 v50, v50, v49, vcc
	v_ashrrev_i32_e32 v51, 31, v50
	v_lshlrev_b64 v[50:51], 3, v[50:51]
	v_mov_b32_e32 v52, s43
	v_add_co_u32_e64 v50, s[0:1], s42, v50
	v_addc_co_u32_e64 v51, s[0:1], v52, v51, s[0:1]
	global_load_dwordx2 v[50:51], v[50:51], off
	v_add_u32_e32 v52, v0, v7
	v_ashrrev_i32_e32 v53, 31, v52
	v_lshlrev_b64 v[54:55], 2, v[52:53]
	v_mov_b32_e32 v56, s5
	v_add_co_u32_e64 v54, s[0:1], s4, v54
	v_addc_co_u32_e64 v55, s[0:1], v56, v55, s[0:1]
	v_lshlrev_b64 v[52:53], 3, v[52:53]
	global_store_dword v[54:55], v21, off
	v_mov_b32_e32 v54, s41
	v_add_co_u32_e64 v52, s[0:1], s40, v52
	v_addc_co_u32_e64 v53, s[0:1], v54, v53, s[0:1]
	s_waitcnt vmcnt(1)
	global_store_dwordx2 v[52:53], v[50:51], off
	s_or_b64 exec, exec, s[88:89]
	s_and_saveexec_b64 s[88:89], s[66:67]
	s_cbranch_execz .LBB220_90
.LBB220_126:                            ;   in Loop: Header=BB220_21 Depth=1
	v_add3_u32 v50, v28, s39, 32
	v_add_u32_e32 v51, 0xa0, v41
	v_cndmask_b32_e32 v50, v51, v50, vcc
	v_ashrrev_i32_e32 v51, 31, v50
	v_lshlrev_b64 v[50:51], 3, v[50:51]
	v_mov_b32_e32 v52, s43
	v_add_co_u32_e64 v50, s[0:1], s42, v50
	v_addc_co_u32_e64 v51, s[0:1], v52, v51, s[0:1]
	global_load_dwordx2 v[50:51], v[50:51], off
	v_add3_u32 v52, v0, v7, 32
	v_ashrrev_i32_e32 v53, 31, v52
	v_lshlrev_b64 v[54:55], 2, v[52:53]
	v_mov_b32_e32 v56, s5
	v_add_co_u32_e64 v54, s[0:1], s4, v54
	v_addc_co_u32_e64 v55, s[0:1], v56, v55, s[0:1]
	v_lshlrev_b64 v[52:53], 3, v[52:53]
	global_store_dword v[54:55], v23, off
	v_mov_b32_e32 v54, s41
	v_add_co_u32_e64 v52, s[0:1], s40, v52
	v_addc_co_u32_e64 v53, s[0:1], v54, v53, s[0:1]
	s_waitcnt vmcnt(1)
	global_store_dwordx2 v[52:53], v[50:51], off
	s_or_b64 exec, exec, s[88:89]
	s_and_saveexec_b64 s[88:89], s[68:69]
	s_cbranch_execz .LBB220_91
.LBB220_127:                            ;   in Loop: Header=BB220_21 Depth=1
	v_add3_u32 v50, v28, s39, 64
	v_add_u32_e32 v51, 0xa0, v42
	v_cndmask_b32_e32 v50, v51, v50, vcc
	v_ashrrev_i32_e32 v51, 31, v50
	v_lshlrev_b64 v[50:51], 3, v[50:51]
	v_mov_b32_e32 v52, s43
	v_add_co_u32_e64 v50, s[0:1], s42, v50
	v_addc_co_u32_e64 v51, s[0:1], v52, v51, s[0:1]
	global_load_dwordx2 v[50:51], v[50:51], off
	v_add3_u32 v52, v0, v7, 64
	v_ashrrev_i32_e32 v53, 31, v52
	v_lshlrev_b64 v[54:55], 2, v[52:53]
	v_mov_b32_e32 v56, s5
	v_add_co_u32_e64 v54, s[0:1], s4, v54
	v_addc_co_u32_e64 v55, s[0:1], v56, v55, s[0:1]
	v_lshlrev_b64 v[52:53], 3, v[52:53]
	global_store_dword v[54:55], v25, off
	v_mov_b32_e32 v54, s41
	v_add_co_u32_e64 v52, s[0:1], s40, v52
	v_addc_co_u32_e64 v53, s[0:1], v54, v53, s[0:1]
	s_waitcnt vmcnt(1)
	global_store_dwordx2 v[52:53], v[50:51], off
	s_or_b64 exec, exec, s[88:89]
	s_and_saveexec_b64 s[88:89], s[70:71]
	s_cbranch_execz .LBB220_92
.LBB220_128:                            ;   in Loop: Header=BB220_21 Depth=1
	v_add_u32_e32 v50, 0x60, v49
	v_add_u32_e32 v51, 0xa0, v43
	v_cndmask_b32_e32 v50, v51, v50, vcc
	v_ashrrev_i32_e32 v51, 31, v50
	v_lshlrev_b64 v[50:51], 3, v[50:51]
	v_mov_b32_e32 v52, s43
	v_add_co_u32_e64 v50, s[0:1], s42, v50
	v_addc_co_u32_e64 v51, s[0:1], v52, v51, s[0:1]
	global_load_dwordx2 v[50:51], v[50:51], off
	v_add3_u32 v52, v0, v7, s33
	v_ashrrev_i32_e32 v53, 31, v52
	v_lshlrev_b64 v[54:55], 2, v[52:53]
	v_mov_b32_e32 v56, s5
	v_add_co_u32_e64 v54, s[0:1], s4, v54
	v_addc_co_u32_e64 v55, s[0:1], v56, v55, s[0:1]
	v_lshlrev_b64 v[52:53], 3, v[52:53]
	global_store_dword v[54:55], v27, off
	v_mov_b32_e32 v54, s41
	v_add_co_u32_e64 v52, s[0:1], s40, v52
	v_addc_co_u32_e64 v53, s[0:1], v54, v53, s[0:1]
	s_waitcnt vmcnt(1)
	global_store_dwordx2 v[52:53], v[50:51], off
	s_or_b64 exec, exec, s[88:89]
	s_and_saveexec_b64 s[88:89], s[72:73]
	s_cbranch_execz .LBB220_93
.LBB220_129:                            ;   in Loop: Header=BB220_21 Depth=1
	v_add_u32_e32 v50, 0x80, v49
	v_add_u32_e32 v51, 0xa0, v44
	v_cndmask_b32_e32 v50, v51, v50, vcc
	v_ashrrev_i32_e32 v51, 31, v50
	v_lshlrev_b64 v[50:51], 3, v[50:51]
	v_mov_b32_e32 v52, s43
	v_add_co_u32_e64 v50, s[0:1], s42, v50
	v_addc_co_u32_e64 v51, s[0:1], v52, v51, s[0:1]
	global_load_dwordx2 v[50:51], v[50:51], off
	v_add3_u32 v52, v0, v7, s90
	v_ashrrev_i32_e32 v53, 31, v52
	v_lshlrev_b64 v[54:55], 2, v[52:53]
	v_mov_b32_e32 v56, s5
	v_add_co_u32_e64 v54, s[0:1], s4, v54
	v_addc_co_u32_e64 v55, s[0:1], v56, v55, s[0:1]
	v_lshlrev_b64 v[52:53], 3, v[52:53]
	global_store_dword v[54:55], v29, off
	v_mov_b32_e32 v54, s41
	v_add_co_u32_e64 v52, s[0:1], s40, v52
	v_addc_co_u32_e64 v53, s[0:1], v54, v53, s[0:1]
	s_waitcnt vmcnt(1)
	global_store_dwordx2 v[52:53], v[50:51], off
	s_or_b64 exec, exec, s[88:89]
	s_and_saveexec_b64 s[88:89], s[2:3]
	s_cbranch_execz .LBB220_94
.LBB220_130:                            ;   in Loop: Header=BB220_21 Depth=1
	v_cndmask_b32_e32 v50, v10, v28, vcc
	v_add_u32_e32 v50, s39, v50
	v_add_u32_e32 v50, 0xa0, v50
	v_ashrrev_i32_e32 v51, 31, v50
	v_lshlrev_b64 v[50:51], 3, v[50:51]
	v_mov_b32_e32 v52, s43
	v_add_co_u32_e64 v50, s[0:1], s42, v50
	v_addc_co_u32_e64 v51, s[0:1], v52, v51, s[0:1]
	global_load_dwordx2 v[50:51], v[50:51], off
	v_add3_u32 v52, v0, v7, s91
	v_ashrrev_i32_e32 v53, 31, v52
	v_lshlrev_b64 v[54:55], 2, v[52:53]
	v_mov_b32_e32 v56, s5
	v_add_co_u32_e64 v54, s[0:1], s4, v54
	v_addc_co_u32_e64 v55, s[0:1], v56, v55, s[0:1]
	v_lshlrev_b64 v[52:53], 3, v[52:53]
	global_store_dword v[54:55], v31, off
	v_mov_b32_e32 v54, s41
	v_add_co_u32_e64 v52, s[0:1], s40, v52
	v_addc_co_u32_e64 v53, s[0:1], v54, v53, s[0:1]
	s_waitcnt vmcnt(1)
	global_store_dwordx2 v[52:53], v[50:51], off
	s_or_b64 exec, exec, s[88:89]
	s_and_saveexec_b64 s[88:89], s[74:75]
	s_cbranch_execz .LBB220_95
.LBB220_131:                            ;   in Loop: Header=BB220_21 Depth=1
	v_add_u32_e32 v50, 0xc0, v49
	v_add_u32_e32 v51, 0xa0, v46
	v_cndmask_b32_e32 v50, v51, v50, vcc
	v_ashrrev_i32_e32 v51, 31, v50
	v_lshlrev_b64 v[50:51], 3, v[50:51]
	v_mov_b32_e32 v52, s43
	v_add_co_u32_e64 v50, s[0:1], s42, v50
	v_addc_co_u32_e64 v51, s[0:1], v52, v51, s[0:1]
	global_load_dwordx2 v[50:51], v[50:51], off
	v_add3_u32 v52, v0, v7, s92
	v_ashrrev_i32_e32 v53, 31, v52
	v_lshlrev_b64 v[54:55], 2, v[52:53]
	v_mov_b32_e32 v56, s5
	v_add_co_u32_e64 v54, s[0:1], s4, v54
	v_addc_co_u32_e64 v55, s[0:1], v56, v55, s[0:1]
	v_lshlrev_b64 v[52:53], 3, v[52:53]
	global_store_dword v[54:55], v33, off
	v_mov_b32_e32 v54, s41
	v_add_co_u32_e64 v52, s[0:1], s40, v52
	v_addc_co_u32_e64 v53, s[0:1], v54, v53, s[0:1]
	s_waitcnt vmcnt(1)
	global_store_dwordx2 v[52:53], v[50:51], off
	s_or_b64 exec, exec, s[88:89]
	s_and_saveexec_b64 s[88:89], s[12:13]
	s_cbranch_execz .LBB220_96
.LBB220_132:                            ;   in Loop: Header=BB220_21 Depth=1
	v_add_u32_e32 v49, 0xe0, v49
	v_add_u32_e32 v50, 0xa0, v47
	v_cndmask_b32_e32 v50, v50, v49, vcc
	v_ashrrev_i32_e32 v51, 31, v50
	v_lshlrev_b64 v[50:51], 3, v[50:51]
	v_mov_b32_e32 v49, s43
	v_add_co_u32_e64 v50, s[0:1], s42, v50
	v_addc_co_u32_e64 v51, s[0:1], v49, v51, s[0:1]
	global_load_dwordx2 v[50:51], v[50:51], off
	v_add3_u32 v52, v0, v7, s93
	v_ashrrev_i32_e32 v53, 31, v52
	v_lshlrev_b64 v[54:55], 2, v[52:53]
	v_mov_b32_e32 v49, s5
	v_add_co_u32_e64 v54, s[0:1], s4, v54
	v_addc_co_u32_e64 v55, s[0:1], v49, v55, s[0:1]
	v_lshlrev_b64 v[52:53], 3, v[52:53]
	v_mov_b32_e32 v49, s41
	v_add_co_u32_e64 v52, s[0:1], s40, v52
	v_addc_co_u32_e64 v53, s[0:1], v49, v53, s[0:1]
	global_store_dword v[54:55], v40, off
	s_waitcnt vmcnt(1)
	global_store_dwordx2 v[52:53], v[50:51], off
	s_or_b64 exec, exec, s[88:89]
	v_add_u32_e32 v49, s39, v30
	s_and_saveexec_b64 s[88:89], s[76:77]
	s_cbranch_execz .LBB220_97
.LBB220_133:                            ;   in Loop: Header=BB220_21 Depth=1
	v_add_u32_e32 v50, 0xc0, v48
	v_cndmask_b32_e32 v50, v50, v49, vcc
	v_ashrrev_i32_e32 v51, 31, v50
	v_lshlrev_b64 v[50:51], 3, v[50:51]
	v_mov_b32_e32 v52, s43
	v_add_co_u32_e64 v50, s[0:1], s42, v50
	v_addc_co_u32_e64 v51, s[0:1], v52, v51, s[0:1]
	global_load_dwordx2 v[50:51], v[50:51], off
	v_add_u32_e32 v52, v0, v5
	v_ashrrev_i32_e32 v53, 31, v52
	v_lshlrev_b64 v[54:55], 2, v[52:53]
	v_mov_b32_e32 v56, s5
	v_add_co_u32_e64 v54, s[0:1], s4, v54
	v_addc_co_u32_e64 v55, s[0:1], v56, v55, s[0:1]
	v_lshlrev_b64 v[52:53], 3, v[52:53]
	global_store_dword v[54:55], v21, off
	v_mov_b32_e32 v54, s41
	v_add_co_u32_e64 v52, s[0:1], s40, v52
	v_addc_co_u32_e64 v53, s[0:1], v54, v53, s[0:1]
	s_waitcnt vmcnt(1)
	global_store_dwordx2 v[52:53], v[50:51], off
	s_or_b64 exec, exec, s[88:89]
	s_and_saveexec_b64 s[88:89], s[78:79]
	s_cbranch_execz .LBB220_98
.LBB220_134:                            ;   in Loop: Header=BB220_21 Depth=1
	v_add3_u32 v50, v30, s39, 32
	v_add_u32_e32 v51, 0xc0, v41
	v_cndmask_b32_e32 v50, v51, v50, vcc
	v_ashrrev_i32_e32 v51, 31, v50
	v_lshlrev_b64 v[50:51], 3, v[50:51]
	v_mov_b32_e32 v52, s43
	v_add_co_u32_e64 v50, s[0:1], s42, v50
	v_addc_co_u32_e64 v51, s[0:1], v52, v51, s[0:1]
	global_load_dwordx2 v[50:51], v[50:51], off
	v_add3_u32 v52, v0, v5, 32
	v_ashrrev_i32_e32 v53, 31, v52
	v_lshlrev_b64 v[54:55], 2, v[52:53]
	v_mov_b32_e32 v56, s5
	v_add_co_u32_e64 v54, s[0:1], s4, v54
	v_addc_co_u32_e64 v55, s[0:1], v56, v55, s[0:1]
	v_lshlrev_b64 v[52:53], 3, v[52:53]
	global_store_dword v[54:55], v23, off
	v_mov_b32_e32 v54, s41
	v_add_co_u32_e64 v52, s[0:1], s40, v52
	v_addc_co_u32_e64 v53, s[0:1], v54, v53, s[0:1]
	s_waitcnt vmcnt(1)
	global_store_dwordx2 v[52:53], v[50:51], off
	s_or_b64 exec, exec, s[88:89]
	s_and_saveexec_b64 s[88:89], s[80:81]
	s_cbranch_execz .LBB220_99
.LBB220_135:                            ;   in Loop: Header=BB220_21 Depth=1
	v_add3_u32 v50, v30, s39, 64
	v_add_u32_e32 v51, 0xc0, v42
	v_cndmask_b32_e32 v50, v51, v50, vcc
	v_ashrrev_i32_e32 v51, 31, v50
	v_lshlrev_b64 v[50:51], 3, v[50:51]
	v_mov_b32_e32 v52, s43
	v_add_co_u32_e64 v50, s[0:1], s42, v50
	v_addc_co_u32_e64 v51, s[0:1], v52, v51, s[0:1]
	global_load_dwordx2 v[50:51], v[50:51], off
	v_add3_u32 v52, v0, v5, 64
	v_ashrrev_i32_e32 v53, 31, v52
	v_lshlrev_b64 v[54:55], 2, v[52:53]
	v_mov_b32_e32 v56, s5
	v_add_co_u32_e64 v54, s[0:1], s4, v54
	v_addc_co_u32_e64 v55, s[0:1], v56, v55, s[0:1]
	v_lshlrev_b64 v[52:53], 3, v[52:53]
	global_store_dword v[54:55], v25, off
	v_mov_b32_e32 v54, s41
	v_add_co_u32_e64 v52, s[0:1], s40, v52
	v_addc_co_u32_e64 v53, s[0:1], v54, v53, s[0:1]
	s_waitcnt vmcnt(1)
	global_store_dwordx2 v[52:53], v[50:51], off
	s_or_b64 exec, exec, s[88:89]
	s_and_saveexec_b64 s[88:89], s[82:83]
	s_cbranch_execz .LBB220_100
.LBB220_136:                            ;   in Loop: Header=BB220_21 Depth=1
	v_add_u32_e32 v50, 0x60, v49
	v_add_u32_e32 v51, 0xc0, v43
	v_cndmask_b32_e32 v50, v51, v50, vcc
	v_ashrrev_i32_e32 v51, 31, v50
	v_lshlrev_b64 v[50:51], 3, v[50:51]
	v_mov_b32_e32 v52, s43
	v_add_co_u32_e64 v50, s[0:1], s42, v50
	v_addc_co_u32_e64 v51, s[0:1], v52, v51, s[0:1]
	global_load_dwordx2 v[50:51], v[50:51], off
	v_add3_u32 v52, v0, v5, s33
	v_ashrrev_i32_e32 v53, 31, v52
	v_lshlrev_b64 v[54:55], 2, v[52:53]
	v_mov_b32_e32 v56, s5
	v_add_co_u32_e64 v54, s[0:1], s4, v54
	v_addc_co_u32_e64 v55, s[0:1], v56, v55, s[0:1]
	v_lshlrev_b64 v[52:53], 3, v[52:53]
	global_store_dword v[54:55], v27, off
	v_mov_b32_e32 v54, s41
	v_add_co_u32_e64 v52, s[0:1], s40, v52
	v_addc_co_u32_e64 v53, s[0:1], v54, v53, s[0:1]
	s_waitcnt vmcnt(1)
	global_store_dwordx2 v[52:53], v[50:51], off
	s_or_b64 exec, exec, s[88:89]
	s_and_saveexec_b64 s[88:89], s[84:85]
	s_cbranch_execz .LBB220_101
.LBB220_137:                            ;   in Loop: Header=BB220_21 Depth=1
	v_add_u32_e32 v50, 0x80, v49
	v_add_u32_e32 v51, 0xc0, v44
	v_cndmask_b32_e32 v50, v51, v50, vcc
	v_ashrrev_i32_e32 v51, 31, v50
	v_lshlrev_b64 v[50:51], 3, v[50:51]
	v_mov_b32_e32 v52, s43
	v_add_co_u32_e64 v50, s[0:1], s42, v50
	v_addc_co_u32_e64 v51, s[0:1], v52, v51, s[0:1]
	global_load_dwordx2 v[50:51], v[50:51], off
	v_add3_u32 v52, v0, v5, s90
	v_ashrrev_i32_e32 v53, 31, v52
	v_lshlrev_b64 v[54:55], 2, v[52:53]
	v_mov_b32_e32 v56, s5
	v_add_co_u32_e64 v54, s[0:1], s4, v54
	v_addc_co_u32_e64 v55, s[0:1], v56, v55, s[0:1]
	v_lshlrev_b64 v[52:53], 3, v[52:53]
	global_store_dword v[54:55], v29, off
	v_mov_b32_e32 v54, s41
	v_add_co_u32_e64 v52, s[0:1], s40, v52
	v_addc_co_u32_e64 v53, s[0:1], v54, v53, s[0:1]
	s_waitcnt vmcnt(1)
	global_store_dwordx2 v[52:53], v[50:51], off
	s_or_b64 exec, exec, s[88:89]
	s_and_saveexec_b64 s[88:89], s[86:87]
	s_cbranch_execz .LBB220_102
.LBB220_138:                            ;   in Loop: Header=BB220_21 Depth=1
	v_add_u32_e32 v50, 0xa0, v49
	v_add_u32_e32 v51, 0xc0, v45
	v_cndmask_b32_e32 v50, v51, v50, vcc
	v_ashrrev_i32_e32 v51, 31, v50
	v_lshlrev_b64 v[50:51], 3, v[50:51]
	v_mov_b32_e32 v52, s43
	v_add_co_u32_e64 v50, s[0:1], s42, v50
	v_addc_co_u32_e64 v51, s[0:1], v52, v51, s[0:1]
	global_load_dwordx2 v[50:51], v[50:51], off
	v_add3_u32 v52, v0, v5, s91
	v_ashrrev_i32_e32 v53, 31, v52
	v_lshlrev_b64 v[54:55], 2, v[52:53]
	v_mov_b32_e32 v56, s5
	v_add_co_u32_e64 v54, s[0:1], s4, v54
	v_addc_co_u32_e64 v55, s[0:1], v56, v55, s[0:1]
	v_lshlrev_b64 v[52:53], 3, v[52:53]
	global_store_dword v[54:55], v31, off
	v_mov_b32_e32 v54, s41
	v_add_co_u32_e64 v52, s[0:1], s40, v52
	v_addc_co_u32_e64 v53, s[0:1], v54, v53, s[0:1]
	s_waitcnt vmcnt(1)
	global_store_dwordx2 v[52:53], v[50:51], off
	s_or_b64 exec, exec, s[88:89]
	s_and_saveexec_b64 s[88:89], s[6:7]
	s_cbranch_execz .LBB220_103
.LBB220_139:                            ;   in Loop: Header=BB220_21 Depth=1
	v_cndmask_b32_e32 v50, v8, v30, vcc
	v_add_u32_e32 v50, s39, v50
	v_add_u32_e32 v50, 0xc0, v50
	v_ashrrev_i32_e32 v51, 31, v50
	v_lshlrev_b64 v[50:51], 3, v[50:51]
	v_mov_b32_e32 v52, s43
	v_add_co_u32_e64 v50, s[0:1], s42, v50
	v_addc_co_u32_e64 v51, s[0:1], v52, v51, s[0:1]
	global_load_dwordx2 v[50:51], v[50:51], off
	v_add3_u32 v52, v0, v5, s92
	v_ashrrev_i32_e32 v53, 31, v52
	v_lshlrev_b64 v[54:55], 2, v[52:53]
	v_mov_b32_e32 v56, s5
	v_add_co_u32_e64 v54, s[0:1], s4, v54
	v_addc_co_u32_e64 v55, s[0:1], v56, v55, s[0:1]
	v_lshlrev_b64 v[52:53], 3, v[52:53]
	global_store_dword v[54:55], v33, off
	v_mov_b32_e32 v54, s41
	v_add_co_u32_e64 v52, s[0:1], s40, v52
	v_addc_co_u32_e64 v53, s[0:1], v54, v53, s[0:1]
	s_waitcnt vmcnt(1)
	global_store_dwordx2 v[52:53], v[50:51], off
	s_or_b64 exec, exec, s[88:89]
	s_and_saveexec_b64 s[88:89], s[14:15]
	s_cbranch_execz .LBB220_104
.LBB220_140:                            ;   in Loop: Header=BB220_21 Depth=1
	v_add_u32_e32 v49, 0xe0, v49
	v_add_u32_e32 v47, 0xc0, v47
	v_cndmask_b32_e32 v50, v47, v49, vcc
	v_ashrrev_i32_e32 v51, 31, v50
	v_lshlrev_b64 v[50:51], 3, v[50:51]
	v_mov_b32_e32 v47, s43
	v_add_co_u32_e64 v50, s[0:1], s42, v50
	v_addc_co_u32_e64 v51, s[0:1], v47, v51, s[0:1]
	global_load_dwordx2 v[50:51], v[50:51], off
	v_add3_u32 v52, v0, v5, s93
	v_ashrrev_i32_e32 v53, 31, v52
	v_lshlrev_b64 v[54:55], 2, v[52:53]
	v_mov_b32_e32 v47, s5
	v_add_co_u32_e64 v54, s[0:1], s4, v54
	v_addc_co_u32_e64 v55, s[0:1], v47, v55, s[0:1]
	v_lshlrev_b64 v[52:53], 3, v[52:53]
	v_mov_b32_e32 v47, s41
	v_add_co_u32_e64 v52, s[0:1], s40, v52
	v_addc_co_u32_e64 v53, s[0:1], v47, v53, s[0:1]
	global_store_dword v[54:55], v40, off
	s_waitcnt vmcnt(1)
	global_store_dwordx2 v[52:53], v[50:51], off
	s_or_b64 exec, exec, s[88:89]
	v_add_u32_e32 v47, s39, v32
	s_and_saveexec_b64 s[88:89], s[18:19]
	s_cbranch_execz .LBB220_105
.LBB220_141:                            ;   in Loop: Header=BB220_21 Depth=1
	v_add_u32_e32 v48, 0xe0, v48
	v_cndmask_b32_e32 v48, v48, v47, vcc
	v_ashrrev_i32_e32 v49, 31, v48
	v_lshlrev_b64 v[48:49], 3, v[48:49]
	v_mov_b32_e32 v50, s43
	v_add_co_u32_e64 v48, s[0:1], s42, v48
	v_addc_co_u32_e64 v49, s[0:1], v50, v49, s[0:1]
	global_load_dwordx2 v[48:49], v[48:49], off
	v_add_u32_e32 v50, v0, v3
	v_ashrrev_i32_e32 v51, 31, v50
	v_lshlrev_b64 v[52:53], 2, v[50:51]
	v_mov_b32_e32 v54, s5
	v_add_co_u32_e64 v52, s[0:1], s4, v52
	v_addc_co_u32_e64 v53, s[0:1], v54, v53, s[0:1]
	v_lshlrev_b64 v[50:51], 3, v[50:51]
	global_store_dword v[52:53], v21, off
	v_mov_b32_e32 v21, s41
	v_add_co_u32_e64 v50, s[0:1], s40, v50
	v_addc_co_u32_e64 v51, s[0:1], v21, v51, s[0:1]
	s_waitcnt vmcnt(1)
	global_store_dwordx2 v[50:51], v[48:49], off
	s_or_b64 exec, exec, s[88:89]
	s_and_saveexec_b64 s[88:89], s[20:21]
	s_cbranch_execz .LBB220_106
.LBB220_142:                            ;   in Loop: Header=BB220_21 Depth=1
	v_add3_u32 v21, v32, s39, 32
	v_add_u32_e32 v41, 0xe0, v41
	v_cndmask_b32_e32 v48, v41, v21, vcc
	v_ashrrev_i32_e32 v49, 31, v48
	v_lshlrev_b64 v[48:49], 3, v[48:49]
	v_mov_b32_e32 v21, s43
	v_add_co_u32_e64 v48, s[0:1], s42, v48
	v_addc_co_u32_e64 v49, s[0:1], v21, v49, s[0:1]
	global_load_dwordx2 v[48:49], v[48:49], off
	v_add3_u32 v50, v0, v3, 32
	v_ashrrev_i32_e32 v51, 31, v50
	v_lshlrev_b64 v[52:53], 2, v[50:51]
	v_mov_b32_e32 v21, s5
	v_add_co_u32_e64 v52, s[0:1], s4, v52
	v_addc_co_u32_e64 v53, s[0:1], v21, v53, s[0:1]
	v_lshlrev_b64 v[50:51], 3, v[50:51]
	v_mov_b32_e32 v21, s41
	v_add_co_u32_e64 v50, s[0:1], s40, v50
	v_addc_co_u32_e64 v51, s[0:1], v21, v51, s[0:1]
	global_store_dword v[52:53], v23, off
	s_waitcnt vmcnt(1)
	global_store_dwordx2 v[50:51], v[48:49], off
	s_or_b64 exec, exec, s[88:89]
	s_and_saveexec_b64 s[88:89], s[22:23]
	s_cbranch_execz .LBB220_107
.LBB220_143:                            ;   in Loop: Header=BB220_21 Depth=1
	v_add3_u32 v21, v32, s39, 64
	v_add_u32_e32 v23, 0xe0, v42
	v_cndmask_b32_e32 v48, v23, v21, vcc
	v_ashrrev_i32_e32 v49, 31, v48
	v_lshlrev_b64 v[48:49], 3, v[48:49]
	v_mov_b32_e32 v21, s43
	v_add_co_u32_e64 v48, s[0:1], s42, v48
	v_addc_co_u32_e64 v49, s[0:1], v21, v49, s[0:1]
	global_load_dwordx2 v[48:49], v[48:49], off
	v_add3_u32 v50, v0, v3, 64
	v_ashrrev_i32_e32 v51, 31, v50
	v_lshlrev_b64 v[52:53], 2, v[50:51]
	v_mov_b32_e32 v21, s5
	v_add_co_u32_e64 v52, s[0:1], s4, v52
	v_addc_co_u32_e64 v53, s[0:1], v21, v53, s[0:1]
	v_lshlrev_b64 v[50:51], 3, v[50:51]
	v_mov_b32_e32 v21, s41
	v_add_co_u32_e64 v50, s[0:1], s40, v50
	v_addc_co_u32_e64 v51, s[0:1], v21, v51, s[0:1]
	global_store_dword v[52:53], v25, off
	s_waitcnt vmcnt(1)
	global_store_dwordx2 v[50:51], v[48:49], off
	s_or_b64 exec, exec, s[88:89]
	s_and_saveexec_b64 s[88:89], s[24:25]
	s_cbranch_execz .LBB220_108
.LBB220_144:                            ;   in Loop: Header=BB220_21 Depth=1
	v_add_u32_e32 v21, 0x60, v47
	v_add_u32_e32 v23, 0xe0, v43
	v_cndmask_b32_e32 v42, v23, v21, vcc
	v_ashrrev_i32_e32 v43, 31, v42
	v_lshlrev_b64 v[42:43], 3, v[42:43]
	v_mov_b32_e32 v21, s43
	v_add_co_u32_e64 v42, s[0:1], s42, v42
	v_addc_co_u32_e64 v43, s[0:1], v21, v43, s[0:1]
	global_load_dwordx2 v[42:43], v[42:43], off
	v_add3_u32 v48, v0, v3, s33
	v_ashrrev_i32_e32 v49, 31, v48
	v_lshlrev_b64 v[50:51], 2, v[48:49]
	v_mov_b32_e32 v21, s5
	v_add_co_u32_e64 v50, s[0:1], s4, v50
	v_addc_co_u32_e64 v51, s[0:1], v21, v51, s[0:1]
	v_lshlrev_b64 v[48:49], 3, v[48:49]
	v_mov_b32_e32 v21, s41
	v_add_co_u32_e64 v48, s[0:1], s40, v48
	v_addc_co_u32_e64 v49, s[0:1], v21, v49, s[0:1]
	global_store_dword v[50:51], v27, off
	s_waitcnt vmcnt(1)
	global_store_dwordx2 v[48:49], v[42:43], off
	s_or_b64 exec, exec, s[88:89]
	s_and_saveexec_b64 s[88:89], s[26:27]
	s_cbranch_execz .LBB220_109
.LBB220_145:                            ;   in Loop: Header=BB220_21 Depth=1
	v_add_u32_e32 v21, 0x80, v47
	v_add_u32_e32 v23, 0xe0, v44
	v_cndmask_b32_e32 v42, v23, v21, vcc
	v_ashrrev_i32_e32 v43, 31, v42
	v_lshlrev_b64 v[42:43], 3, v[42:43]
	v_mov_b32_e32 v21, s43
	v_add_co_u32_e64 v42, s[0:1], s42, v42
	v_addc_co_u32_e64 v43, s[0:1], v21, v43, s[0:1]
	global_load_dwordx2 v[42:43], v[42:43], off
	v_add3_u32 v48, v0, v3, s90
	v_ashrrev_i32_e32 v49, 31, v48
	v_lshlrev_b64 v[50:51], 2, v[48:49]
	v_mov_b32_e32 v21, s5
	v_add_co_u32_e64 v50, s[0:1], s4, v50
	v_addc_co_u32_e64 v51, s[0:1], v21, v51, s[0:1]
	v_lshlrev_b64 v[48:49], 3, v[48:49]
	v_mov_b32_e32 v21, s41
	v_add_co_u32_e64 v48, s[0:1], s40, v48
	v_addc_co_u32_e64 v49, s[0:1], v21, v49, s[0:1]
	global_store_dword v[50:51], v29, off
	s_waitcnt vmcnt(1)
	global_store_dwordx2 v[48:49], v[42:43], off
	s_or_b64 exec, exec, s[88:89]
	s_and_saveexec_b64 s[88:89], s[28:29]
	s_cbranch_execz .LBB220_110
.LBB220_146:                            ;   in Loop: Header=BB220_21 Depth=1
	v_add_u32_e32 v21, 0xa0, v47
	v_add_u32_e32 v23, 0xe0, v45
	v_cndmask_b32_e32 v42, v23, v21, vcc
	v_ashrrev_i32_e32 v43, 31, v42
	v_lshlrev_b64 v[42:43], 3, v[42:43]
	v_mov_b32_e32 v21, s43
	v_add_co_u32_e64 v42, s[0:1], s42, v42
	v_addc_co_u32_e64 v43, s[0:1], v21, v43, s[0:1]
	global_load_dwordx2 v[42:43], v[42:43], off
	v_add3_u32 v44, v0, v3, s91
	v_ashrrev_i32_e32 v45, 31, v44
	v_lshlrev_b64 v[48:49], 2, v[44:45]
	v_mov_b32_e32 v21, s5
	v_add_co_u32_e64 v48, s[0:1], s4, v48
	v_addc_co_u32_e64 v49, s[0:1], v21, v49, s[0:1]
	v_lshlrev_b64 v[44:45], 3, v[44:45]
	v_mov_b32_e32 v21, s41
	v_add_co_u32_e64 v44, s[0:1], s40, v44
	v_addc_co_u32_e64 v45, s[0:1], v21, v45, s[0:1]
	global_store_dword v[48:49], v31, off
	s_waitcnt vmcnt(1)
	global_store_dwordx2 v[44:45], v[42:43], off
	s_or_b64 exec, exec, s[88:89]
	s_and_saveexec_b64 s[88:89], s[30:31]
	s_cbranch_execz .LBB220_111
.LBB220_147:                            ;   in Loop: Header=BB220_21 Depth=1
	v_add_u32_e32 v21, 0xc0, v47
	v_add_u32_e32 v23, 0xe0, v46
	v_cndmask_b32_e32 v42, v23, v21, vcc
	v_ashrrev_i32_e32 v43, 31, v42
	v_lshlrev_b64 v[42:43], 3, v[42:43]
	v_mov_b32_e32 v21, s43
	v_add_co_u32_e64 v42, s[0:1], s42, v42
	v_addc_co_u32_e64 v43, s[0:1], v21, v43, s[0:1]
	global_load_dwordx2 v[42:43], v[42:43], off
	v_add3_u32 v44, v0, v3, s92
	v_ashrrev_i32_e32 v45, 31, v44
	v_lshlrev_b64 v[46:47], 2, v[44:45]
	v_mov_b32_e32 v21, s5
	v_add_co_u32_e64 v46, s[0:1], s4, v46
	v_addc_co_u32_e64 v47, s[0:1], v21, v47, s[0:1]
	v_lshlrev_b64 v[44:45], 3, v[44:45]
	v_mov_b32_e32 v21, s41
	v_add_co_u32_e64 v44, s[0:1], s40, v44
	v_addc_co_u32_e64 v45, s[0:1], v21, v45, s[0:1]
	global_store_dword v[46:47], v33, off
	s_waitcnt vmcnt(1)
	global_store_dwordx2 v[44:45], v[42:43], off
	s_or_b64 exec, exec, s[88:89]
	s_and_saveexec_b64 s[88:89], s[16:17]
	s_cbranch_execz .LBB220_20
.LBB220_148:                            ;   in Loop: Header=BB220_21 Depth=1
	v_cndmask_b32_e32 v21, v6, v32, vcc
	v_add_u32_e32 v21, s39, v21
	v_add_u32_e32 v42, 0xe0, v21
	v_ashrrev_i32_e32 v43, 31, v42
	v_lshlrev_b64 v[42:43], 3, v[42:43]
	v_mov_b32_e32 v21, s43
	v_add_co_u32_e64 v42, s[0:1], s42, v42
	v_addc_co_u32_e64 v43, s[0:1], v21, v43, s[0:1]
	global_load_dwordx2 v[42:43], v[42:43], off
	v_add3_u32 v44, v0, v3, s93
	v_ashrrev_i32_e32 v45, 31, v44
	v_lshlrev_b64 v[46:47], 2, v[44:45]
	v_mov_b32_e32 v21, s5
	v_add_co_u32_e64 v46, s[0:1], s4, v46
	v_addc_co_u32_e64 v47, s[0:1], v21, v47, s[0:1]
	global_store_dword v[46:47], v40, off
	v_lshlrev_b64 v[40:41], 3, v[44:45]
	v_mov_b32_e32 v21, s41
	v_add_co_u32_e64 v40, s[0:1], s40, v40
	v_addc_co_u32_e64 v41, s[0:1], v21, v41, s[0:1]
	s_waitcnt vmcnt(1)
	global_store_dwordx2 v[40:41], v[42:43], off
	s_branch .LBB220_20
.LBB220_149:
	s_endpgm
	.section	.rodata,"a",@progbits
	.p2align	6, 0x0
	.amdhsa_kernel _ZN9rocsparseL35bsr2csr_block_per_row_33_256_kernelILj1024ELj256ELj32EdiiEEv20rocsparse_direction_T4_S2_21rocsparse_index_base_PKT2_PKT3_PKS2_S2_S3_PS4_PS7_PS2_
		.amdhsa_group_segment_fixed_size 0
		.amdhsa_private_segment_fixed_size 0
		.amdhsa_kernarg_size 72
		.amdhsa_user_sgpr_count 6
		.amdhsa_user_sgpr_private_segment_buffer 1
		.amdhsa_user_sgpr_dispatch_ptr 0
		.amdhsa_user_sgpr_queue_ptr 0
		.amdhsa_user_sgpr_kernarg_segment_ptr 1
		.amdhsa_user_sgpr_dispatch_id 0
		.amdhsa_user_sgpr_flat_scratch_init 0
		.amdhsa_user_sgpr_kernarg_preload_length 0
		.amdhsa_user_sgpr_kernarg_preload_offset 0
		.amdhsa_user_sgpr_private_segment_size 0
		.amdhsa_uses_dynamic_stack 0
		.amdhsa_system_sgpr_private_segment_wavefront_offset 0
		.amdhsa_system_sgpr_workgroup_id_x 1
		.amdhsa_system_sgpr_workgroup_id_y 0
		.amdhsa_system_sgpr_workgroup_id_z 0
		.amdhsa_system_sgpr_workgroup_info 0
		.amdhsa_system_vgpr_workitem_id 0
		.amdhsa_next_free_vgpr 58
		.amdhsa_next_free_sgpr 96
		.amdhsa_accum_offset 60
		.amdhsa_reserve_vcc 1
		.amdhsa_reserve_flat_scratch 0
		.amdhsa_float_round_mode_32 0
		.amdhsa_float_round_mode_16_64 0
		.amdhsa_float_denorm_mode_32 3
		.amdhsa_float_denorm_mode_16_64 3
		.amdhsa_dx10_clamp 1
		.amdhsa_ieee_mode 1
		.amdhsa_fp16_overflow 0
		.amdhsa_tg_split 0
		.amdhsa_exception_fp_ieee_invalid_op 0
		.amdhsa_exception_fp_denorm_src 0
		.amdhsa_exception_fp_ieee_div_zero 0
		.amdhsa_exception_fp_ieee_overflow 0
		.amdhsa_exception_fp_ieee_underflow 0
		.amdhsa_exception_fp_ieee_inexact 0
		.amdhsa_exception_int_div_zero 0
	.end_amdhsa_kernel
	.section	.text._ZN9rocsparseL35bsr2csr_block_per_row_33_256_kernelILj1024ELj256ELj32EdiiEEv20rocsparse_direction_T4_S2_21rocsparse_index_base_PKT2_PKT3_PKS2_S2_S3_PS4_PS7_PS2_,"axG",@progbits,_ZN9rocsparseL35bsr2csr_block_per_row_33_256_kernelILj1024ELj256ELj32EdiiEEv20rocsparse_direction_T4_S2_21rocsparse_index_base_PKT2_PKT3_PKS2_S2_S3_PS4_PS7_PS2_,comdat
.Lfunc_end220:
	.size	_ZN9rocsparseL35bsr2csr_block_per_row_33_256_kernelILj1024ELj256ELj32EdiiEEv20rocsparse_direction_T4_S2_21rocsparse_index_base_PKT2_PKT3_PKS2_S2_S3_PS4_PS7_PS2_, .Lfunc_end220-_ZN9rocsparseL35bsr2csr_block_per_row_33_256_kernelILj1024ELj256ELj32EdiiEEv20rocsparse_direction_T4_S2_21rocsparse_index_base_PKT2_PKT3_PKS2_S2_S3_PS4_PS7_PS2_
                                        ; -- End function
	.section	.AMDGPU.csdata,"",@progbits
; Kernel info:
; codeLenInByte = 13556
; NumSgprs: 100
; NumVgprs: 58
; NumAgprs: 0
; TotalNumVgprs: 58
; ScratchSize: 0
; MemoryBound: 0
; FloatMode: 240
; IeeeMode: 1
; LDSByteSize: 0 bytes/workgroup (compile time only)
; SGPRBlocks: 12
; VGPRBlocks: 7
; NumSGPRsForWavesPerEU: 100
; NumVGPRsForWavesPerEU: 58
; AccumOffset: 60
; Occupancy: 8
; WaveLimiterHint : 1
; COMPUTE_PGM_RSRC2:SCRATCH_EN: 0
; COMPUTE_PGM_RSRC2:USER_SGPR: 6
; COMPUTE_PGM_RSRC2:TRAP_HANDLER: 0
; COMPUTE_PGM_RSRC2:TGID_X_EN: 1
; COMPUTE_PGM_RSRC2:TGID_Y_EN: 0
; COMPUTE_PGM_RSRC2:TGID_Z_EN: 0
; COMPUTE_PGM_RSRC2:TIDIG_COMP_CNT: 0
; COMPUTE_PGM_RSRC3_GFX90A:ACCUM_OFFSET: 14
; COMPUTE_PGM_RSRC3_GFX90A:TG_SPLIT: 0
	.section	.text._ZN9rocsparseL35bsr2csr_block_dim_equals_one_kernelILj1024EdliEEvT2_S1_21rocsparse_index_base_PKT0_PKT1_PKS1_S2_PS3_PS6_PS1_,"axG",@progbits,_ZN9rocsparseL35bsr2csr_block_dim_equals_one_kernelILj1024EdliEEvT2_S1_21rocsparse_index_base_PKT0_PKT1_PKS1_S2_PS3_PS6_PS1_,comdat
	.globl	_ZN9rocsparseL35bsr2csr_block_dim_equals_one_kernelILj1024EdliEEvT2_S1_21rocsparse_index_base_PKT0_PKT1_PKS1_S2_PS3_PS6_PS1_ ; -- Begin function _ZN9rocsparseL35bsr2csr_block_dim_equals_one_kernelILj1024EdliEEvT2_S1_21rocsparse_index_base_PKT0_PKT1_PKS1_S2_PS3_PS6_PS1_
	.p2align	8
	.type	_ZN9rocsparseL35bsr2csr_block_dim_equals_one_kernelILj1024EdliEEvT2_S1_21rocsparse_index_base_PKT0_PKT1_PKS1_S2_PS3_PS6_PS1_,@function
_ZN9rocsparseL35bsr2csr_block_dim_equals_one_kernelILj1024EdliEEvT2_S1_21rocsparse_index_base_PKT0_PKT1_PKS1_S2_PS3_PS6_PS1_: ; @_ZN9rocsparseL35bsr2csr_block_dim_equals_one_kernelILj1024EdliEEvT2_S1_21rocsparse_index_base_PKT0_PKT1_PKS1_S2_PS3_PS6_PS1_
; %bb.0:
	s_load_dword s12, s[4:5], 0x0
	s_load_dwordx2 s[10:11], s[4:5], 0x18
	s_lshl_b32 s22, s6, 10
	v_or_b32_e32 v2, s22, v0
	v_ashrrev_i32_e32 v3, 31, v2
	s_waitcnt lgkmcnt(0)
	v_cmp_le_i32_e32 vcc, s12, v2
	s_and_saveexec_b64 s[0:1], vcc
	s_xor_b64 s[0:1], exec, s[0:1]
	s_or_saveexec_b64 s[14:15], s[0:1]
	s_load_dwordx2 s[0:1], s[4:5], 0x40
	s_load_dwordx2 s[2:3], s[4:5], 0x30
	;; [unrolled: 1-line block ×3, first 2 shown]
	s_load_dword s23, s[4:5], 0x28
	s_load_dwordx2 s[8:9], s[4:5], 0x10
	s_load_dword s24, s[4:5], 0x8
	s_xor_b64 exec, exec, s[14:15]
	s_cbranch_execz .LBB221_6
; %bb.1:
	s_load_dwordx2 s[16:17], s[4:5], 0x38
	v_cmp_ne_u32_e32 vcc, 0, v2
                                        ; implicit-def: $sgpr20_sgpr21
	s_and_saveexec_b64 s[18:19], vcc
	s_xor_b64 s[18:19], exec, s[18:19]
	s_cbranch_execz .LBB221_3
; %bb.2:
	s_waitcnt lgkmcnt(0)
	s_sub_u32 s20, s23, s24
	s_subb_u32 s21, 0, 0
.LBB221_3:
	s_or_saveexec_b64 s[18:19], s[18:19]
	v_pk_mov_b32 v[4:5], s[20:21], s[20:21] op_sel:[0,1]
	s_xor_b64 exec, exec, s[18:19]
	s_cbranch_execz .LBB221_5
; %bb.4:
	s_load_dwordx2 s[20:21], s[10:11], 0x0
	s_waitcnt lgkmcnt(0)
	s_sub_u32 s26, s23, s24
	s_subb_u32 s27, 0, 0
	v_mov_b32_e32 v1, 0
	s_add_u32 s20, s26, s20
	s_addc_u32 s21, s27, s21
	v_pk_mov_b32 v[4:5], s[20:21], s[20:21] op_sel:[0,1]
	global_store_dwordx2 v1, v[4:5], s[16:17]
	v_pk_mov_b32 v[4:5], s[26:27], s[26:27] op_sel:[0,1]
.LBB221_5:
	s_or_b64 exec, exec, s[18:19]
	v_lshlrev_b64 v[6:7], 3, v[2:3]
	v_mov_b32_e32 v1, s11
	v_add_co_u32_e32 v8, vcc, s10, v6
	v_addc_co_u32_e32 v9, vcc, v1, v7, vcc
	global_load_dwordx2 v[8:9], v[8:9], off offset:8
	s_waitcnt lgkmcnt(0)
	v_mov_b32_e32 v1, s17
	s_waitcnt vmcnt(0)
	v_add_co_u32_e32 v4, vcc, v4, v8
	v_addc_co_u32_e32 v5, vcc, v5, v9, vcc
	v_add_co_u32_e32 v6, vcc, s16, v6
	v_addc_co_u32_e32 v7, vcc, v1, v7, vcc
	global_store_dwordx2 v[6:7], v[4:5], off offset:8
.LBB221_6:
	s_or_b64 exec, exec, s[14:15]
	s_ashr_i32 s13, s12, 31
	s_lshl_b64 s[12:13], s[12:13], 3
	s_add_u32 s12, s10, s12
	s_addc_u32 s13, s11, s13
	s_load_dwordx2 s[14:15], s[12:13], 0x0
	s_load_dwordx2 s[16:17], s[10:11], 0x0
	s_waitcnt lgkmcnt(0)
	s_sub_u32 s10, s14, s16
	s_subb_u32 s11, s15, s17
	v_cmp_gt_i64_e32 vcc, s[10:11], v[2:3]
	s_and_saveexec_b64 s[12:13], vcc
	s_cbranch_execz .LBB221_9
; %bb.7:
	s_load_dword s13, s[4:5], 0x48
	v_mov_b32_e32 v5, s1
	v_mov_b32_e32 v4, s7
	s_sub_i32 s12, s23, s24
	s_mov_b64 s[4:5], 0
	s_waitcnt lgkmcnt(0)
	s_lshl_b32 s1, s13, 10
	s_add_i32 s7, s1, s22
	v_add_u32_e32 v0, s7, v0
	v_mov_b32_e32 v6, s9
	v_mov_b32_e32 v7, s3
.LBB221_8:                              ; =>This Inner Loop Header: Depth=1
	v_lshlrev_b64 v[8:9], 2, v[2:3]
	v_add_co_u32_e32 v10, vcc, s6, v8
	v_lshlrev_b64 v[2:3], 3, v[2:3]
	v_addc_co_u32_e32 v11, vcc, v4, v9, vcc
	v_add_co_u32_e32 v12, vcc, s8, v2
	v_addc_co_u32_e32 v13, vcc, v6, v3, vcc
	global_load_dword v16, v[10:11], off
	global_load_dwordx2 v[14:15], v[12:13], off
	v_add_co_u32_e32 v8, vcc, s0, v8
	v_addc_co_u32_e32 v9, vcc, v5, v9, vcc
	v_add_co_u32_e32 v10, vcc, s2, v2
	v_ashrrev_i32_e32 v1, 31, v0
	v_addc_co_u32_e32 v11, vcc, v7, v3, vcc
	v_cmp_le_i64_e32 vcc, s[10:11], v[0:1]
	v_pk_mov_b32 v[2:3], v[0:1], v[0:1] op_sel:[0,1]
	v_add_u32_e32 v0, s1, v0
	s_or_b64 s[4:5], vcc, s[4:5]
	s_waitcnt vmcnt(1)
	v_add_u32_e32 v1, s12, v16
	s_waitcnt vmcnt(0)
	global_store_dwordx2 v[10:11], v[14:15], off
	global_store_dword v[8:9], v1, off
	s_andn2_b64 exec, exec, s[4:5]
	s_cbranch_execnz .LBB221_8
.LBB221_9:
	s_endpgm
	.section	.rodata,"a",@progbits
	.p2align	6, 0x0
	.amdhsa_kernel _ZN9rocsparseL35bsr2csr_block_dim_equals_one_kernelILj1024EdliEEvT2_S1_21rocsparse_index_base_PKT0_PKT1_PKS1_S2_PS3_PS6_PS1_
		.amdhsa_group_segment_fixed_size 0
		.amdhsa_private_segment_fixed_size 0
		.amdhsa_kernarg_size 328
		.amdhsa_user_sgpr_count 6
		.amdhsa_user_sgpr_private_segment_buffer 1
		.amdhsa_user_sgpr_dispatch_ptr 0
		.amdhsa_user_sgpr_queue_ptr 0
		.amdhsa_user_sgpr_kernarg_segment_ptr 1
		.amdhsa_user_sgpr_dispatch_id 0
		.amdhsa_user_sgpr_flat_scratch_init 0
		.amdhsa_user_sgpr_kernarg_preload_length 0
		.amdhsa_user_sgpr_kernarg_preload_offset 0
		.amdhsa_user_sgpr_private_segment_size 0
		.amdhsa_uses_dynamic_stack 0
		.amdhsa_system_sgpr_private_segment_wavefront_offset 0
		.amdhsa_system_sgpr_workgroup_id_x 1
		.amdhsa_system_sgpr_workgroup_id_y 0
		.amdhsa_system_sgpr_workgroup_id_z 0
		.amdhsa_system_sgpr_workgroup_info 0
		.amdhsa_system_vgpr_workitem_id 0
		.amdhsa_next_free_vgpr 17
		.amdhsa_next_free_sgpr 28
		.amdhsa_accum_offset 20
		.amdhsa_reserve_vcc 1
		.amdhsa_reserve_flat_scratch 0
		.amdhsa_float_round_mode_32 0
		.amdhsa_float_round_mode_16_64 0
		.amdhsa_float_denorm_mode_32 3
		.amdhsa_float_denorm_mode_16_64 3
		.amdhsa_dx10_clamp 1
		.amdhsa_ieee_mode 1
		.amdhsa_fp16_overflow 0
		.amdhsa_tg_split 0
		.amdhsa_exception_fp_ieee_invalid_op 0
		.amdhsa_exception_fp_denorm_src 0
		.amdhsa_exception_fp_ieee_div_zero 0
		.amdhsa_exception_fp_ieee_overflow 0
		.amdhsa_exception_fp_ieee_underflow 0
		.amdhsa_exception_fp_ieee_inexact 0
		.amdhsa_exception_int_div_zero 0
	.end_amdhsa_kernel
	.section	.text._ZN9rocsparseL35bsr2csr_block_dim_equals_one_kernelILj1024EdliEEvT2_S1_21rocsparse_index_base_PKT0_PKT1_PKS1_S2_PS3_PS6_PS1_,"axG",@progbits,_ZN9rocsparseL35bsr2csr_block_dim_equals_one_kernelILj1024EdliEEvT2_S1_21rocsparse_index_base_PKT0_PKT1_PKS1_S2_PS3_PS6_PS1_,comdat
.Lfunc_end221:
	.size	_ZN9rocsparseL35bsr2csr_block_dim_equals_one_kernelILj1024EdliEEvT2_S1_21rocsparse_index_base_PKT0_PKT1_PKS1_S2_PS3_PS6_PS1_, .Lfunc_end221-_ZN9rocsparseL35bsr2csr_block_dim_equals_one_kernelILj1024EdliEEvT2_S1_21rocsparse_index_base_PKT0_PKT1_PKS1_S2_PS3_PS6_PS1_
                                        ; -- End function
	.section	.AMDGPU.csdata,"",@progbits
; Kernel info:
; codeLenInByte = 520
; NumSgprs: 32
; NumVgprs: 17
; NumAgprs: 0
; TotalNumVgprs: 17
; ScratchSize: 0
; MemoryBound: 0
; FloatMode: 240
; IeeeMode: 1
; LDSByteSize: 0 bytes/workgroup (compile time only)
; SGPRBlocks: 3
; VGPRBlocks: 2
; NumSGPRsForWavesPerEU: 32
; NumVGPRsForWavesPerEU: 17
; AccumOffset: 20
; Occupancy: 8
; WaveLimiterHint : 0
; COMPUTE_PGM_RSRC2:SCRATCH_EN: 0
; COMPUTE_PGM_RSRC2:USER_SGPR: 6
; COMPUTE_PGM_RSRC2:TRAP_HANDLER: 0
; COMPUTE_PGM_RSRC2:TGID_X_EN: 1
; COMPUTE_PGM_RSRC2:TGID_Y_EN: 0
; COMPUTE_PGM_RSRC2:TGID_Z_EN: 0
; COMPUTE_PGM_RSRC2:TIDIG_COMP_CNT: 0
; COMPUTE_PGM_RSRC3_GFX90A:ACCUM_OFFSET: 4
; COMPUTE_PGM_RSRC3_GFX90A:TG_SPLIT: 0
	.section	.text._ZN9rocsparseL32bsr2csr_block_per_row_2_7_kernelILj256ELj2EdliEEv20rocsparse_direction_T3_S2_21rocsparse_index_base_PKT1_PKT2_PKS2_S2_S3_PS4_PS7_PS2_,"axG",@progbits,_ZN9rocsparseL32bsr2csr_block_per_row_2_7_kernelILj256ELj2EdliEEv20rocsparse_direction_T3_S2_21rocsparse_index_base_PKT1_PKT2_PKS2_S2_S3_PS4_PS7_PS2_,comdat
	.globl	_ZN9rocsparseL32bsr2csr_block_per_row_2_7_kernelILj256ELj2EdliEEv20rocsparse_direction_T3_S2_21rocsparse_index_base_PKT1_PKT2_PKS2_S2_S3_PS4_PS7_PS2_ ; -- Begin function _ZN9rocsparseL32bsr2csr_block_per_row_2_7_kernelILj256ELj2EdliEEv20rocsparse_direction_T3_S2_21rocsparse_index_base_PKT1_PKT2_PKS2_S2_S3_PS4_PS7_PS2_
	.p2align	8
	.type	_ZN9rocsparseL32bsr2csr_block_per_row_2_7_kernelILj256ELj2EdliEEv20rocsparse_direction_T3_S2_21rocsparse_index_base_PKT1_PKT2_PKS2_S2_S3_PS4_PS7_PS2_,@function
_ZN9rocsparseL32bsr2csr_block_per_row_2_7_kernelILj256ELj2EdliEEv20rocsparse_direction_T3_S2_21rocsparse_index_base_PKT1_PKT2_PKS2_S2_S3_PS4_PS7_PS2_: ; @_ZN9rocsparseL32bsr2csr_block_per_row_2_7_kernelILj256ELj2EdliEEv20rocsparse_direction_T3_S2_21rocsparse_index_base_PKT1_PKT2_PKS2_S2_S3_PS4_PS7_PS2_
; %bb.0:
	s_load_dwordx2 s[2:3], s[4:5], 0x18
	s_load_dword s12, s[4:5], 0x2c
	s_load_dwordx2 s[0:1], s[4:5], 0x38
	s_ashr_i32 s7, s6, 31
	s_lshl_b64 s[8:9], s[6:7], 3
	s_waitcnt lgkmcnt(0)
	s_add_u32 s2, s2, s8
	s_addc_u32 s3, s3, s9
	s_load_dwordx4 s[8:11], s[2:3], 0x0
	v_or_b32_e32 v1, s6, v0
	s_mov_b32 s15, 0
	v_cmp_eq_u32_e32 vcc, 0, v1
	s_and_saveexec_b64 s[2:3], vcc
	s_cbranch_execz .LBB222_2
; %bb.1:
	s_mov_b32 s13, s15
	v_mov_b32_e32 v1, 0
	v_pk_mov_b32 v[2:3], s[12:13], s[12:13] op_sel:[0,1]
	global_store_dwordx2 v1, v[2:3], s[0:1]
.LBB222_2:
	s_or_b64 exec, exec, s[2:3]
	s_load_dword s14, s[4:5], 0xc
	v_and_b32_e32 v16, 1, v0
	v_lshrrev_b32_e32 v6, 1, v0
	v_mov_b32_e32 v1, 0
	v_mov_b32_e32 v4, s1
	s_waitcnt lgkmcnt(0)
	s_sub_u32 s16, s8, s14
	s_subb_u32 s17, s9, 0
	s_sub_u32 s10, s10, s14
	s_subb_u32 s11, s11, 0
	s_lshl_b64 s[18:19], s[16:17], 2
	s_sub_u32 s20, s10, s16
	s_subb_u32 s21, s11, s17
	s_lshl_b64 s[2:3], s[20:21], 1
	v_mov_b32_e32 v0, s20
	s_add_u32 s7, s2, s12
	v_alignbit_b32 v0, s21, v0, 31
	s_addc_u32 s3, s3, 0
	v_mul_lo_u32 v7, v0, v16
	s_add_u32 s18, s7, s18
	v_lshl_or_b32 v0, s6, 1, v16
	s_addc_u32 s19, s3, s19
	v_add_u32_e32 v0, 1, v0
	v_pk_mov_b32 v[2:3], s[18:19], s[18:19] op_sel:[0,1]
	v_lshlrev_b64 v[0:1], 3, v[0:1]
	v_mad_u64_u32 v[2:3], s[18:19], s2, v16, v[2:3]
	v_add_co_u32_e32 v0, vcc, s0, v0
	v_add_u32_e32 v3, v7, v3
	v_addc_co_u32_e32 v1, vcc, v4, v1, vcc
	global_store_dwordx2 v[0:1], v[2:3], off
	v_mov_b32_e32 v1, s17
	v_add_co_u32_e32 v0, vcc, s16, v6
	v_addc_co_u32_e32 v1, vcc, 0, v1, vcc
	v_cmp_gt_i64_e32 vcc, s[10:11], v[0:1]
	s_and_saveexec_b64 s[0:1], vcc
	s_cbranch_execz .LBB222_7
; %bb.3:
	s_load_dwordx2 s[18:19], s[4:5], 0x20
	s_load_dwordx2 s[20:21], s[4:5], 0x30
	s_load_dword s3, s[4:5], 0x0
	s_load_dwordx2 s[6:7], s[4:5], 0x10
	s_load_dwordx2 s[22:23], s[4:5], 0x40
	v_lshlrev_b64 v[2:3], 2, v[0:1]
	v_mul_lo_u32 v8, s2, v16
	s_waitcnt lgkmcnt(0)
	s_cmp_eq_u32 s3, 0
	s_cselect_b64 s[0:1], -1, 0
	s_cmp_lg_u32 s3, 0
	s_cselect_b64 s[2:3], -1, 0
	s_add_u32 s13, s6, 16
	v_mov_b32_e32 v5, s19
	v_add_co_u32_e32 v4, vcc, s18, v2
	s_addc_u32 s16, s7, 0
	v_addc_co_u32_e32 v5, vcc, v5, v3, vcc
	s_lshl_b64 s[4:5], s[8:9], 2
	v_mov_b32_e32 v9, s5
	v_add_co_u32_e32 v8, vcc, s4, v8
	v_addc_co_u32_e32 v7, vcc, v7, v9, vcc
	v_lshlrev_b32_e32 v6, 1, v6
	v_add_co_u32_e32 v6, vcc, v8, v6
	v_addc_co_u32_e32 v7, vcc, 0, v7, vcc
	s_lshl_b64 s[4:5], s[14:15], 2
	v_mov_b32_e32 v8, s5
	v_subrev_co_u32_e32 v10, vcc, s4, v6
	v_subb_co_u32_e32 v11, vcc, v7, v8, vcc
	v_lshlrev_b64 v[6:7], 3, v[10:11]
	v_mov_b32_e32 v8, s21
	v_add_co_u32_e32 v6, vcc, s20, v6
	v_addc_co_u32_e32 v7, vcc, v7, v8, vcc
	v_add_co_u32_e32 v6, vcc, 8, v6
	v_addc_co_u32_e32 v7, vcc, 0, v7, vcc
	v_lshlrev_b64 v[10:11], 2, v[10:11]
	v_mov_b32_e32 v12, s23
	v_add_co_u32_e32 v10, vcc, s22, v10
	v_addc_co_u32_e32 v11, vcc, v11, v12, vcc
	v_add_co_u32_e32 v10, vcc, 4, v10
	v_lshlrev_b64 v[12:13], 5, v[0:1]
	v_addc_co_u32_e32 v11, vcc, 0, v11, vcc
	v_lshl_or_b32 v12, v16, 4, v12
	v_mov_b32_e32 v17, s7
	v_add_co_u32_e32 v12, vcc, s6, v12
	v_addc_co_u32_e32 v13, vcc, v13, v17, vcc
	v_add_co_u32_e32 v12, vcc, 8, v12
	v_cndmask_b32_e64 v14, 0, 1, s[2:3]
	v_or_b32_e32 v8, v2, v16
	v_mov_b32_e32 v9, v3
	v_addc_co_u32_e32 v13, vcc, 0, v13, vcc
	v_lshl_or_b32 v2, v16, 1, v2
	s_mov_b64 s[4:5], 0
	v_cmp_ne_u32_e64 s[2:3], 1, v14
	s_branch .LBB222_5
.LBB222_4:                              ;   in Loop: Header=BB222_5 Depth=1
	global_load_dwordx2 v[14:15], v[14:15], off
	v_add_co_u32_e32 v0, vcc, 0x80, v0
	v_addc_co_u32_e32 v1, vcc, 0, v1, vcc
	v_add_co_u32_e32 v4, vcc, 0x200, v4
	v_addc_co_u32_e32 v5, vcc, 0, v5, vcc
	v_cmp_le_i64_e32 vcc, s[10:11], v[0:1]
	s_or_b64 s[4:5], vcc, s[4:5]
	s_waitcnt vmcnt(0)
	global_store_dwordx2 v[6:7], v[14:15], off
	v_add_co_u32_e32 v6, vcc, 0x800, v6
	v_addc_co_u32_e32 v7, vcc, 0, v7, vcc
	v_add_co_u32_e32 v8, vcc, 0x200, v8
	v_addc_co_u32_e32 v9, vcc, 0, v9, vcc
	;; [unrolled: 2-line block ×5, first 2 shown]
	s_andn2_b64 exec, exec, s[4:5]
	s_cbranch_execz .LBB222_7
.LBB222_5:                              ; =>This Inner Loop Header: Depth=1
	v_cndmask_b32_e64 v15, v9, v3, s[0:1]
	v_cndmask_b32_e64 v14, v8, v2, s[0:1]
	v_lshlrev_b64 v[14:15], 3, v[14:15]
	global_load_dword v18, v[4:5], off
	v_add_co_u32_e32 v14, vcc, s6, v14
	v_addc_co_u32_e32 v15, vcc, v17, v15, vcc
	global_load_dwordx2 v[14:15], v[14:15], off
	s_and_b64 vcc, exec, s[2:3]
	s_waitcnt vmcnt(1)
	v_subrev_u32_e32 v18, s14, v18
	v_lshl_add_u32 v18, v18, 1, s12
	v_add_u32_e32 v19, 1, v18
	s_waitcnt vmcnt(0)
	global_store_dwordx2 v[6:7], v[14:15], off offset:-8
	global_store_dwordx2 v[10:11], v[18:19], off offset:-4
	v_pk_mov_b32 v[14:15], v[12:13], v[12:13] op_sel:[0,1]
	s_cbranch_vccnz .LBB222_4
; %bb.6:                                ;   in Loop: Header=BB222_5 Depth=1
	v_lshlrev_b64 v[14:15], 5, v[0:1]
	v_lshl_or_b32 v14, v16, 3, v14
	v_mov_b32_e32 v18, s16
	v_add_co_u32_e32 v14, vcc, s13, v14
	v_addc_co_u32_e32 v15, vcc, v18, v15, vcc
	s_branch .LBB222_4
.LBB222_7:
	s_endpgm
	.section	.rodata,"a",@progbits
	.p2align	6, 0x0
	.amdhsa_kernel _ZN9rocsparseL32bsr2csr_block_per_row_2_7_kernelILj256ELj2EdliEEv20rocsparse_direction_T3_S2_21rocsparse_index_base_PKT1_PKT2_PKS2_S2_S3_PS4_PS7_PS2_
		.amdhsa_group_segment_fixed_size 0
		.amdhsa_private_segment_fixed_size 0
		.amdhsa_kernarg_size 72
		.amdhsa_user_sgpr_count 6
		.amdhsa_user_sgpr_private_segment_buffer 1
		.amdhsa_user_sgpr_dispatch_ptr 0
		.amdhsa_user_sgpr_queue_ptr 0
		.amdhsa_user_sgpr_kernarg_segment_ptr 1
		.amdhsa_user_sgpr_dispatch_id 0
		.amdhsa_user_sgpr_flat_scratch_init 0
		.amdhsa_user_sgpr_kernarg_preload_length 0
		.amdhsa_user_sgpr_kernarg_preload_offset 0
		.amdhsa_user_sgpr_private_segment_size 0
		.amdhsa_uses_dynamic_stack 0
		.amdhsa_system_sgpr_private_segment_wavefront_offset 0
		.amdhsa_system_sgpr_workgroup_id_x 1
		.amdhsa_system_sgpr_workgroup_id_y 0
		.amdhsa_system_sgpr_workgroup_id_z 0
		.amdhsa_system_sgpr_workgroup_info 0
		.amdhsa_system_vgpr_workitem_id 0
		.amdhsa_next_free_vgpr 20
		.amdhsa_next_free_sgpr 24
		.amdhsa_accum_offset 20
		.amdhsa_reserve_vcc 1
		.amdhsa_reserve_flat_scratch 0
		.amdhsa_float_round_mode_32 0
		.amdhsa_float_round_mode_16_64 0
		.amdhsa_float_denorm_mode_32 3
		.amdhsa_float_denorm_mode_16_64 3
		.amdhsa_dx10_clamp 1
		.amdhsa_ieee_mode 1
		.amdhsa_fp16_overflow 0
		.amdhsa_tg_split 0
		.amdhsa_exception_fp_ieee_invalid_op 0
		.amdhsa_exception_fp_denorm_src 0
		.amdhsa_exception_fp_ieee_div_zero 0
		.amdhsa_exception_fp_ieee_overflow 0
		.amdhsa_exception_fp_ieee_underflow 0
		.amdhsa_exception_fp_ieee_inexact 0
		.amdhsa_exception_int_div_zero 0
	.end_amdhsa_kernel
	.section	.text._ZN9rocsparseL32bsr2csr_block_per_row_2_7_kernelILj256ELj2EdliEEv20rocsparse_direction_T3_S2_21rocsparse_index_base_PKT1_PKT2_PKS2_S2_S3_PS4_PS7_PS2_,"axG",@progbits,_ZN9rocsparseL32bsr2csr_block_per_row_2_7_kernelILj256ELj2EdliEEv20rocsparse_direction_T3_S2_21rocsparse_index_base_PKT1_PKT2_PKS2_S2_S3_PS4_PS7_PS2_,comdat
.Lfunc_end222:
	.size	_ZN9rocsparseL32bsr2csr_block_per_row_2_7_kernelILj256ELj2EdliEEv20rocsparse_direction_T3_S2_21rocsparse_index_base_PKT1_PKT2_PKS2_S2_S3_PS4_PS7_PS2_, .Lfunc_end222-_ZN9rocsparseL32bsr2csr_block_per_row_2_7_kernelILj256ELj2EdliEEv20rocsparse_direction_T3_S2_21rocsparse_index_base_PKT1_PKT2_PKS2_S2_S3_PS4_PS7_PS2_
                                        ; -- End function
	.section	.AMDGPU.csdata,"",@progbits
; Kernel info:
; codeLenInByte = 808
; NumSgprs: 28
; NumVgprs: 20
; NumAgprs: 0
; TotalNumVgprs: 20
; ScratchSize: 0
; MemoryBound: 0
; FloatMode: 240
; IeeeMode: 1
; LDSByteSize: 0 bytes/workgroup (compile time only)
; SGPRBlocks: 3
; VGPRBlocks: 2
; NumSGPRsForWavesPerEU: 28
; NumVGPRsForWavesPerEU: 20
; AccumOffset: 20
; Occupancy: 8
; WaveLimiterHint : 0
; COMPUTE_PGM_RSRC2:SCRATCH_EN: 0
; COMPUTE_PGM_RSRC2:USER_SGPR: 6
; COMPUTE_PGM_RSRC2:TRAP_HANDLER: 0
; COMPUTE_PGM_RSRC2:TGID_X_EN: 1
; COMPUTE_PGM_RSRC2:TGID_Y_EN: 0
; COMPUTE_PGM_RSRC2:TGID_Z_EN: 0
; COMPUTE_PGM_RSRC2:TIDIG_COMP_CNT: 0
; COMPUTE_PGM_RSRC3_GFX90A:ACCUM_OFFSET: 4
; COMPUTE_PGM_RSRC3_GFX90A:TG_SPLIT: 0
	.section	.text._ZN9rocsparseL32bsr2csr_block_per_row_2_7_kernelILj256ELj3EdliEEv20rocsparse_direction_T3_S2_21rocsparse_index_base_PKT1_PKT2_PKS2_S2_S3_PS4_PS7_PS2_,"axG",@progbits,_ZN9rocsparseL32bsr2csr_block_per_row_2_7_kernelILj256ELj3EdliEEv20rocsparse_direction_T3_S2_21rocsparse_index_base_PKT1_PKT2_PKS2_S2_S3_PS4_PS7_PS2_,comdat
	.globl	_ZN9rocsparseL32bsr2csr_block_per_row_2_7_kernelILj256ELj3EdliEEv20rocsparse_direction_T3_S2_21rocsparse_index_base_PKT1_PKT2_PKS2_S2_S3_PS4_PS7_PS2_ ; -- Begin function _ZN9rocsparseL32bsr2csr_block_per_row_2_7_kernelILj256ELj3EdliEEv20rocsparse_direction_T3_S2_21rocsparse_index_base_PKT1_PKT2_PKS2_S2_S3_PS4_PS7_PS2_
	.p2align	8
	.type	_ZN9rocsparseL32bsr2csr_block_per_row_2_7_kernelILj256ELj3EdliEEv20rocsparse_direction_T3_S2_21rocsparse_index_base_PKT1_PKT2_PKS2_S2_S3_PS4_PS7_PS2_,@function
_ZN9rocsparseL32bsr2csr_block_per_row_2_7_kernelILj256ELj3EdliEEv20rocsparse_direction_T3_S2_21rocsparse_index_base_PKT1_PKT2_PKS2_S2_S3_PS4_PS7_PS2_: ; @_ZN9rocsparseL32bsr2csr_block_per_row_2_7_kernelILj256ELj3EdliEEv20rocsparse_direction_T3_S2_21rocsparse_index_base_PKT1_PKT2_PKS2_S2_S3_PS4_PS7_PS2_
; %bb.0:
	s_load_dwordx2 s[2:3], s[4:5], 0x18
	s_load_dword s12, s[4:5], 0x2c
	s_load_dwordx2 s[0:1], s[4:5], 0x38
	s_ashr_i32 s7, s6, 31
	s_lshl_b64 s[8:9], s[6:7], 3
	s_waitcnt lgkmcnt(0)
	s_add_u32 s2, s2, s8
	v_or_b32_e32 v1, s6, v0
	s_addc_u32 s3, s3, s9
	v_cmp_eq_u32_e32 vcc, 0, v1
	s_and_saveexec_b64 s[8:9], vcc
	s_cbranch_execz .LBB223_2
; %bb.1:
	v_mov_b32_e32 v2, s12
	v_mov_b32_e32 v3, 0
	global_store_dwordx2 v3, v[2:3], s[0:1]
.LBB223_2:
	s_or_b64 exec, exec, s[8:9]
	v_and_b32_e32 v4, 3, v0
	v_cmp_ne_u32_e32 vcc, 3, v4
	s_and_saveexec_b64 s[8:9], vcc
	s_cbranch_execz .LBB223_6
; %bb.3:
	s_load_dwordx4 s[8:11], s[2:3], 0x0
	s_load_dword s7, s[4:5], 0xc
	s_mul_i32 s6, s6, 3
	v_lshrrev_b32_e32 v8, 2, v0
	v_mov_b32_e32 v1, 0
	v_add3_u32 v0, v4, s6, 1
	s_waitcnt lgkmcnt(0)
	s_sub_u32 s3, s8, s7
	s_subb_u32 s13, s9, 0
	s_mul_hi_u32 s2, s3, 9
	s_sub_u32 s10, s10, s7
	s_mul_i32 s14, s13, 9
	s_subb_u32 s11, s11, 0
	s_add_i32 s15, s2, s14
	s_sub_u32 s2, s10, s3
	s_subb_u32 s16, s11, s13
	s_mul_i32 s16, s16, 3
	s_mul_hi_u32 s17, s2, 3
	s_add_i32 s17, s17, s16
	s_mul_i32 s2, s2, 3
	s_add_u32 s16, s2, s12
	s_mul_i32 s14, s3, 9
	v_mul_lo_u32 v2, s17, v4
	s_addc_u32 s17, s17, 0
	s_add_u32 s14, s16, s14
	s_addc_u32 s15, s17, s15
	v_pk_mov_b32 v[6:7], s[14:15], s[14:15] op_sel:[0,1]
	v_lshlrev_b64 v[0:1], 3, v[0:1]
	v_mad_u64_u32 v[6:7], s[14:15], s2, v4, v[6:7]
	v_mov_b32_e32 v3, s1
	v_add_co_u32_e32 v0, vcc, s0, v0
	v_add_u32_e32 v7, v2, v7
	v_addc_co_u32_e32 v1, vcc, v3, v1, vcc
	global_store_dwordx2 v[0:1], v[6:7], off
	v_mov_b32_e32 v1, s13
	v_add_co_u32_e32 v0, vcc, s3, v8
	v_addc_co_u32_e32 v1, vcc, 0, v1, vcc
	v_cmp_gt_i64_e32 vcc, s[10:11], v[0:1]
	s_and_b64 exec, exec, vcc
	s_cbranch_execz .LBB223_6
; %bb.4:
	s_load_dwordx2 s[14:15], s[4:5], 0x20
	s_load_dwordx2 s[16:17], s[4:5], 0x30
	;; [unrolled: 1-line block ×3, first 2 shown]
	s_load_dword s3, s[4:5], 0x0
	s_load_dwordx2 s[20:21], s[4:5], 0x40
	s_movk_i32 s4, 0x48
	v_mad_u64_u32 v[10:11], s[0:1], s2, v4, 0
	s_waitcnt lgkmcnt(0)
	v_pk_mov_b32 v[6:7], s[18:19], s[18:19] op_sel:[0,1]
	s_cmp_eq_u32 s3, 0
	v_mad_u64_u32 v[6:7], s[2:3], v0, s4, v[6:7]
	v_add_u32_e32 v11, v11, v2
	v_lshlrev_b64 v[2:3], 2, v[0:1]
	v_mov_b32_e32 v12, v7
	v_mov_b32_e32 v5, s15
	v_add_co_u32_e32 v2, vcc, s14, v2
	v_mad_u64_u32 v[12:13], s[2:3], v1, s4, v[12:13]
	v_mad_u64_u32 v[10:11], s[2:3], s8, 9, v[10:11]
	v_addc_co_u32_e32 v3, vcc, v5, v3, vcc
	v_mov_b32_e32 v5, v12
	v_mov_b32_e32 v12, v11
	v_mad_u64_u32 v[12:13], s[2:3], s9, 9, v[12:13]
	v_mov_b32_e32 v11, v12
	v_mad_u64_u32 v[8:9], s[2:3], v8, 3, v[10:11]
	s_mul_hi_u32 s2, s7, 9
	s_mul_i32 s3, s7, 9
	v_mov_b32_e32 v7, s2
	v_subrev_co_u32_e32 v10, vcc, s3, v8
	v_subb_co_u32_e32 v11, vcc, v9, v7, vcc
	v_lshlrev_b64 v[8:9], 3, v[10:11]
	v_mov_b32_e32 v7, s17
	v_add_co_u32_e32 v8, vcc, s16, v8
	v_addc_co_u32_e32 v7, vcc, v9, v7, vcc
	v_add_co_u32_e32 v8, vcc, 8, v8
	v_addc_co_u32_e32 v9, vcc, 0, v7, vcc
	v_lshlrev_b64 v[10:11], 2, v[10:11]
	v_mov_b32_e32 v7, s21
	v_add_co_u32_e32 v10, vcc, s20, v10
	v_addc_co_u32_e32 v7, vcc, v11, v7, vcc
	v_mul_u32_u24_e32 v14, 3, v4
	v_add_co_u32_e32 v10, vcc, 4, v10
	s_cselect_b64 s[0:1], -1, 0
	v_lshlrev_b32_e32 v4, 3, v4
	v_addc_co_u32_e32 v11, vcc, 0, v7, vcc
	v_lshlrev_b32_e32 v12, 3, v14
	s_mov_b64 s[4:5], 0
	v_mov_b32_e32 v14, s12
	s_movk_i32 s6, 0x100
	s_movk_i32 s8, 0x1200
.LBB223_5:                              ; =>This Inner Loop Header: Depth=1
	v_add_co_u32_e32 v13, vcc, v6, v4
	v_addc_co_u32_e32 v15, vcc, 0, v5, vcc
	v_add_co_u32_e32 v18, vcc, v6, v12
	v_addc_co_u32_e32 v19, vcc, 0, v5, vcc
	;; [unrolled: 2-line block ×4, first 2 shown]
	v_cndmask_b32_e64 v16, v13, v18, s[0:1]
	v_add_co_u32_e32 v18, vcc, 16, v18
	v_cndmask_b32_e64 v17, v15, v19, s[0:1]
	v_addc_co_u32_e32 v19, vcc, 0, v19, vcc
	global_load_dword v7, v[2:3], off
	v_add_co_u32_e32 v13, vcc, 48, v13
	v_addc_co_u32_e32 v15, vcc, 0, v15, vcc
	v_cndmask_b32_e64 v21, v23, v21, s[0:1]
	v_cndmask_b32_e64 v20, v22, v20, s[0:1]
	global_load_dwordx2 v[16:17], v[16:17], off
	v_cndmask_b32_e64 v23, v15, v19, s[0:1]
	v_cndmask_b32_e64 v22, v13, v18, s[0:1]
	global_load_dwordx2 v[18:19], v[20:21], off
	global_load_dwordx2 v[24:25], v[22:23], off
	v_add_co_u32_e32 v0, vcc, 64, v0
	v_addc_co_u32_e32 v1, vcc, 0, v1, vcc
	v_add_co_u32_e32 v2, vcc, s6, v2
	v_addc_co_u32_e32 v3, vcc, 0, v3, vcc
	v_add_co_u32_e32 v6, vcc, s8, v6
	v_cmp_le_i64_e64 s[2:3], s[10:11], v[0:1]
	v_addc_co_u32_e32 v5, vcc, 0, v5, vcc
	s_or_b64 s[4:5], s[2:3], s[4:5]
	s_waitcnt vmcnt(3)
	v_subrev_u32_e32 v7, s7, v7
	v_mad_u64_u32 v[20:21], s[2:3], v7, 3, v[14:15]
	v_add_u32_e32 v22, 2, v20
	v_add_u32_e32 v21, 1, v20
	s_waitcnt vmcnt(1)
	global_store_dwordx4 v[8:9], v[16:19], off offset:-8
	global_store_dwordx3 v[10:11], v[20:22], off offset:-4
	s_waitcnt vmcnt(2)
	global_store_dwordx2 v[8:9], v[24:25], off offset:8
	v_add_co_u32_e32 v8, vcc, 0x600, v8
	v_addc_co_u32_e32 v9, vcc, 0, v9, vcc
	v_add_co_u32_e32 v10, vcc, 0x300, v10
	v_addc_co_u32_e32 v11, vcc, 0, v11, vcc
	s_andn2_b64 exec, exec, s[4:5]
	s_cbranch_execnz .LBB223_5
.LBB223_6:
	s_endpgm
	.section	.rodata,"a",@progbits
	.p2align	6, 0x0
	.amdhsa_kernel _ZN9rocsparseL32bsr2csr_block_per_row_2_7_kernelILj256ELj3EdliEEv20rocsparse_direction_T3_S2_21rocsparse_index_base_PKT1_PKT2_PKS2_S2_S3_PS4_PS7_PS2_
		.amdhsa_group_segment_fixed_size 0
		.amdhsa_private_segment_fixed_size 0
		.amdhsa_kernarg_size 72
		.amdhsa_user_sgpr_count 6
		.amdhsa_user_sgpr_private_segment_buffer 1
		.amdhsa_user_sgpr_dispatch_ptr 0
		.amdhsa_user_sgpr_queue_ptr 0
		.amdhsa_user_sgpr_kernarg_segment_ptr 1
		.amdhsa_user_sgpr_dispatch_id 0
		.amdhsa_user_sgpr_flat_scratch_init 0
		.amdhsa_user_sgpr_kernarg_preload_length 0
		.amdhsa_user_sgpr_kernarg_preload_offset 0
		.amdhsa_user_sgpr_private_segment_size 0
		.amdhsa_uses_dynamic_stack 0
		.amdhsa_system_sgpr_private_segment_wavefront_offset 0
		.amdhsa_system_sgpr_workgroup_id_x 1
		.amdhsa_system_sgpr_workgroup_id_y 0
		.amdhsa_system_sgpr_workgroup_id_z 0
		.amdhsa_system_sgpr_workgroup_info 0
		.amdhsa_system_vgpr_workitem_id 0
		.amdhsa_next_free_vgpr 26
		.amdhsa_next_free_sgpr 22
		.amdhsa_accum_offset 28
		.amdhsa_reserve_vcc 1
		.amdhsa_reserve_flat_scratch 0
		.amdhsa_float_round_mode_32 0
		.amdhsa_float_round_mode_16_64 0
		.amdhsa_float_denorm_mode_32 3
		.amdhsa_float_denorm_mode_16_64 3
		.amdhsa_dx10_clamp 1
		.amdhsa_ieee_mode 1
		.amdhsa_fp16_overflow 0
		.amdhsa_tg_split 0
		.amdhsa_exception_fp_ieee_invalid_op 0
		.amdhsa_exception_fp_denorm_src 0
		.amdhsa_exception_fp_ieee_div_zero 0
		.amdhsa_exception_fp_ieee_overflow 0
		.amdhsa_exception_fp_ieee_underflow 0
		.amdhsa_exception_fp_ieee_inexact 0
		.amdhsa_exception_int_div_zero 0
	.end_amdhsa_kernel
	.section	.text._ZN9rocsparseL32bsr2csr_block_per_row_2_7_kernelILj256ELj3EdliEEv20rocsparse_direction_T3_S2_21rocsparse_index_base_PKT1_PKT2_PKS2_S2_S3_PS4_PS7_PS2_,"axG",@progbits,_ZN9rocsparseL32bsr2csr_block_per_row_2_7_kernelILj256ELj3EdliEEv20rocsparse_direction_T3_S2_21rocsparse_index_base_PKT1_PKT2_PKS2_S2_S3_PS4_PS7_PS2_,comdat
.Lfunc_end223:
	.size	_ZN9rocsparseL32bsr2csr_block_per_row_2_7_kernelILj256ELj3EdliEEv20rocsparse_direction_T3_S2_21rocsparse_index_base_PKT1_PKT2_PKS2_S2_S3_PS4_PS7_PS2_, .Lfunc_end223-_ZN9rocsparseL32bsr2csr_block_per_row_2_7_kernelILj256ELj3EdliEEv20rocsparse_direction_T3_S2_21rocsparse_index_base_PKT1_PKT2_PKS2_S2_S3_PS4_PS7_PS2_
                                        ; -- End function
	.section	.AMDGPU.csdata,"",@progbits
; Kernel info:
; codeLenInByte = 800
; NumSgprs: 26
; NumVgprs: 26
; NumAgprs: 0
; TotalNumVgprs: 26
; ScratchSize: 0
; MemoryBound: 0
; FloatMode: 240
; IeeeMode: 1
; LDSByteSize: 0 bytes/workgroup (compile time only)
; SGPRBlocks: 3
; VGPRBlocks: 3
; NumSGPRsForWavesPerEU: 26
; NumVGPRsForWavesPerEU: 26
; AccumOffset: 28
; Occupancy: 8
; WaveLimiterHint : 0
; COMPUTE_PGM_RSRC2:SCRATCH_EN: 0
; COMPUTE_PGM_RSRC2:USER_SGPR: 6
; COMPUTE_PGM_RSRC2:TRAP_HANDLER: 0
; COMPUTE_PGM_RSRC2:TGID_X_EN: 1
; COMPUTE_PGM_RSRC2:TGID_Y_EN: 0
; COMPUTE_PGM_RSRC2:TGID_Z_EN: 0
; COMPUTE_PGM_RSRC2:TIDIG_COMP_CNT: 0
; COMPUTE_PGM_RSRC3_GFX90A:ACCUM_OFFSET: 6
; COMPUTE_PGM_RSRC3_GFX90A:TG_SPLIT: 0
	.section	.text._ZN9rocsparseL32bsr2csr_block_per_row_2_7_kernelILj256ELj4EdliEEv20rocsparse_direction_T3_S2_21rocsparse_index_base_PKT1_PKT2_PKS2_S2_S3_PS4_PS7_PS2_,"axG",@progbits,_ZN9rocsparseL32bsr2csr_block_per_row_2_7_kernelILj256ELj4EdliEEv20rocsparse_direction_T3_S2_21rocsparse_index_base_PKT1_PKT2_PKS2_S2_S3_PS4_PS7_PS2_,comdat
	.globl	_ZN9rocsparseL32bsr2csr_block_per_row_2_7_kernelILj256ELj4EdliEEv20rocsparse_direction_T3_S2_21rocsparse_index_base_PKT1_PKT2_PKS2_S2_S3_PS4_PS7_PS2_ ; -- Begin function _ZN9rocsparseL32bsr2csr_block_per_row_2_7_kernelILj256ELj4EdliEEv20rocsparse_direction_T3_S2_21rocsparse_index_base_PKT1_PKT2_PKS2_S2_S3_PS4_PS7_PS2_
	.p2align	8
	.type	_ZN9rocsparseL32bsr2csr_block_per_row_2_7_kernelILj256ELj4EdliEEv20rocsparse_direction_T3_S2_21rocsparse_index_base_PKT1_PKT2_PKS2_S2_S3_PS4_PS7_PS2_,@function
_ZN9rocsparseL32bsr2csr_block_per_row_2_7_kernelILj256ELj4EdliEEv20rocsparse_direction_T3_S2_21rocsparse_index_base_PKT1_PKT2_PKS2_S2_S3_PS4_PS7_PS2_: ; @_ZN9rocsparseL32bsr2csr_block_per_row_2_7_kernelILj256ELj4EdliEEv20rocsparse_direction_T3_S2_21rocsparse_index_base_PKT1_PKT2_PKS2_S2_S3_PS4_PS7_PS2_
; %bb.0:
	s_load_dwordx2 s[2:3], s[4:5], 0x18
	s_load_dword s12, s[4:5], 0x2c
	s_load_dwordx2 s[0:1], s[4:5], 0x38
	s_ashr_i32 s7, s6, 31
	s_lshl_b64 s[8:9], s[6:7], 3
	s_waitcnt lgkmcnt(0)
	s_add_u32 s2, s2, s8
	s_addc_u32 s3, s3, s9
	s_load_dwordx4 s[8:11], s[2:3], 0x0
	v_or_b32_e32 v1, s6, v0
	s_mov_b32 s15, 0
	v_cmp_eq_u32_e32 vcc, 0, v1
	s_and_saveexec_b64 s[2:3], vcc
	s_cbranch_execz .LBB224_2
; %bb.1:
	s_mov_b32 s13, s15
	v_mov_b32_e32 v1, 0
	v_pk_mov_b32 v[2:3], s[12:13], s[12:13] op_sel:[0,1]
	global_store_dwordx2 v1, v[2:3], s[0:1]
.LBB224_2:
	s_or_b64 exec, exec, s[2:3]
	s_load_dword s14, s[4:5], 0xc
	v_and_b32_e32 v20, 3, v0
	v_lshrrev_b32_e32 v8, 2, v0
	v_mov_b32_e32 v1, 0
	v_mov_b32_e32 v3, s1
	s_waitcnt lgkmcnt(0)
	s_sub_u32 s16, s8, s14
	s_subb_u32 s17, s9, 0
	s_sub_u32 s10, s10, s14
	s_subb_u32 s11, s11, 0
	s_lshl_b64 s[18:19], s[16:17], 4
	s_sub_u32 s20, s10, s16
	s_subb_u32 s21, s11, s17
	s_lshl_b64 s[2:3], s[20:21], 2
	v_mov_b32_e32 v0, s20
	s_add_u32 s7, s2, s12
	v_alignbit_b32 v0, s21, v0, 30
	s_addc_u32 s3, s3, 0
	v_mul_lo_u32 v2, v0, v20
	s_add_u32 s18, s7, s18
	v_lshl_or_b32 v0, s6, 2, v20
	s_addc_u32 s19, s3, s19
	v_add_u32_e32 v0, 1, v0
	v_pk_mov_b32 v[4:5], s[18:19], s[18:19] op_sel:[0,1]
	v_lshlrev_b64 v[0:1], 3, v[0:1]
	v_mad_u64_u32 v[4:5], s[18:19], s2, v20, v[4:5]
	v_add_co_u32_e32 v0, vcc, s0, v0
	v_add_u32_e32 v5, v2, v5
	v_addc_co_u32_e32 v1, vcc, v3, v1, vcc
	global_store_dwordx2 v[0:1], v[4:5], off
	v_mov_b32_e32 v1, s17
	v_add_co_u32_e32 v0, vcc, s16, v8
	v_addc_co_u32_e32 v1, vcc, 0, v1, vcc
	v_cmp_gt_i64_e32 vcc, s[10:11], v[0:1]
	s_and_saveexec_b64 s[0:1], vcc
	s_cbranch_execz .LBB224_15
; %bb.3:
	s_load_dwordx2 s[16:17], s[4:5], 0x20
	s_load_dwordx2 s[24:25], s[4:5], 0x30
	;; [unrolled: 1-line block ×3, first 2 shown]
	s_load_dword s3, s[4:5], 0x0
	s_load_dwordx2 s[26:27], s[4:5], 0x40
	v_mad_u64_u32 v[10:11], s[0:1], s2, v20, 0
	v_add_u32_e32 v9, v11, v2
	s_waitcnt lgkmcnt(0)
	s_cmp_eq_u32 s3, 0
	s_cselect_b64 s[0:1], -1, 0
	s_cmp_lg_u32 s3, 0
	s_cselect_b64 s[4:5], -1, 0
	s_add_u32 s13, s6, 32
	s_addc_u32 s18, s7, 0
	s_add_u32 s19, s6, 64
	s_addc_u32 s20, s7, 0
	v_lshlrev_b64 v[2:3], 2, v[0:1]
	s_add_u32 s21, s6, 0x60
	v_mov_b32_e32 v4, s17
	v_add_co_u32_e32 v2, vcc, s16, v2
	s_addc_u32 s22, s7, 0
	v_addc_co_u32_e32 v3, vcc, v4, v3, vcc
	s_lshl_b64 s[2:3], s[8:9], 4
	v_mov_b32_e32 v11, s3
	v_add_co_u32_e32 v10, vcc, s2, v10
	v_addc_co_u32_e32 v9, vcc, v9, v11, vcc
	v_lshlrev_b32_e32 v8, 2, v8
	v_add_co_u32_e32 v8, vcc, v10, v8
	v_addc_co_u32_e32 v9, vcc, 0, v9, vcc
	s_lshl_b64 s[2:3], s[14:15], 4
	v_mov_b32_e32 v10, s3
	v_subrev_co_u32_e32 v12, vcc, s2, v8
	v_subb_co_u32_e32 v13, vcc, v9, v10, vcc
	v_lshlrev_b64 v[8:9], 3, v[12:13]
	v_mov_b32_e32 v10, s25
	v_add_co_u32_e32 v8, vcc, s24, v8
	v_addc_co_u32_e32 v9, vcc, v9, v10, vcc
	v_add_co_u32_e32 v8, vcc, 16, v8
	v_lshlrev_b64 v[10:11], 7, v[0:1]
	v_addc_co_u32_e32 v9, vcc, 0, v9, vcc
	v_lshl_or_b32 v10, v20, 5, v10
	v_mov_b32_e32 v21, s7
	v_add_co_u32_e32 v10, vcc, s6, v10
	v_addc_co_u32_e32 v11, vcc, v11, v21, vcc
	v_add_co_u32_e32 v10, vcc, 24, v10
	v_addc_co_u32_e32 v11, vcc, 0, v11, vcc
	v_lshlrev_b64 v[12:13], 2, v[12:13]
	v_mov_b32_e32 v14, s27
	v_add_co_u32_e32 v12, vcc, s26, v12
	v_addc_co_u32_e32 v13, vcc, v13, v14, vcc
	v_lshlrev_b64 v[4:5], 4, v[0:1]
	v_add_co_u32_e32 v12, vcc, 8, v12
	v_or_b32_e32 v6, v4, v20
	v_mov_b32_e32 v7, v5
	v_lshl_or_b32 v4, v20, 2, v4
	v_addc_co_u32_e32 v13, vcc, 0, v13, vcc
	s_mov_b64 s[8:9], 0
	v_cndmask_b32_e64 v22, 0, 1, s[4:5]
	s_branch .LBB224_5
.LBB224_4:                              ;   in Loop: Header=BB224_5 Depth=1
	global_load_dwordx2 v[14:15], v[16:17], off
	v_add_co_u32_e32 v0, vcc, 64, v0
	v_addc_co_u32_e32 v1, vcc, 0, v1, vcc
	v_add_co_u32_e32 v2, vcc, 0x100, v2
	v_addc_co_u32_e32 v3, vcc, 0, v3, vcc
	;; [unrolled: 2-line block ×4, first 2 shown]
	v_cmp_le_i64_e64 s[2:3], s[10:11], v[0:1]
	s_or_b64 s[8:9], s[2:3], s[8:9]
	s_waitcnt vmcnt(0)
	global_store_dwordx2 v[8:9], v[14:15], off offset:8
	v_add_co_u32_e32 v8, vcc, 0x800, v8
	v_addc_co_u32_e32 v9, vcc, 0, v9, vcc
	v_add_co_u32_e32 v10, vcc, 0x2000, v10
	v_addc_co_u32_e32 v11, vcc, 0, v11, vcc
	;; [unrolled: 2-line block ×3, first 2 shown]
	s_andn2_b64 exec, exec, s[8:9]
	s_cbranch_execz .LBB224_15
.LBB224_5:                              ; =>This Inner Loop Header: Depth=1
	v_cndmask_b32_e64 v15, v7, v5, s[0:1]
	v_cndmask_b32_e64 v14, v6, v4, s[0:1]
	v_lshlrev_b64 v[14:15], 3, v[14:15]
	global_load_dword v16, v[2:3], off
	v_add_co_u32_e32 v14, vcc, s6, v14
	v_addc_co_u32_e32 v15, vcc, v21, v15, vcc
	global_load_dwordx2 v[14:15], v[14:15], off
	v_lshlrev_b64 v[18:19], 4, v[0:1]
	v_or_b32_e32 v18, v18, v20
	v_cmp_ne_u32_e64 s[2:3], 1, v22
	s_andn2_b64 vcc, exec, s[4:5]
	s_waitcnt vmcnt(1)
	v_subrev_u32_e32 v16, s14, v16
	v_lshl_add_u32 v16, v16, 2, s12
	v_add_u32_e32 v17, 1, v16
	s_waitcnt vmcnt(0)
	global_store_dwordx2 v[8:9], v[14:15], off offset:-16
	global_store_dwordx2 v[12:13], v[16:17], off offset:-8
	v_lshlrev_b64 v[14:15], 3, v[18:19]
	s_cbranch_vccnz .LBB224_7
; %bb.6:                                ;   in Loop: Header=BB224_5 Depth=1
	v_mov_b32_e32 v17, s18
	v_add_co_u32_e32 v18, vcc, s13, v14
	v_addc_co_u32_e32 v19, vcc, v17, v15, vcc
	s_cbranch_execz .LBB224_8
	s_branch .LBB224_9
.LBB224_7:                              ;   in Loop: Header=BB224_5 Depth=1
                                        ; implicit-def: $vgpr18_vgpr19
.LBB224_8:                              ;   in Loop: Header=BB224_5 Depth=1
	v_add_co_u32_e32 v18, vcc, -16, v10
	v_addc_co_u32_e32 v19, vcc, -1, v11, vcc
.LBB224_9:                              ;   in Loop: Header=BB224_5 Depth=1
	global_load_dwordx2 v[18:19], v[18:19], off
	s_and_b64 vcc, exec, s[2:3]
	v_add_u32_e32 v17, 2, v16
	s_waitcnt vmcnt(0)
	global_store_dwordx2 v[8:9], v[18:19], off offset:-8
	global_store_dword v[12:13], v17, off
	s_cbranch_vccnz .LBB224_11
; %bb.10:                               ;   in Loop: Header=BB224_5 Depth=1
	v_mov_b32_e32 v17, s20
	v_add_co_u32_e32 v18, vcc, s19, v14
	v_addc_co_u32_e32 v19, vcc, v17, v15, vcc
	s_cbranch_execz .LBB224_12
	s_branch .LBB224_13
.LBB224_11:                             ;   in Loop: Header=BB224_5 Depth=1
                                        ; implicit-def: $vgpr18_vgpr19
.LBB224_12:                             ;   in Loop: Header=BB224_5 Depth=1
	v_add_co_u32_e32 v18, vcc, -8, v10
	v_addc_co_u32_e32 v19, vcc, -1, v11, vcc
.LBB224_13:                             ;   in Loop: Header=BB224_5 Depth=1
	global_load_dwordx2 v[18:19], v[18:19], off
	v_add_u32_e32 v16, 3, v16
	s_and_b64 vcc, exec, s[2:3]
	global_store_dword v[12:13], v16, off offset:4
	s_waitcnt vmcnt(1)
	global_store_dwordx2 v[8:9], v[18:19], off
	v_pk_mov_b32 v[16:17], v[10:11], v[10:11] op_sel:[0,1]
	s_cbranch_vccnz .LBB224_4
; %bb.14:                               ;   in Loop: Header=BB224_5 Depth=1
	v_mov_b32_e32 v17, s22
	v_add_co_u32_e32 v16, vcc, s21, v14
	v_addc_co_u32_e32 v17, vcc, v17, v15, vcc
	s_branch .LBB224_4
.LBB224_15:
	s_endpgm
	.section	.rodata,"a",@progbits
	.p2align	6, 0x0
	.amdhsa_kernel _ZN9rocsparseL32bsr2csr_block_per_row_2_7_kernelILj256ELj4EdliEEv20rocsparse_direction_T3_S2_21rocsparse_index_base_PKT1_PKT2_PKS2_S2_S3_PS4_PS7_PS2_
		.amdhsa_group_segment_fixed_size 0
		.amdhsa_private_segment_fixed_size 0
		.amdhsa_kernarg_size 72
		.amdhsa_user_sgpr_count 6
		.amdhsa_user_sgpr_private_segment_buffer 1
		.amdhsa_user_sgpr_dispatch_ptr 0
		.amdhsa_user_sgpr_queue_ptr 0
		.amdhsa_user_sgpr_kernarg_segment_ptr 1
		.amdhsa_user_sgpr_dispatch_id 0
		.amdhsa_user_sgpr_flat_scratch_init 0
		.amdhsa_user_sgpr_kernarg_preload_length 0
		.amdhsa_user_sgpr_kernarg_preload_offset 0
		.amdhsa_user_sgpr_private_segment_size 0
		.amdhsa_uses_dynamic_stack 0
		.amdhsa_system_sgpr_private_segment_wavefront_offset 0
		.amdhsa_system_sgpr_workgroup_id_x 1
		.amdhsa_system_sgpr_workgroup_id_y 0
		.amdhsa_system_sgpr_workgroup_id_z 0
		.amdhsa_system_sgpr_workgroup_info 0
		.amdhsa_system_vgpr_workitem_id 0
		.amdhsa_next_free_vgpr 23
		.amdhsa_next_free_sgpr 28
		.amdhsa_accum_offset 24
		.amdhsa_reserve_vcc 1
		.amdhsa_reserve_flat_scratch 0
		.amdhsa_float_round_mode_32 0
		.amdhsa_float_round_mode_16_64 0
		.amdhsa_float_denorm_mode_32 3
		.amdhsa_float_denorm_mode_16_64 3
		.amdhsa_dx10_clamp 1
		.amdhsa_ieee_mode 1
		.amdhsa_fp16_overflow 0
		.amdhsa_tg_split 0
		.amdhsa_exception_fp_ieee_invalid_op 0
		.amdhsa_exception_fp_denorm_src 0
		.amdhsa_exception_fp_ieee_div_zero 0
		.amdhsa_exception_fp_ieee_overflow 0
		.amdhsa_exception_fp_ieee_underflow 0
		.amdhsa_exception_fp_ieee_inexact 0
		.amdhsa_exception_int_div_zero 0
	.end_amdhsa_kernel
	.section	.text._ZN9rocsparseL32bsr2csr_block_per_row_2_7_kernelILj256ELj4EdliEEv20rocsparse_direction_T3_S2_21rocsparse_index_base_PKT1_PKT2_PKS2_S2_S3_PS4_PS7_PS2_,"axG",@progbits,_ZN9rocsparseL32bsr2csr_block_per_row_2_7_kernelILj256ELj4EdliEEv20rocsparse_direction_T3_S2_21rocsparse_index_base_PKT1_PKT2_PKS2_S2_S3_PS4_PS7_PS2_,comdat
.Lfunc_end224:
	.size	_ZN9rocsparseL32bsr2csr_block_per_row_2_7_kernelILj256ELj4EdliEEv20rocsparse_direction_T3_S2_21rocsparse_index_base_PKT1_PKT2_PKS2_S2_S3_PS4_PS7_PS2_, .Lfunc_end224-_ZN9rocsparseL32bsr2csr_block_per_row_2_7_kernelILj256ELj4EdliEEv20rocsparse_direction_T3_S2_21rocsparse_index_base_PKT1_PKT2_PKS2_S2_S3_PS4_PS7_PS2_
                                        ; -- End function
	.section	.AMDGPU.csdata,"",@progbits
; Kernel info:
; codeLenInByte = 980
; NumSgprs: 32
; NumVgprs: 23
; NumAgprs: 0
; TotalNumVgprs: 23
; ScratchSize: 0
; MemoryBound: 0
; FloatMode: 240
; IeeeMode: 1
; LDSByteSize: 0 bytes/workgroup (compile time only)
; SGPRBlocks: 3
; VGPRBlocks: 2
; NumSGPRsForWavesPerEU: 32
; NumVGPRsForWavesPerEU: 23
; AccumOffset: 24
; Occupancy: 8
; WaveLimiterHint : 0
; COMPUTE_PGM_RSRC2:SCRATCH_EN: 0
; COMPUTE_PGM_RSRC2:USER_SGPR: 6
; COMPUTE_PGM_RSRC2:TRAP_HANDLER: 0
; COMPUTE_PGM_RSRC2:TGID_X_EN: 1
; COMPUTE_PGM_RSRC2:TGID_Y_EN: 0
; COMPUTE_PGM_RSRC2:TGID_Z_EN: 0
; COMPUTE_PGM_RSRC2:TIDIG_COMP_CNT: 0
; COMPUTE_PGM_RSRC3_GFX90A:ACCUM_OFFSET: 5
; COMPUTE_PGM_RSRC3_GFX90A:TG_SPLIT: 0
	.section	.text._ZN9rocsparseL32bsr2csr_block_per_row_2_7_kernelILj256ELj5EdliEEv20rocsparse_direction_T3_S2_21rocsparse_index_base_PKT1_PKT2_PKS2_S2_S3_PS4_PS7_PS2_,"axG",@progbits,_ZN9rocsparseL32bsr2csr_block_per_row_2_7_kernelILj256ELj5EdliEEv20rocsparse_direction_T3_S2_21rocsparse_index_base_PKT1_PKT2_PKS2_S2_S3_PS4_PS7_PS2_,comdat
	.globl	_ZN9rocsparseL32bsr2csr_block_per_row_2_7_kernelILj256ELj5EdliEEv20rocsparse_direction_T3_S2_21rocsparse_index_base_PKT1_PKT2_PKS2_S2_S3_PS4_PS7_PS2_ ; -- Begin function _ZN9rocsparseL32bsr2csr_block_per_row_2_7_kernelILj256ELj5EdliEEv20rocsparse_direction_T3_S2_21rocsparse_index_base_PKT1_PKT2_PKS2_S2_S3_PS4_PS7_PS2_
	.p2align	8
	.type	_ZN9rocsparseL32bsr2csr_block_per_row_2_7_kernelILj256ELj5EdliEEv20rocsparse_direction_T3_S2_21rocsparse_index_base_PKT1_PKT2_PKS2_S2_S3_PS4_PS7_PS2_,@function
_ZN9rocsparseL32bsr2csr_block_per_row_2_7_kernelILj256ELj5EdliEEv20rocsparse_direction_T3_S2_21rocsparse_index_base_PKT1_PKT2_PKS2_S2_S3_PS4_PS7_PS2_: ; @_ZN9rocsparseL32bsr2csr_block_per_row_2_7_kernelILj256ELj5EdliEEv20rocsparse_direction_T3_S2_21rocsparse_index_base_PKT1_PKT2_PKS2_S2_S3_PS4_PS7_PS2_
; %bb.0:
	s_load_dwordx2 s[2:3], s[4:5], 0x18
	s_load_dword s12, s[4:5], 0x2c
	s_load_dwordx2 s[0:1], s[4:5], 0x38
	s_ashr_i32 s7, s6, 31
	s_lshl_b64 s[8:9], s[6:7], 3
	s_waitcnt lgkmcnt(0)
	s_add_u32 s2, s2, s8
	v_or_b32_e32 v1, s6, v0
	s_addc_u32 s3, s3, s9
	v_cmp_eq_u32_e32 vcc, 0, v1
	s_and_saveexec_b64 s[8:9], vcc
	s_cbranch_execz .LBB225_2
; %bb.1:
	v_mov_b32_e32 v2, s12
	v_mov_b32_e32 v3, 0
	global_store_dwordx2 v3, v[2:3], s[0:1]
.LBB225_2:
	s_or_b64 exec, exec, s[8:9]
	v_and_b32_e32 v4, 7, v0
	v_cmp_gt_u32_e32 vcc, 5, v4
	s_and_saveexec_b64 s[8:9], vcc
	s_cbranch_execz .LBB225_6
; %bb.3:
	s_load_dwordx4 s[8:11], s[2:3], 0x0
	s_load_dword s7, s[4:5], 0xc
	s_mul_i32 s6, s6, 5
	v_lshrrev_b32_e32 v8, 3, v0
	v_mov_b32_e32 v1, 0
	v_add3_u32 v0, v4, s6, 1
	s_waitcnt lgkmcnt(0)
	s_sub_u32 s3, s8, s7
	s_subb_u32 s13, s9, 0
	s_mul_hi_u32 s2, s3, 25
	s_sub_u32 s10, s10, s7
	s_mul_i32 s14, s13, 25
	s_subb_u32 s11, s11, 0
	s_add_i32 s15, s2, s14
	s_sub_u32 s2, s10, s3
	s_subb_u32 s16, s11, s13
	s_mul_i32 s16, s16, 5
	s_mul_hi_u32 s17, s2, 5
	s_add_i32 s17, s17, s16
	s_mul_i32 s2, s2, 5
	s_add_u32 s16, s2, s12
	s_mul_i32 s14, s3, 25
	v_mul_lo_u32 v2, s17, v4
	s_addc_u32 s17, s17, 0
	s_add_u32 s14, s16, s14
	s_addc_u32 s15, s17, s15
	v_pk_mov_b32 v[6:7], s[14:15], s[14:15] op_sel:[0,1]
	v_lshlrev_b64 v[0:1], 3, v[0:1]
	v_mad_u64_u32 v[6:7], s[14:15], s2, v4, v[6:7]
	v_mov_b32_e32 v3, s1
	v_add_co_u32_e32 v0, vcc, s0, v0
	v_add_u32_e32 v7, v2, v7
	v_addc_co_u32_e32 v1, vcc, v3, v1, vcc
	global_store_dwordx2 v[0:1], v[6:7], off
	v_mov_b32_e32 v1, s13
	v_add_co_u32_e32 v0, vcc, s3, v8
	v_addc_co_u32_e32 v1, vcc, 0, v1, vcc
	v_cmp_gt_i64_e32 vcc, s[10:11], v[0:1]
	s_and_b64 exec, exec, vcc
	s_cbranch_execz .LBB225_6
; %bb.4:
	s_load_dwordx2 s[14:15], s[4:5], 0x20
	s_load_dwordx2 s[16:17], s[4:5], 0x30
	;; [unrolled: 1-line block ×3, first 2 shown]
	s_load_dword s3, s[4:5], 0x0
	s_load_dwordx2 s[20:21], s[4:5], 0x40
	s_movk_i32 s4, 0xc8
	v_mad_u64_u32 v[10:11], s[0:1], s2, v4, 0
	s_waitcnt lgkmcnt(0)
	v_pk_mov_b32 v[6:7], s[18:19], s[18:19] op_sel:[0,1]
	s_cmp_eq_u32 s3, 0
	v_mad_u64_u32 v[6:7], s[2:3], v0, s4, v[6:7]
	v_add_u32_e32 v11, v11, v2
	v_lshlrev_b64 v[2:3], 2, v[0:1]
	v_mov_b32_e32 v12, v7
	v_mov_b32_e32 v5, s15
	v_add_co_u32_e32 v2, vcc, s14, v2
	v_mad_u64_u32 v[12:13], s[2:3], v1, s4, v[12:13]
	v_mad_u64_u32 v[10:11], s[2:3], s8, 25, v[10:11]
	v_addc_co_u32_e32 v3, vcc, v5, v3, vcc
	v_mov_b32_e32 v5, v12
	v_mov_b32_e32 v12, v11
	v_mad_u64_u32 v[12:13], s[2:3], s9, 25, v[12:13]
	v_mov_b32_e32 v11, v12
	v_mad_u64_u32 v[8:9], s[2:3], v8, 5, v[10:11]
	s_mul_hi_u32 s2, s7, 25
	s_mul_i32 s3, s7, 25
	v_mov_b32_e32 v7, s2
	v_subrev_co_u32_e32 v10, vcc, s3, v8
	v_subb_co_u32_e32 v11, vcc, v9, v7, vcc
	v_lshlrev_b64 v[8:9], 3, v[10:11]
	v_mov_b32_e32 v7, s17
	v_add_co_u32_e32 v8, vcc, s16, v8
	v_addc_co_u32_e32 v7, vcc, v9, v7, vcc
	v_add_co_u32_e32 v8, vcc, 16, v8
	v_addc_co_u32_e32 v9, vcc, 0, v7, vcc
	v_lshlrev_b64 v[10:11], 2, v[10:11]
	v_mov_b32_e32 v7, s21
	v_add_co_u32_e32 v10, vcc, s20, v10
	v_addc_co_u32_e32 v7, vcc, v11, v7, vcc
	v_mul_u32_u24_e32 v14, 5, v4
	v_add_co_u32_e32 v10, vcc, 12, v10
	s_cselect_b64 s[0:1], -1, 0
	v_lshlrev_b32_e32 v4, 3, v4
	v_addc_co_u32_e32 v11, vcc, 0, v7, vcc
	v_lshlrev_b32_e32 v12, 3, v14
	s_mov_b64 s[4:5], 0
	v_mov_b32_e32 v14, s12
	s_movk_i32 s6, 0x50
	s_movk_i32 s8, 0x78
	;; [unrolled: 1-line block ×5, first 2 shown]
.LBB225_5:                              ; =>This Inner Loop Header: Depth=1
	v_add_co_u32_e32 v13, vcc, v6, v4
	v_addc_co_u32_e32 v15, vcc, 0, v5, vcc
	v_add_co_u32_e32 v18, vcc, v6, v12
	v_addc_co_u32_e32 v19, vcc, 0, v5, vcc
	v_add_co_u32_e32 v20, vcc, 8, v18
	v_addc_co_u32_e32 v21, vcc, 0, v19, vcc
	v_add_co_u32_e32 v22, vcc, 40, v13
	v_addc_co_u32_e32 v23, vcc, 0, v15, vcc
	v_add_co_u32_e32 v26, vcc, 16, v18
	v_addc_co_u32_e32 v27, vcc, 0, v19, vcc
	v_add_co_u32_e32 v28, vcc, s6, v13
	v_addc_co_u32_e32 v29, vcc, 0, v15, vcc
	v_add_co_u32_e32 v30, vcc, 24, v18
	v_addc_co_u32_e32 v31, vcc, 0, v19, vcc
	v_add_co_u32_e32 v32, vcc, s8, v13
	v_addc_co_u32_e32 v33, vcc, 0, v15, vcc
	v_cndmask_b32_e64 v16, v13, v18, s[0:1]
	v_add_co_u32_e32 v18, vcc, 32, v18
	v_cndmask_b32_e64 v17, v15, v19, s[0:1]
	v_addc_co_u32_e32 v19, vcc, 0, v19, vcc
	global_load_dword v7, v[2:3], off
	v_add_co_u32_e32 v13, vcc, s9, v13
	v_addc_co_u32_e32 v15, vcc, 0, v15, vcc
	v_cndmask_b32_e64 v25, v23, v21, s[0:1]
	v_cndmask_b32_e64 v24, v22, v20, s[0:1]
	global_load_dwordx2 v[16:17], v[16:17], off
	v_cndmask_b32_e64 v27, v29, v27, s[0:1]
	v_cndmask_b32_e64 v26, v28, v26, s[0:1]
	;; [unrolled: 1-line block ×6, first 2 shown]
	global_load_dwordx2 v[18:19], v[24:25], off
	global_load_dwordx2 v[20:21], v[26:27], off
	;; [unrolled: 1-line block ×4, first 2 shown]
	v_add_co_u32_e32 v0, vcc, 32, v0
	v_addc_co_u32_e32 v1, vcc, 0, v1, vcc
	v_add_co_u32_e32 v2, vcc, s12, v2
	v_addc_co_u32_e32 v3, vcc, 0, v3, vcc
	v_add_co_u32_e32 v6, vcc, s13, v6
	v_cmp_le_i64_e64 s[2:3], s[10:11], v[0:1]
	v_addc_co_u32_e32 v5, vcc, 0, v5, vcc
	s_or_b64 s[4:5], s[2:3], s[4:5]
	s_waitcnt vmcnt(5)
	v_subrev_u32_e32 v7, s7, v7
	v_mad_u64_u32 v[24:25], s[2:3], v7, 5, v[14:15]
	v_add_u32_e32 v26, 2, v24
	v_add_u32_e32 v25, 1, v24
	;; [unrolled: 1-line block ×4, first 2 shown]
	s_waitcnt vmcnt(3)
	global_store_dwordx4 v[8:9], v[16:19], off offset:-16
	global_store_dwordx3 v[10:11], v[24:26], off offset:-12
	s_waitcnt vmcnt(3)
	global_store_dwordx4 v[8:9], v[20:23], off
	global_store_dwordx2 v[10:11], v[28:29], off
	s_waitcnt vmcnt(4)
	global_store_dwordx2 v[8:9], v[32:33], off offset:16
	v_add_co_u32_e32 v8, vcc, 0x500, v8
	v_addc_co_u32_e32 v9, vcc, 0, v9, vcc
	v_add_co_u32_e32 v10, vcc, 0x280, v10
	v_addc_co_u32_e32 v11, vcc, 0, v11, vcc
	s_andn2_b64 exec, exec, s[4:5]
	s_cbranch_execnz .LBB225_5
.LBB225_6:
	s_endpgm
	.section	.rodata,"a",@progbits
	.p2align	6, 0x0
	.amdhsa_kernel _ZN9rocsparseL32bsr2csr_block_per_row_2_7_kernelILj256ELj5EdliEEv20rocsparse_direction_T3_S2_21rocsparse_index_base_PKT1_PKT2_PKS2_S2_S3_PS4_PS7_PS2_
		.amdhsa_group_segment_fixed_size 0
		.amdhsa_private_segment_fixed_size 0
		.amdhsa_kernarg_size 72
		.amdhsa_user_sgpr_count 6
		.amdhsa_user_sgpr_private_segment_buffer 1
		.amdhsa_user_sgpr_dispatch_ptr 0
		.amdhsa_user_sgpr_queue_ptr 0
		.amdhsa_user_sgpr_kernarg_segment_ptr 1
		.amdhsa_user_sgpr_dispatch_id 0
		.amdhsa_user_sgpr_flat_scratch_init 0
		.amdhsa_user_sgpr_kernarg_preload_length 0
		.amdhsa_user_sgpr_kernarg_preload_offset 0
		.amdhsa_user_sgpr_private_segment_size 0
		.amdhsa_uses_dynamic_stack 0
		.amdhsa_system_sgpr_private_segment_wavefront_offset 0
		.amdhsa_system_sgpr_workgroup_id_x 1
		.amdhsa_system_sgpr_workgroup_id_y 0
		.amdhsa_system_sgpr_workgroup_id_z 0
		.amdhsa_system_sgpr_workgroup_info 0
		.amdhsa_system_vgpr_workitem_id 0
		.amdhsa_next_free_vgpr 34
		.amdhsa_next_free_sgpr 22
		.amdhsa_accum_offset 36
		.amdhsa_reserve_vcc 1
		.amdhsa_reserve_flat_scratch 0
		.amdhsa_float_round_mode_32 0
		.amdhsa_float_round_mode_16_64 0
		.amdhsa_float_denorm_mode_32 3
		.amdhsa_float_denorm_mode_16_64 3
		.amdhsa_dx10_clamp 1
		.amdhsa_ieee_mode 1
		.amdhsa_fp16_overflow 0
		.amdhsa_tg_split 0
		.amdhsa_exception_fp_ieee_invalid_op 0
		.amdhsa_exception_fp_denorm_src 0
		.amdhsa_exception_fp_ieee_div_zero 0
		.amdhsa_exception_fp_ieee_overflow 0
		.amdhsa_exception_fp_ieee_underflow 0
		.amdhsa_exception_fp_ieee_inexact 0
		.amdhsa_exception_int_div_zero 0
	.end_amdhsa_kernel
	.section	.text._ZN9rocsparseL32bsr2csr_block_per_row_2_7_kernelILj256ELj5EdliEEv20rocsparse_direction_T3_S2_21rocsparse_index_base_PKT1_PKT2_PKS2_S2_S3_PS4_PS7_PS2_,"axG",@progbits,_ZN9rocsparseL32bsr2csr_block_per_row_2_7_kernelILj256ELj5EdliEEv20rocsparse_direction_T3_S2_21rocsparse_index_base_PKT1_PKT2_PKS2_S2_S3_PS4_PS7_PS2_,comdat
.Lfunc_end225:
	.size	_ZN9rocsparseL32bsr2csr_block_per_row_2_7_kernelILj256ELj5EdliEEv20rocsparse_direction_T3_S2_21rocsparse_index_base_PKT1_PKT2_PKS2_S2_S3_PS4_PS7_PS2_, .Lfunc_end225-_ZN9rocsparseL32bsr2csr_block_per_row_2_7_kernelILj256ELj5EdliEEv20rocsparse_direction_T3_S2_21rocsparse_index_base_PKT1_PKT2_PKS2_S2_S3_PS4_PS7_PS2_
                                        ; -- End function
	.section	.AMDGPU.csdata,"",@progbits
; Kernel info:
; codeLenInByte = 920
; NumSgprs: 26
; NumVgprs: 34
; NumAgprs: 0
; TotalNumVgprs: 34
; ScratchSize: 0
; MemoryBound: 0
; FloatMode: 240
; IeeeMode: 1
; LDSByteSize: 0 bytes/workgroup (compile time only)
; SGPRBlocks: 3
; VGPRBlocks: 4
; NumSGPRsForWavesPerEU: 26
; NumVGPRsForWavesPerEU: 34
; AccumOffset: 36
; Occupancy: 8
; WaveLimiterHint : 0
; COMPUTE_PGM_RSRC2:SCRATCH_EN: 0
; COMPUTE_PGM_RSRC2:USER_SGPR: 6
; COMPUTE_PGM_RSRC2:TRAP_HANDLER: 0
; COMPUTE_PGM_RSRC2:TGID_X_EN: 1
; COMPUTE_PGM_RSRC2:TGID_Y_EN: 0
; COMPUTE_PGM_RSRC2:TGID_Z_EN: 0
; COMPUTE_PGM_RSRC2:TIDIG_COMP_CNT: 0
; COMPUTE_PGM_RSRC3_GFX90A:ACCUM_OFFSET: 8
; COMPUTE_PGM_RSRC3_GFX90A:TG_SPLIT: 0
	.section	.text._ZN9rocsparseL32bsr2csr_block_per_row_2_7_kernelILj256ELj6EdliEEv20rocsparse_direction_T3_S2_21rocsparse_index_base_PKT1_PKT2_PKS2_S2_S3_PS4_PS7_PS2_,"axG",@progbits,_ZN9rocsparseL32bsr2csr_block_per_row_2_7_kernelILj256ELj6EdliEEv20rocsparse_direction_T3_S2_21rocsparse_index_base_PKT1_PKT2_PKS2_S2_S3_PS4_PS7_PS2_,comdat
	.globl	_ZN9rocsparseL32bsr2csr_block_per_row_2_7_kernelILj256ELj6EdliEEv20rocsparse_direction_T3_S2_21rocsparse_index_base_PKT1_PKT2_PKS2_S2_S3_PS4_PS7_PS2_ ; -- Begin function _ZN9rocsparseL32bsr2csr_block_per_row_2_7_kernelILj256ELj6EdliEEv20rocsparse_direction_T3_S2_21rocsparse_index_base_PKT1_PKT2_PKS2_S2_S3_PS4_PS7_PS2_
	.p2align	8
	.type	_ZN9rocsparseL32bsr2csr_block_per_row_2_7_kernelILj256ELj6EdliEEv20rocsparse_direction_T3_S2_21rocsparse_index_base_PKT1_PKT2_PKS2_S2_S3_PS4_PS7_PS2_,@function
_ZN9rocsparseL32bsr2csr_block_per_row_2_7_kernelILj256ELj6EdliEEv20rocsparse_direction_T3_S2_21rocsparse_index_base_PKT1_PKT2_PKS2_S2_S3_PS4_PS7_PS2_: ; @_ZN9rocsparseL32bsr2csr_block_per_row_2_7_kernelILj256ELj6EdliEEv20rocsparse_direction_T3_S2_21rocsparse_index_base_PKT1_PKT2_PKS2_S2_S3_PS4_PS7_PS2_
; %bb.0:
	s_load_dwordx2 s[2:3], s[4:5], 0x18
	s_load_dword s12, s[4:5], 0x2c
	s_load_dwordx2 s[0:1], s[4:5], 0x38
	s_ashr_i32 s7, s6, 31
	s_lshl_b64 s[8:9], s[6:7], 3
	s_waitcnt lgkmcnt(0)
	s_add_u32 s2, s2, s8
	v_or_b32_e32 v1, s6, v0
	s_addc_u32 s3, s3, s9
	v_cmp_eq_u32_e32 vcc, 0, v1
	s_and_saveexec_b64 s[8:9], vcc
	s_cbranch_execz .LBB226_2
; %bb.1:
	v_mov_b32_e32 v2, s12
	v_mov_b32_e32 v3, 0
	global_store_dwordx2 v3, v[2:3], s[0:1]
.LBB226_2:
	s_or_b64 exec, exec, s[8:9]
	v_and_b32_e32 v4, 7, v0
	v_cmp_gt_u32_e32 vcc, 6, v4
	s_and_saveexec_b64 s[8:9], vcc
	s_cbranch_execz .LBB226_6
; %bb.3:
	s_load_dwordx4 s[8:11], s[2:3], 0x0
	s_load_dword s7, s[4:5], 0xc
	s_mul_i32 s6, s6, 6
	v_lshrrev_b32_e32 v8, 3, v0
	v_mov_b32_e32 v1, 0
	v_add3_u32 v0, v4, s6, 1
	s_waitcnt lgkmcnt(0)
	s_sub_u32 s3, s8, s7
	s_subb_u32 s13, s9, 0
	s_mul_hi_u32 s2, s3, 36
	s_sub_u32 s10, s10, s7
	s_mul_i32 s14, s13, 36
	s_subb_u32 s11, s11, 0
	s_add_i32 s15, s2, s14
	s_sub_u32 s2, s10, s3
	s_subb_u32 s16, s11, s13
	s_mul_i32 s16, s16, 6
	s_mul_hi_u32 s17, s2, 6
	s_add_i32 s17, s17, s16
	s_mul_i32 s2, s2, 6
	s_add_u32 s16, s2, s12
	s_mul_i32 s14, s3, 36
	v_mul_lo_u32 v2, s17, v4
	s_addc_u32 s17, s17, 0
	s_add_u32 s14, s16, s14
	s_addc_u32 s15, s17, s15
	v_pk_mov_b32 v[6:7], s[14:15], s[14:15] op_sel:[0,1]
	v_lshlrev_b64 v[0:1], 3, v[0:1]
	v_mad_u64_u32 v[6:7], s[14:15], s2, v4, v[6:7]
	v_mov_b32_e32 v3, s1
	v_add_co_u32_e32 v0, vcc, s0, v0
	v_add_u32_e32 v7, v2, v7
	v_addc_co_u32_e32 v1, vcc, v3, v1, vcc
	global_store_dwordx2 v[0:1], v[6:7], off
	v_mov_b32_e32 v1, s13
	v_add_co_u32_e32 v0, vcc, s3, v8
	v_addc_co_u32_e32 v1, vcc, 0, v1, vcc
	v_cmp_gt_i64_e32 vcc, s[10:11], v[0:1]
	s_and_b64 exec, exec, vcc
	s_cbranch_execz .LBB226_6
; %bb.4:
	s_load_dwordx2 s[14:15], s[4:5], 0x20
	s_load_dwordx2 s[16:17], s[4:5], 0x30
	;; [unrolled: 1-line block ×3, first 2 shown]
	s_load_dword s3, s[4:5], 0x0
	s_load_dwordx2 s[20:21], s[4:5], 0x40
	s_movk_i32 s4, 0x120
	v_mad_u64_u32 v[10:11], s[0:1], s2, v4, 0
	s_waitcnt lgkmcnt(0)
	v_pk_mov_b32 v[6:7], s[18:19], s[18:19] op_sel:[0,1]
	s_cmp_eq_u32 s3, 0
	v_mad_u64_u32 v[6:7], s[2:3], v0, s4, v[6:7]
	v_add_u32_e32 v11, v11, v2
	v_lshlrev_b64 v[2:3], 2, v[0:1]
	v_mov_b32_e32 v12, v7
	v_mov_b32_e32 v5, s15
	v_add_co_u32_e32 v2, vcc, s14, v2
	v_mad_u64_u32 v[12:13], s[2:3], v1, s4, v[12:13]
	v_mad_u64_u32 v[10:11], s[2:3], s8, 36, v[10:11]
	v_addc_co_u32_e32 v3, vcc, v5, v3, vcc
	v_mov_b32_e32 v5, v12
	v_mov_b32_e32 v12, v11
	v_mad_u64_u32 v[12:13], s[2:3], s9, 36, v[12:13]
	v_mov_b32_e32 v11, v12
	v_mad_u64_u32 v[8:9], s[2:3], v8, 6, v[10:11]
	s_mul_hi_u32 s2, s7, 36
	s_mul_i32 s3, s7, 36
	v_mov_b32_e32 v7, s2
	v_subrev_co_u32_e32 v10, vcc, s3, v8
	v_subb_co_u32_e32 v11, vcc, v9, v7, vcc
	v_lshlrev_b64 v[8:9], 3, v[10:11]
	v_mov_b32_e32 v7, s17
	v_add_co_u32_e32 v8, vcc, s16, v8
	v_addc_co_u32_e32 v7, vcc, v9, v7, vcc
	v_add_co_u32_e32 v8, vcc, 24, v8
	v_addc_co_u32_e32 v9, vcc, 0, v7, vcc
	v_lshlrev_b64 v[10:11], 2, v[10:11]
	v_mov_b32_e32 v7, s21
	v_add_co_u32_e32 v10, vcc, s20, v10
	v_addc_co_u32_e32 v7, vcc, v11, v7, vcc
	v_mul_u32_u24_e32 v14, 6, v4
	v_add_co_u32_e32 v10, vcc, 12, v10
	s_cselect_b64 s[0:1], -1, 0
	v_lshlrev_b32_e32 v4, 3, v4
	v_addc_co_u32_e32 v11, vcc, 0, v7, vcc
	v_lshlrev_b32_e32 v12, 3, v14
	s_mov_b64 s[4:5], 0
	v_mov_b32_e32 v14, s12
	s_movk_i32 s6, 0x60
	s_movk_i32 s8, 0x90
	;; [unrolled: 1-line block ×6, first 2 shown]
.LBB226_5:                              ; =>This Inner Loop Header: Depth=1
	v_add_co_u32_e32 v13, vcc, v6, v4
	v_addc_co_u32_e32 v15, vcc, 0, v5, vcc
	v_add_co_u32_e32 v18, vcc, v6, v12
	v_addc_co_u32_e32 v19, vcc, 0, v5, vcc
	;; [unrolled: 2-line block ×10, first 2 shown]
	v_cndmask_b32_e64 v16, v13, v18, s[0:1]
	v_add_co_u32_e32 v18, vcc, 40, v18
	v_cndmask_b32_e64 v17, v15, v19, s[0:1]
	v_addc_co_u32_e32 v19, vcc, 0, v19, vcc
	global_load_dword v7, v[2:3], off
	v_add_co_u32_e32 v13, vcc, s12, v13
	v_addc_co_u32_e32 v15, vcc, 0, v15, vcc
	v_cndmask_b32_e64 v29, v23, v21, s[0:1]
	v_cndmask_b32_e64 v28, v22, v20, s[0:1]
	global_load_dwordx2 v[16:17], v[16:17], off
	v_cndmask_b32_e64 v31, v27, v25, s[0:1]
	v_cndmask_b32_e64 v30, v26, v24, s[0:1]
	;; [unrolled: 1-line block ×8, first 2 shown]
	global_load_dwordx2 v[18:19], v[28:29], off
	global_load_dwordx2 v[20:21], v[30:31], off
	;; [unrolled: 1-line block ×5, first 2 shown]
	v_add_co_u32_e32 v0, vcc, 32, v0
	v_addc_co_u32_e32 v1, vcc, 0, v1, vcc
	v_add_co_u32_e32 v2, vcc, s13, v2
	v_addc_co_u32_e32 v3, vcc, 0, v3, vcc
	v_add_co_u32_e32 v6, vcc, s14, v6
	v_cmp_le_i64_e64 s[2:3], s[10:11], v[0:1]
	v_addc_co_u32_e32 v5, vcc, 0, v5, vcc
	s_or_b64 s[4:5], s[2:3], s[4:5]
	s_waitcnt vmcnt(6)
	v_subrev_u32_e32 v7, s7, v7
	v_mad_u64_u32 v[28:29], s[2:3], v7, 6, v[14:15]
	v_add_u32_e32 v30, 2, v28
	v_add_u32_e32 v29, 1, v28
	;; [unrolled: 1-line block ×5, first 2 shown]
	s_waitcnt vmcnt(4)
	global_store_dwordx4 v[8:9], v[16:19], off offset:-24
	global_store_dwordx3 v[10:11], v[28:30], off offset:-12
	s_waitcnt vmcnt(4)
	global_store_dwordx4 v[8:9], v[20:23], off offset:-8
	global_store_dwordx3 v[10:11], v[32:34], off
	s_waitcnt vmcnt(4)
	global_store_dwordx4 v[8:9], v[24:27], off offset:8
	v_add_co_u32_e32 v8, vcc, 0x600, v8
	v_addc_co_u32_e32 v9, vcc, 0, v9, vcc
	v_add_co_u32_e32 v10, vcc, 0x300, v10
	v_addc_co_u32_e32 v11, vcc, 0, v11, vcc
	s_andn2_b64 exec, exec, s[4:5]
	s_cbranch_execnz .LBB226_5
.LBB226_6:
	s_endpgm
	.section	.rodata,"a",@progbits
	.p2align	6, 0x0
	.amdhsa_kernel _ZN9rocsparseL32bsr2csr_block_per_row_2_7_kernelILj256ELj6EdliEEv20rocsparse_direction_T3_S2_21rocsparse_index_base_PKT1_PKT2_PKS2_S2_S3_PS4_PS7_PS2_
		.amdhsa_group_segment_fixed_size 0
		.amdhsa_private_segment_fixed_size 0
		.amdhsa_kernarg_size 72
		.amdhsa_user_sgpr_count 6
		.amdhsa_user_sgpr_private_segment_buffer 1
		.amdhsa_user_sgpr_dispatch_ptr 0
		.amdhsa_user_sgpr_queue_ptr 0
		.amdhsa_user_sgpr_kernarg_segment_ptr 1
		.amdhsa_user_sgpr_dispatch_id 0
		.amdhsa_user_sgpr_flat_scratch_init 0
		.amdhsa_user_sgpr_kernarg_preload_length 0
		.amdhsa_user_sgpr_kernarg_preload_offset 0
		.amdhsa_user_sgpr_private_segment_size 0
		.amdhsa_uses_dynamic_stack 0
		.amdhsa_system_sgpr_private_segment_wavefront_offset 0
		.amdhsa_system_sgpr_workgroup_id_x 1
		.amdhsa_system_sgpr_workgroup_id_y 0
		.amdhsa_system_sgpr_workgroup_id_z 0
		.amdhsa_system_sgpr_workgroup_info 0
		.amdhsa_system_vgpr_workitem_id 0
		.amdhsa_next_free_vgpr 40
		.amdhsa_next_free_sgpr 22
		.amdhsa_accum_offset 40
		.amdhsa_reserve_vcc 1
		.amdhsa_reserve_flat_scratch 0
		.amdhsa_float_round_mode_32 0
		.amdhsa_float_round_mode_16_64 0
		.amdhsa_float_denorm_mode_32 3
		.amdhsa_float_denorm_mode_16_64 3
		.amdhsa_dx10_clamp 1
		.amdhsa_ieee_mode 1
		.amdhsa_fp16_overflow 0
		.amdhsa_tg_split 0
		.amdhsa_exception_fp_ieee_invalid_op 0
		.amdhsa_exception_fp_denorm_src 0
		.amdhsa_exception_fp_ieee_div_zero 0
		.amdhsa_exception_fp_ieee_overflow 0
		.amdhsa_exception_fp_ieee_underflow 0
		.amdhsa_exception_fp_ieee_inexact 0
		.amdhsa_exception_int_div_zero 0
	.end_amdhsa_kernel
	.section	.text._ZN9rocsparseL32bsr2csr_block_per_row_2_7_kernelILj256ELj6EdliEEv20rocsparse_direction_T3_S2_21rocsparse_index_base_PKT1_PKT2_PKS2_S2_S3_PS4_PS7_PS2_,"axG",@progbits,_ZN9rocsparseL32bsr2csr_block_per_row_2_7_kernelILj256ELj6EdliEEv20rocsparse_direction_T3_S2_21rocsparse_index_base_PKT1_PKT2_PKS2_S2_S3_PS4_PS7_PS2_,comdat
.Lfunc_end226:
	.size	_ZN9rocsparseL32bsr2csr_block_per_row_2_7_kernelILj256ELj6EdliEEv20rocsparse_direction_T3_S2_21rocsparse_index_base_PKT1_PKT2_PKS2_S2_S3_PS4_PS7_PS2_, .Lfunc_end226-_ZN9rocsparseL32bsr2csr_block_per_row_2_7_kernelILj256ELj6EdliEEv20rocsparse_direction_T3_S2_21rocsparse_index_base_PKT1_PKT2_PKS2_S2_S3_PS4_PS7_PS2_
                                        ; -- End function
	.section	.AMDGPU.csdata,"",@progbits
; Kernel info:
; codeLenInByte = 968
; NumSgprs: 26
; NumVgprs: 40
; NumAgprs: 0
; TotalNumVgprs: 40
; ScratchSize: 0
; MemoryBound: 0
; FloatMode: 240
; IeeeMode: 1
; LDSByteSize: 0 bytes/workgroup (compile time only)
; SGPRBlocks: 3
; VGPRBlocks: 4
; NumSGPRsForWavesPerEU: 26
; NumVGPRsForWavesPerEU: 40
; AccumOffset: 40
; Occupancy: 8
; WaveLimiterHint : 0
; COMPUTE_PGM_RSRC2:SCRATCH_EN: 0
; COMPUTE_PGM_RSRC2:USER_SGPR: 6
; COMPUTE_PGM_RSRC2:TRAP_HANDLER: 0
; COMPUTE_PGM_RSRC2:TGID_X_EN: 1
; COMPUTE_PGM_RSRC2:TGID_Y_EN: 0
; COMPUTE_PGM_RSRC2:TGID_Z_EN: 0
; COMPUTE_PGM_RSRC2:TIDIG_COMP_CNT: 0
; COMPUTE_PGM_RSRC3_GFX90A:ACCUM_OFFSET: 9
; COMPUTE_PGM_RSRC3_GFX90A:TG_SPLIT: 0
	.section	.text._ZN9rocsparseL32bsr2csr_block_per_row_2_7_kernelILj256ELj7EdliEEv20rocsparse_direction_T3_S2_21rocsparse_index_base_PKT1_PKT2_PKS2_S2_S3_PS4_PS7_PS2_,"axG",@progbits,_ZN9rocsparseL32bsr2csr_block_per_row_2_7_kernelILj256ELj7EdliEEv20rocsparse_direction_T3_S2_21rocsparse_index_base_PKT1_PKT2_PKS2_S2_S3_PS4_PS7_PS2_,comdat
	.globl	_ZN9rocsparseL32bsr2csr_block_per_row_2_7_kernelILj256ELj7EdliEEv20rocsparse_direction_T3_S2_21rocsparse_index_base_PKT1_PKT2_PKS2_S2_S3_PS4_PS7_PS2_ ; -- Begin function _ZN9rocsparseL32bsr2csr_block_per_row_2_7_kernelILj256ELj7EdliEEv20rocsparse_direction_T3_S2_21rocsparse_index_base_PKT1_PKT2_PKS2_S2_S3_PS4_PS7_PS2_
	.p2align	8
	.type	_ZN9rocsparseL32bsr2csr_block_per_row_2_7_kernelILj256ELj7EdliEEv20rocsparse_direction_T3_S2_21rocsparse_index_base_PKT1_PKT2_PKS2_S2_S3_PS4_PS7_PS2_,@function
_ZN9rocsparseL32bsr2csr_block_per_row_2_7_kernelILj256ELj7EdliEEv20rocsparse_direction_T3_S2_21rocsparse_index_base_PKT1_PKT2_PKS2_S2_S3_PS4_PS7_PS2_: ; @_ZN9rocsparseL32bsr2csr_block_per_row_2_7_kernelILj256ELj7EdliEEv20rocsparse_direction_T3_S2_21rocsparse_index_base_PKT1_PKT2_PKS2_S2_S3_PS4_PS7_PS2_
; %bb.0:
	s_load_dwordx2 s[2:3], s[4:5], 0x18
	s_load_dword s12, s[4:5], 0x2c
	s_load_dwordx2 s[0:1], s[4:5], 0x38
	s_ashr_i32 s7, s6, 31
	s_lshl_b64 s[8:9], s[6:7], 3
	s_waitcnt lgkmcnt(0)
	s_add_u32 s2, s2, s8
	v_or_b32_e32 v1, s6, v0
	s_addc_u32 s3, s3, s9
	v_cmp_eq_u32_e32 vcc, 0, v1
	s_and_saveexec_b64 s[8:9], vcc
	s_cbranch_execz .LBB227_2
; %bb.1:
	v_mov_b32_e32 v2, s12
	v_mov_b32_e32 v3, 0
	global_store_dwordx2 v3, v[2:3], s[0:1]
.LBB227_2:
	s_or_b64 exec, exec, s[8:9]
	v_and_b32_e32 v4, 7, v0
	v_cmp_ne_u32_e32 vcc, 7, v4
	s_and_saveexec_b64 s[8:9], vcc
	s_cbranch_execz .LBB227_6
; %bb.3:
	s_load_dwordx4 s[8:11], s[2:3], 0x0
	s_load_dword s7, s[4:5], 0xc
	s_mul_i32 s6, s6, 7
	v_lshrrev_b32_e32 v8, 3, v0
	v_mov_b32_e32 v1, 0
	v_add3_u32 v0, v4, s6, 1
	s_waitcnt lgkmcnt(0)
	s_sub_u32 s3, s8, s7
	s_subb_u32 s13, s9, 0
	s_mul_hi_u32 s2, s3, 49
	s_sub_u32 s10, s10, s7
	s_mul_i32 s14, s13, 49
	s_subb_u32 s11, s11, 0
	s_add_i32 s15, s2, s14
	s_sub_u32 s2, s10, s3
	s_subb_u32 s16, s11, s13
	s_mul_i32 s16, s16, 7
	s_mul_hi_u32 s17, s2, 7
	s_add_i32 s17, s17, s16
	s_mul_i32 s2, s2, 7
	s_add_u32 s16, s2, s12
	s_mul_i32 s14, s3, 49
	v_mul_lo_u32 v2, s17, v4
	s_addc_u32 s17, s17, 0
	s_add_u32 s14, s16, s14
	s_addc_u32 s15, s17, s15
	v_pk_mov_b32 v[6:7], s[14:15], s[14:15] op_sel:[0,1]
	v_lshlrev_b64 v[0:1], 3, v[0:1]
	v_mad_u64_u32 v[6:7], s[14:15], s2, v4, v[6:7]
	v_mov_b32_e32 v3, s1
	v_add_co_u32_e32 v0, vcc, s0, v0
	v_add_u32_e32 v7, v2, v7
	v_addc_co_u32_e32 v1, vcc, v3, v1, vcc
	global_store_dwordx2 v[0:1], v[6:7], off
	v_mov_b32_e32 v1, s13
	v_add_co_u32_e32 v0, vcc, s3, v8
	v_addc_co_u32_e32 v1, vcc, 0, v1, vcc
	v_cmp_gt_i64_e32 vcc, s[10:11], v[0:1]
	s_and_b64 exec, exec, vcc
	s_cbranch_execz .LBB227_6
; %bb.4:
	s_load_dwordx2 s[14:15], s[4:5], 0x20
	s_load_dwordx2 s[16:17], s[4:5], 0x30
	;; [unrolled: 1-line block ×3, first 2 shown]
	s_load_dword s3, s[4:5], 0x0
	s_load_dwordx2 s[20:21], s[4:5], 0x40
	s_movk_i32 s4, 0x188
	v_mad_u64_u32 v[10:11], s[0:1], s2, v4, 0
	s_waitcnt lgkmcnt(0)
	v_pk_mov_b32 v[6:7], s[18:19], s[18:19] op_sel:[0,1]
	s_cmp_eq_u32 s3, 0
	v_mad_u64_u32 v[6:7], s[2:3], v0, s4, v[6:7]
	v_add_u32_e32 v11, v11, v2
	v_lshlrev_b64 v[2:3], 2, v[0:1]
	v_mov_b32_e32 v12, v7
	v_mov_b32_e32 v5, s15
	v_add_co_u32_e32 v2, vcc, s14, v2
	v_mad_u64_u32 v[12:13], s[2:3], v1, s4, v[12:13]
	v_mad_u64_u32 v[10:11], s[2:3], s8, 49, v[10:11]
	v_addc_co_u32_e32 v3, vcc, v5, v3, vcc
	v_mov_b32_e32 v5, v12
	v_mov_b32_e32 v12, v11
	v_mad_u64_u32 v[12:13], s[2:3], s9, 49, v[12:13]
	v_mov_b32_e32 v11, v12
	v_mad_u64_u32 v[8:9], s[2:3], v8, 7, v[10:11]
	s_mul_hi_u32 s2, s7, 49
	s_mul_i32 s3, s7, 49
	v_mov_b32_e32 v7, s2
	v_subrev_co_u32_e32 v10, vcc, s3, v8
	v_subb_co_u32_e32 v11, vcc, v9, v7, vcc
	v_lshlrev_b64 v[8:9], 3, v[10:11]
	v_mov_b32_e32 v7, s17
	v_add_co_u32_e32 v8, vcc, s16, v8
	v_addc_co_u32_e32 v7, vcc, v9, v7, vcc
	v_add_co_u32_e32 v8, vcc, 24, v8
	v_addc_co_u32_e32 v9, vcc, 0, v7, vcc
	v_lshlrev_b64 v[10:11], 2, v[10:11]
	v_mov_b32_e32 v7, s21
	v_add_co_u32_e32 v10, vcc, s20, v10
	v_addc_co_u32_e32 v7, vcc, v11, v7, vcc
	v_mul_u32_u24_e32 v14, 7, v4
	v_add_co_u32_e32 v10, vcc, 20, v10
	s_cselect_b64 s[0:1], -1, 0
	v_lshlrev_b32_e32 v4, 3, v4
	v_addc_co_u32_e32 v11, vcc, 0, v7, vcc
	v_lshlrev_b32_e32 v12, 3, v14
	s_mov_b64 s[4:5], 0
	v_mov_b32_e32 v14, s12
	s_movk_i32 s6, 0x70
	s_movk_i32 s8, 0xa8
	;; [unrolled: 1-line block ×7, first 2 shown]
.LBB227_5:                              ; =>This Inner Loop Header: Depth=1
	v_add_co_u32_e32 v13, vcc, v6, v4
	v_addc_co_u32_e32 v15, vcc, 0, v5, vcc
	v_add_co_u32_e32 v18, vcc, v6, v12
	v_addc_co_u32_e32 v19, vcc, 0, v5, vcc
	;; [unrolled: 2-line block ×12, first 2 shown]
	v_cndmask_b32_e64 v16, v13, v18, s[0:1]
	v_add_co_u32_e32 v18, vcc, 48, v18
	v_cndmask_b32_e64 v17, v15, v19, s[0:1]
	v_addc_co_u32_e32 v19, vcc, 0, v19, vcc
	global_load_dword v7, v[2:3], off
	v_add_co_u32_e32 v13, vcc, s13, v13
	v_addc_co_u32_e32 v15, vcc, 0, v15, vcc
	v_cndmask_b32_e64 v29, v23, v21, s[0:1]
	v_cndmask_b32_e64 v28, v22, v20, s[0:1]
	global_load_dwordx2 v[16:17], v[16:17], off
	v_cndmask_b32_e64 v31, v27, v25, s[0:1]
	v_cndmask_b32_e64 v30, v26, v24, s[0:1]
	;; [unrolled: 1-line block ×10, first 2 shown]
	global_load_dwordx2 v[18:19], v[28:29], off
	global_load_dwordx2 v[20:21], v[30:31], off
	;; [unrolled: 1-line block ×6, first 2 shown]
	v_add_co_u32_e32 v0, vcc, 32, v0
	v_addc_co_u32_e32 v1, vcc, 0, v1, vcc
	v_add_co_u32_e32 v2, vcc, s14, v2
	v_addc_co_u32_e32 v3, vcc, 0, v3, vcc
	v_add_co_u32_e32 v6, vcc, s15, v6
	v_cmp_le_i64_e64 s[2:3], s[10:11], v[0:1]
	v_addc_co_u32_e32 v5, vcc, 0, v5, vcc
	s_or_b64 s[4:5], s[2:3], s[4:5]
	s_waitcnt vmcnt(7)
	v_subrev_u32_e32 v7, s7, v7
	v_mad_u64_u32 v[32:33], s[2:3], v7, 7, v[14:15]
	v_add_u32_e32 v34, 2, v32
	v_add_u32_e32 v33, 1, v32
	;; [unrolled: 1-line block ×6, first 2 shown]
	s_waitcnt vmcnt(5)
	global_store_dwordx4 v[8:9], v[16:19], off offset:-24
	global_store_dwordx3 v[10:11], v[32:34], off offset:-20
	s_waitcnt vmcnt(5)
	global_store_dwordx4 v[8:9], v[20:23], off offset:-8
	s_waitcnt vmcnt(4)
	global_store_dwordx4 v[8:9], v[24:27], off offset:8
	global_store_dwordx4 v[10:11], v[28:31], off offset:-8
	s_waitcnt vmcnt(5)
	global_store_dwordx2 v[8:9], v[40:41], off offset:24
	v_add_co_u32_e32 v8, vcc, 0x700, v8
	v_addc_co_u32_e32 v9, vcc, 0, v9, vcc
	v_add_co_u32_e32 v10, vcc, 0x380, v10
	v_addc_co_u32_e32 v11, vcc, 0, v11, vcc
	s_andn2_b64 exec, exec, s[4:5]
	s_cbranch_execnz .LBB227_5
.LBB227_6:
	s_endpgm
	.section	.rodata,"a",@progbits
	.p2align	6, 0x0
	.amdhsa_kernel _ZN9rocsparseL32bsr2csr_block_per_row_2_7_kernelILj256ELj7EdliEEv20rocsparse_direction_T3_S2_21rocsparse_index_base_PKT1_PKT2_PKS2_S2_S3_PS4_PS7_PS2_
		.amdhsa_group_segment_fixed_size 0
		.amdhsa_private_segment_fixed_size 0
		.amdhsa_kernarg_size 72
		.amdhsa_user_sgpr_count 6
		.amdhsa_user_sgpr_private_segment_buffer 1
		.amdhsa_user_sgpr_dispatch_ptr 0
		.amdhsa_user_sgpr_queue_ptr 0
		.amdhsa_user_sgpr_kernarg_segment_ptr 1
		.amdhsa_user_sgpr_dispatch_id 0
		.amdhsa_user_sgpr_flat_scratch_init 0
		.amdhsa_user_sgpr_kernarg_preload_length 0
		.amdhsa_user_sgpr_kernarg_preload_offset 0
		.amdhsa_user_sgpr_private_segment_size 0
		.amdhsa_uses_dynamic_stack 0
		.amdhsa_system_sgpr_private_segment_wavefront_offset 0
		.amdhsa_system_sgpr_workgroup_id_x 1
		.amdhsa_system_sgpr_workgroup_id_y 0
		.amdhsa_system_sgpr_workgroup_id_z 0
		.amdhsa_system_sgpr_workgroup_info 0
		.amdhsa_system_vgpr_workitem_id 0
		.amdhsa_next_free_vgpr 44
		.amdhsa_next_free_sgpr 22
		.amdhsa_accum_offset 44
		.amdhsa_reserve_vcc 1
		.amdhsa_reserve_flat_scratch 0
		.amdhsa_float_round_mode_32 0
		.amdhsa_float_round_mode_16_64 0
		.amdhsa_float_denorm_mode_32 3
		.amdhsa_float_denorm_mode_16_64 3
		.amdhsa_dx10_clamp 1
		.amdhsa_ieee_mode 1
		.amdhsa_fp16_overflow 0
		.amdhsa_tg_split 0
		.amdhsa_exception_fp_ieee_invalid_op 0
		.amdhsa_exception_fp_denorm_src 0
		.amdhsa_exception_fp_ieee_div_zero 0
		.amdhsa_exception_fp_ieee_overflow 0
		.amdhsa_exception_fp_ieee_underflow 0
		.amdhsa_exception_fp_ieee_inexact 0
		.amdhsa_exception_int_div_zero 0
	.end_amdhsa_kernel
	.section	.text._ZN9rocsparseL32bsr2csr_block_per_row_2_7_kernelILj256ELj7EdliEEv20rocsparse_direction_T3_S2_21rocsparse_index_base_PKT1_PKT2_PKS2_S2_S3_PS4_PS7_PS2_,"axG",@progbits,_ZN9rocsparseL32bsr2csr_block_per_row_2_7_kernelILj256ELj7EdliEEv20rocsparse_direction_T3_S2_21rocsparse_index_base_PKT1_PKT2_PKS2_S2_S3_PS4_PS7_PS2_,comdat
.Lfunc_end227:
	.size	_ZN9rocsparseL32bsr2csr_block_per_row_2_7_kernelILj256ELj7EdliEEv20rocsparse_direction_T3_S2_21rocsparse_index_base_PKT1_PKT2_PKS2_S2_S3_PS4_PS7_PS2_, .Lfunc_end227-_ZN9rocsparseL32bsr2csr_block_per_row_2_7_kernelILj256ELj7EdliEEv20rocsparse_direction_T3_S2_21rocsparse_index_base_PKT1_PKT2_PKS2_S2_S3_PS4_PS7_PS2_
                                        ; -- End function
	.section	.AMDGPU.csdata,"",@progbits
; Kernel info:
; codeLenInByte = 1028
; NumSgprs: 26
; NumVgprs: 44
; NumAgprs: 0
; TotalNumVgprs: 44
; ScratchSize: 0
; MemoryBound: 0
; FloatMode: 240
; IeeeMode: 1
; LDSByteSize: 0 bytes/workgroup (compile time only)
; SGPRBlocks: 3
; VGPRBlocks: 5
; NumSGPRsForWavesPerEU: 26
; NumVGPRsForWavesPerEU: 44
; AccumOffset: 44
; Occupancy: 8
; WaveLimiterHint : 0
; COMPUTE_PGM_RSRC2:SCRATCH_EN: 0
; COMPUTE_PGM_RSRC2:USER_SGPR: 6
; COMPUTE_PGM_RSRC2:TRAP_HANDLER: 0
; COMPUTE_PGM_RSRC2:TGID_X_EN: 1
; COMPUTE_PGM_RSRC2:TGID_Y_EN: 0
; COMPUTE_PGM_RSRC2:TGID_Z_EN: 0
; COMPUTE_PGM_RSRC2:TIDIG_COMP_CNT: 0
; COMPUTE_PGM_RSRC3_GFX90A:ACCUM_OFFSET: 10
; COMPUTE_PGM_RSRC3_GFX90A:TG_SPLIT: 0
	.section	.text._ZN9rocsparseL33bsr2csr_block_per_row_8_32_kernelILj1024ELj8EdliEEv20rocsparse_direction_T3_S2_21rocsparse_index_base_PKT1_PKT2_PKS2_S2_S3_PS4_PS7_PS2_,"axG",@progbits,_ZN9rocsparseL33bsr2csr_block_per_row_8_32_kernelILj1024ELj8EdliEEv20rocsparse_direction_T3_S2_21rocsparse_index_base_PKT1_PKT2_PKS2_S2_S3_PS4_PS7_PS2_,comdat
	.globl	_ZN9rocsparseL33bsr2csr_block_per_row_8_32_kernelILj1024ELj8EdliEEv20rocsparse_direction_T3_S2_21rocsparse_index_base_PKT1_PKT2_PKS2_S2_S3_PS4_PS7_PS2_ ; -- Begin function _ZN9rocsparseL33bsr2csr_block_per_row_8_32_kernelILj1024ELj8EdliEEv20rocsparse_direction_T3_S2_21rocsparse_index_base_PKT1_PKT2_PKS2_S2_S3_PS4_PS7_PS2_
	.p2align	8
	.type	_ZN9rocsparseL33bsr2csr_block_per_row_8_32_kernelILj1024ELj8EdliEEv20rocsparse_direction_T3_S2_21rocsparse_index_base_PKT1_PKT2_PKS2_S2_S3_PS4_PS7_PS2_,@function
_ZN9rocsparseL33bsr2csr_block_per_row_8_32_kernelILj1024ELj8EdliEEv20rocsparse_direction_T3_S2_21rocsparse_index_base_PKT1_PKT2_PKS2_S2_S3_PS4_PS7_PS2_: ; @_ZN9rocsparseL33bsr2csr_block_per_row_8_32_kernelILj1024ELj8EdliEEv20rocsparse_direction_T3_S2_21rocsparse_index_base_PKT1_PKT2_PKS2_S2_S3_PS4_PS7_PS2_
; %bb.0:
	s_load_dwordx2 s[2:3], s[4:5], 0x18
	s_load_dwordx2 s[0:1], s[4:5], 0x28
	;; [unrolled: 1-line block ×3, first 2 shown]
	s_ashr_i32 s7, s6, 31
	s_lshl_b64 s[8:9], s[6:7], 3
	s_waitcnt lgkmcnt(0)
	s_add_u32 s2, s2, s8
	v_or_b32_e32 v1, s6, v0
	s_addc_u32 s3, s3, s9
	v_cmp_eq_u32_e32 vcc, 0, v1
	s_and_saveexec_b64 s[8:9], vcc
	s_cbranch_execz .LBB228_2
; %bb.1:
	v_mov_b32_e32 v2, s1
	v_mov_b32_e32 v3, 0
	global_store_dwordx2 v3, v[2:3], s[12:13]
.LBB228_2:
	s_or_b64 exec, exec, s[8:9]
	v_and_b32_e32 v3, 7, v0
	v_bfe_u32 v8, v0, 3, 3
	v_max_i32_e32 v1, v8, v3
	v_cmp_gt_i32_e32 vcc, s0, v1
	s_and_saveexec_b64 s[8:9], vcc
	s_cbranch_execz .LBB228_6
; %bb.3:
	s_load_dwordx4 s[16:19], s[2:3], 0x0
	s_load_dword s14, s[4:5], 0xc
	s_mul_i32 s8, s0, s0
	v_lshrrev_b32_e32 v4, 6, v0
	s_mul_i32 s6, s6, s0
	s_mov_b32 s9, 0
	s_waitcnt lgkmcnt(0)
	s_sub_u32 s20, s16, s14
	s_subb_u32 s21, s17, 0
	s_sub_u32 s2, s18, s14
	s_mul_i32 s7, s21, s8
	s_mul_hi_u32 s10, s20, s8
	s_subb_u32 s3, s19, 0
	s_add_i32 s11, s10, s7
	s_sub_u32 s15, s2, s20
	s_subb_u32 s7, s3, s21
	s_mul_i32 s16, s7, s0
	s_mul_hi_u32 s17, s15, s0
	s_add_i32 s18, s17, s16
	s_mul_i32 s19, s15, s0
	s_add_u32 s16, s19, s1
	s_mul_i32 s10, s20, s8
	s_addc_u32 s17, s18, 0
	s_add_u32 s16, s16, s10
	s_addc_u32 s17, s17, s11
	v_pk_mov_b32 v[0:1], s[16:17], s[16:17] op_sel:[0,1]
	v_mad_u64_u32 v[0:1], s[16:17], s19, v8, v[0:1]
	v_mov_b32_e32 v2, v1
	v_mad_u64_u32 v[6:7], s[16:17], s18, v8, v[2:3]
	v_mov_b32_e32 v1, v6
	v_add_u32_e32 v6, s6, v8
	v_ashrrev_i32_e32 v7, 31, v6
	v_lshlrev_b64 v[6:7], 3, v[6:7]
	v_mov_b32_e32 v2, s13
	v_add_co_u32_e32 v6, vcc, s12, v6
	v_addc_co_u32_e32 v7, vcc, v2, v7, vcc
	global_store_dwordx2 v[6:7], v[0:1], off offset:8
	v_mov_b32_e32 v1, s21
	v_add_co_u32_e32 v0, vcc, s20, v4
	v_addc_co_u32_e32 v1, vcc, 0, v1, vcc
	v_mov_b32_e32 v5, 0
	v_cmp_gt_i64_e32 vcc, s[2:3], v[0:1]
	s_and_b64 exec, exec, vcc
	s_cbranch_execz .LBB228_6
; %bb.4:
	s_load_dwordx2 s[12:13], s[4:5], 0x20
	s_load_dwordx2 s[16:17], s[4:5], 0x30
	;; [unrolled: 1-line block ×3, first 2 shown]
	s_load_dword s6, s[4:5], 0x0
	s_load_dwordx2 s[20:21], s[4:5], 0x40
	v_mul_lo_u32 v6, v3, s0
	v_mov_b32_e32 v7, v5
	v_lshlrev_b64 v[6:7], 3, v[6:7]
	s_waitcnt lgkmcnt(0)
	v_mov_b32_e32 v9, s19
	v_add_co_u32_e32 v6, vcc, s18, v6
	v_addc_co_u32_e32 v7, vcc, v9, v7, vcc
	v_lshlrev_b32_e32 v10, 3, v8
	v_add_co_u32_e32 v10, vcc, v6, v10
	v_addc_co_u32_e32 v11, vcc, 0, v7, vcc
	v_mul_lo_u32 v6, v8, s0
	v_mov_b32_e32 v7, v5
	v_lshlrev_b64 v[6:7], 3, v[6:7]
	v_add_co_u32_e32 v6, vcc, s18, v6
	v_addc_co_u32_e32 v7, vcc, v9, v7, vcc
	v_lshlrev_b32_e32 v9, 3, v3
	v_add_co_u32_e32 v6, vcc, v6, v9
	s_cmp_eq_u32 s6, 0
	v_addc_co_u32_e32 v7, vcc, 0, v7, vcc
	s_cselect_b64 vcc, -1, 0
	v_cndmask_b32_e32 v9, v11, v7, vcc
	v_cndmask_b32_e32 v12, v10, v6, vcc
	v_mad_u64_u32 v[6:7], s[4:5], v0, s8, 0
	v_mov_b32_e32 v10, v7
	v_mad_u64_u32 v[10:11], s[4:5], v1, s8, v[10:11]
	v_mov_b32_e32 v7, v10
	s_mov_b32 s23, s9
	v_lshlrev_b64 v[6:7], 3, v[6:7]
	s_lshl_b64 s[4:5], s[8:9], 7
	v_mad_u64_u32 v[4:5], s[8:9], s15, v8, v[4:5]
	v_add_co_u32_e32 v6, vcc, v12, v6
	v_mov_b32_e32 v10, v5
	s_mov_b32 s22, s0
	v_addc_co_u32_e32 v7, vcc, v9, v7, vcc
	v_mad_u64_u32 v[8:9], s[6:7], s7, v8, v[10:11]
	v_pk_mov_b32 v[10:11], s[10:11], s[10:11] op_sel:[0,1]
	v_mad_u64_u32 v[4:5], s[6:7], v4, s22, v[10:11]
	v_mov_b32_e32 v10, v5
	v_mad_u64_u32 v[8:9], s[6:7], v8, s22, v[10:11]
	v_mov_b32_e32 v5, v8
	v_add_co_u32_e32 v8, vcc, v4, v3
	v_addc_co_u32_e32 v9, vcc, 0, v5, vcc
	v_lshlrev_b64 v[4:5], 3, v[8:9]
	v_add_u32_e32 v2, s1, v3
	v_mov_b32_e32 v3, s17
	v_add_co_u32_e32 v4, vcc, s16, v4
	v_addc_co_u32_e32 v5, vcc, v3, v5, vcc
	v_lshlrev_b64 v[8:9], 2, v[8:9]
	v_mov_b32_e32 v3, s21
	v_add_co_u32_e32 v8, vcc, s20, v8
	v_addc_co_u32_e32 v9, vcc, v3, v9, vcc
	v_lshlrev_b64 v[10:11], 2, v[0:1]
	v_mov_b32_e32 v3, s13
	v_add_co_u32_e32 v10, vcc, s12, v10
	s_lshl_b64 s[6:7], s[22:23], 7
	s_lshl_b64 s[8:9], s[22:23], 6
	v_addc_co_u32_e32 v11, vcc, v3, v11, vcc
	s_mov_b64 s[10:11], 0
.LBB228_5:                              ; =>This Inner Loop Header: Depth=1
	global_load_dword v3, v[10:11], off
	global_load_dwordx2 v[12:13], v[6:7], off
	v_add_co_u32_e32 v0, vcc, 16, v0
	v_addc_co_u32_e32 v1, vcc, 0, v1, vcc
	v_add_co_u32_e32 v10, vcc, 64, v10
	v_addc_co_u32_e32 v11, vcc, 0, v11, vcc
	v_mov_b32_e32 v14, s5
	v_add_co_u32_e32 v6, vcc, s4, v6
	v_addc_co_u32_e32 v7, vcc, v7, v14, vcc
	v_cmp_le_i64_e32 vcc, s[2:3], v[0:1]
	v_mov_b32_e32 v15, s7
	s_or_b64 s[10:11], vcc, s[10:11]
	v_mov_b32_e32 v16, s9
	s_waitcnt vmcnt(1)
	v_subrev_u32_e32 v3, s14, v3
	s_waitcnt vmcnt(0)
	global_store_dwordx2 v[4:5], v[12:13], off
	v_add_co_u32_e32 v4, vcc, s6, v4
	v_addc_co_u32_e32 v5, vcc, v5, v15, vcc
	v_mad_u64_u32 v[12:13], s[12:13], v3, s0, v[2:3]
	global_store_dword v[8:9], v12, off
	v_add_co_u32_e32 v8, vcc, s8, v8
	v_addc_co_u32_e32 v9, vcc, v9, v16, vcc
	s_andn2_b64 exec, exec, s[10:11]
	s_cbranch_execnz .LBB228_5
.LBB228_6:
	s_endpgm
	.section	.rodata,"a",@progbits
	.p2align	6, 0x0
	.amdhsa_kernel _ZN9rocsparseL33bsr2csr_block_per_row_8_32_kernelILj1024ELj8EdliEEv20rocsparse_direction_T3_S2_21rocsparse_index_base_PKT1_PKT2_PKS2_S2_S3_PS4_PS7_PS2_
		.amdhsa_group_segment_fixed_size 0
		.amdhsa_private_segment_fixed_size 0
		.amdhsa_kernarg_size 72
		.amdhsa_user_sgpr_count 6
		.amdhsa_user_sgpr_private_segment_buffer 1
		.amdhsa_user_sgpr_dispatch_ptr 0
		.amdhsa_user_sgpr_queue_ptr 0
		.amdhsa_user_sgpr_kernarg_segment_ptr 1
		.amdhsa_user_sgpr_dispatch_id 0
		.amdhsa_user_sgpr_flat_scratch_init 0
		.amdhsa_user_sgpr_kernarg_preload_length 0
		.amdhsa_user_sgpr_kernarg_preload_offset 0
		.amdhsa_user_sgpr_private_segment_size 0
		.amdhsa_uses_dynamic_stack 0
		.amdhsa_system_sgpr_private_segment_wavefront_offset 0
		.amdhsa_system_sgpr_workgroup_id_x 1
		.amdhsa_system_sgpr_workgroup_id_y 0
		.amdhsa_system_sgpr_workgroup_id_z 0
		.amdhsa_system_sgpr_workgroup_info 0
		.amdhsa_system_vgpr_workitem_id 0
		.amdhsa_next_free_vgpr 17
		.amdhsa_next_free_sgpr 24
		.amdhsa_accum_offset 20
		.amdhsa_reserve_vcc 1
		.amdhsa_reserve_flat_scratch 0
		.amdhsa_float_round_mode_32 0
		.amdhsa_float_round_mode_16_64 0
		.amdhsa_float_denorm_mode_32 3
		.amdhsa_float_denorm_mode_16_64 3
		.amdhsa_dx10_clamp 1
		.amdhsa_ieee_mode 1
		.amdhsa_fp16_overflow 0
		.amdhsa_tg_split 0
		.amdhsa_exception_fp_ieee_invalid_op 0
		.amdhsa_exception_fp_denorm_src 0
		.amdhsa_exception_fp_ieee_div_zero 0
		.amdhsa_exception_fp_ieee_overflow 0
		.amdhsa_exception_fp_ieee_underflow 0
		.amdhsa_exception_fp_ieee_inexact 0
		.amdhsa_exception_int_div_zero 0
	.end_amdhsa_kernel
	.section	.text._ZN9rocsparseL33bsr2csr_block_per_row_8_32_kernelILj1024ELj8EdliEEv20rocsparse_direction_T3_S2_21rocsparse_index_base_PKT1_PKT2_PKS2_S2_S3_PS4_PS7_PS2_,"axG",@progbits,_ZN9rocsparseL33bsr2csr_block_per_row_8_32_kernelILj1024ELj8EdliEEv20rocsparse_direction_T3_S2_21rocsparse_index_base_PKT1_PKT2_PKS2_S2_S3_PS4_PS7_PS2_,comdat
.Lfunc_end228:
	.size	_ZN9rocsparseL33bsr2csr_block_per_row_8_32_kernelILj1024ELj8EdliEEv20rocsparse_direction_T3_S2_21rocsparse_index_base_PKT1_PKT2_PKS2_S2_S3_PS4_PS7_PS2_, .Lfunc_end228-_ZN9rocsparseL33bsr2csr_block_per_row_8_32_kernelILj1024ELj8EdliEEv20rocsparse_direction_T3_S2_21rocsparse_index_base_PKT1_PKT2_PKS2_S2_S3_PS4_PS7_PS2_
                                        ; -- End function
	.section	.AMDGPU.csdata,"",@progbits
; Kernel info:
; codeLenInByte = 768
; NumSgprs: 28
; NumVgprs: 17
; NumAgprs: 0
; TotalNumVgprs: 17
; ScratchSize: 0
; MemoryBound: 0
; FloatMode: 240
; IeeeMode: 1
; LDSByteSize: 0 bytes/workgroup (compile time only)
; SGPRBlocks: 3
; VGPRBlocks: 2
; NumSGPRsForWavesPerEU: 28
; NumVGPRsForWavesPerEU: 17
; AccumOffset: 20
; Occupancy: 8
; WaveLimiterHint : 0
; COMPUTE_PGM_RSRC2:SCRATCH_EN: 0
; COMPUTE_PGM_RSRC2:USER_SGPR: 6
; COMPUTE_PGM_RSRC2:TRAP_HANDLER: 0
; COMPUTE_PGM_RSRC2:TGID_X_EN: 1
; COMPUTE_PGM_RSRC2:TGID_Y_EN: 0
; COMPUTE_PGM_RSRC2:TGID_Z_EN: 0
; COMPUTE_PGM_RSRC2:TIDIG_COMP_CNT: 0
; COMPUTE_PGM_RSRC3_GFX90A:ACCUM_OFFSET: 4
; COMPUTE_PGM_RSRC3_GFX90A:TG_SPLIT: 0
	.section	.text._ZN9rocsparseL33bsr2csr_block_per_row_8_32_kernelILj1024ELj16EdliEEv20rocsparse_direction_T3_S2_21rocsparse_index_base_PKT1_PKT2_PKS2_S2_S3_PS4_PS7_PS2_,"axG",@progbits,_ZN9rocsparseL33bsr2csr_block_per_row_8_32_kernelILj1024ELj16EdliEEv20rocsparse_direction_T3_S2_21rocsparse_index_base_PKT1_PKT2_PKS2_S2_S3_PS4_PS7_PS2_,comdat
	.globl	_ZN9rocsparseL33bsr2csr_block_per_row_8_32_kernelILj1024ELj16EdliEEv20rocsparse_direction_T3_S2_21rocsparse_index_base_PKT1_PKT2_PKS2_S2_S3_PS4_PS7_PS2_ ; -- Begin function _ZN9rocsparseL33bsr2csr_block_per_row_8_32_kernelILj1024ELj16EdliEEv20rocsparse_direction_T3_S2_21rocsparse_index_base_PKT1_PKT2_PKS2_S2_S3_PS4_PS7_PS2_
	.p2align	8
	.type	_ZN9rocsparseL33bsr2csr_block_per_row_8_32_kernelILj1024ELj16EdliEEv20rocsparse_direction_T3_S2_21rocsparse_index_base_PKT1_PKT2_PKS2_S2_S3_PS4_PS7_PS2_,@function
_ZN9rocsparseL33bsr2csr_block_per_row_8_32_kernelILj1024ELj16EdliEEv20rocsparse_direction_T3_S2_21rocsparse_index_base_PKT1_PKT2_PKS2_S2_S3_PS4_PS7_PS2_: ; @_ZN9rocsparseL33bsr2csr_block_per_row_8_32_kernelILj1024ELj16EdliEEv20rocsparse_direction_T3_S2_21rocsparse_index_base_PKT1_PKT2_PKS2_S2_S3_PS4_PS7_PS2_
; %bb.0:
	s_load_dwordx2 s[2:3], s[4:5], 0x18
	s_load_dwordx2 s[0:1], s[4:5], 0x28
	;; [unrolled: 1-line block ×3, first 2 shown]
	s_ashr_i32 s7, s6, 31
	s_lshl_b64 s[8:9], s[6:7], 3
	s_waitcnt lgkmcnt(0)
	s_add_u32 s2, s2, s8
	v_or_b32_e32 v1, s6, v0
	s_addc_u32 s3, s3, s9
	v_cmp_eq_u32_e32 vcc, 0, v1
	s_and_saveexec_b64 s[8:9], vcc
	s_cbranch_execz .LBB229_2
; %bb.1:
	v_mov_b32_e32 v2, s1
	v_mov_b32_e32 v3, 0
	global_store_dwordx2 v3, v[2:3], s[12:13]
.LBB229_2:
	s_or_b64 exec, exec, s[8:9]
	v_and_b32_e32 v3, 15, v0
	v_bfe_u32 v8, v0, 4, 4
	v_max_i32_e32 v1, v8, v3
	v_cmp_gt_i32_e32 vcc, s0, v1
	s_and_saveexec_b64 s[8:9], vcc
	s_cbranch_execz .LBB229_6
; %bb.3:
	s_load_dwordx4 s[16:19], s[2:3], 0x0
	s_load_dword s14, s[4:5], 0xc
	s_mul_i32 s8, s0, s0
	v_lshrrev_b32_e32 v4, 8, v0
	s_mul_i32 s6, s6, s0
	s_mov_b32 s9, 0
	s_waitcnt lgkmcnt(0)
	s_sub_u32 s20, s16, s14
	s_subb_u32 s21, s17, 0
	s_sub_u32 s2, s18, s14
	s_mul_i32 s7, s21, s8
	s_mul_hi_u32 s10, s20, s8
	s_subb_u32 s3, s19, 0
	s_add_i32 s11, s10, s7
	s_sub_u32 s15, s2, s20
	s_subb_u32 s7, s3, s21
	s_mul_i32 s16, s7, s0
	s_mul_hi_u32 s17, s15, s0
	s_add_i32 s18, s17, s16
	s_mul_i32 s19, s15, s0
	s_add_u32 s16, s19, s1
	s_mul_i32 s10, s20, s8
	s_addc_u32 s17, s18, 0
	s_add_u32 s16, s16, s10
	s_addc_u32 s17, s17, s11
	v_pk_mov_b32 v[0:1], s[16:17], s[16:17] op_sel:[0,1]
	v_mad_u64_u32 v[0:1], s[16:17], s19, v8, v[0:1]
	v_mov_b32_e32 v2, v1
	v_mad_u64_u32 v[6:7], s[16:17], s18, v8, v[2:3]
	v_mov_b32_e32 v1, v6
	v_add_u32_e32 v6, s6, v8
	v_ashrrev_i32_e32 v7, 31, v6
	v_lshlrev_b64 v[6:7], 3, v[6:7]
	v_mov_b32_e32 v2, s13
	v_add_co_u32_e32 v6, vcc, s12, v6
	v_addc_co_u32_e32 v7, vcc, v2, v7, vcc
	global_store_dwordx2 v[6:7], v[0:1], off offset:8
	v_mov_b32_e32 v1, s21
	v_add_co_u32_e32 v0, vcc, s20, v4
	v_addc_co_u32_e32 v1, vcc, 0, v1, vcc
	v_mov_b32_e32 v5, 0
	v_cmp_gt_i64_e32 vcc, s[2:3], v[0:1]
	s_and_b64 exec, exec, vcc
	s_cbranch_execz .LBB229_6
; %bb.4:
	s_load_dwordx2 s[12:13], s[4:5], 0x20
	s_load_dwordx2 s[16:17], s[4:5], 0x30
	;; [unrolled: 1-line block ×3, first 2 shown]
	s_load_dword s6, s[4:5], 0x0
	s_load_dwordx2 s[20:21], s[4:5], 0x40
	v_mul_lo_u32 v6, v3, s0
	v_mov_b32_e32 v7, v5
	v_lshlrev_b64 v[6:7], 3, v[6:7]
	s_waitcnt lgkmcnt(0)
	v_mov_b32_e32 v9, s19
	v_add_co_u32_e32 v6, vcc, s18, v6
	v_addc_co_u32_e32 v7, vcc, v9, v7, vcc
	v_lshlrev_b32_e32 v10, 3, v8
	v_add_co_u32_e32 v10, vcc, v6, v10
	v_addc_co_u32_e32 v11, vcc, 0, v7, vcc
	v_mul_lo_u32 v6, v8, s0
	v_mov_b32_e32 v7, v5
	v_lshlrev_b64 v[6:7], 3, v[6:7]
	v_add_co_u32_e32 v6, vcc, s18, v6
	v_addc_co_u32_e32 v7, vcc, v9, v7, vcc
	v_lshlrev_b32_e32 v9, 3, v3
	v_add_co_u32_e32 v6, vcc, v6, v9
	s_cmp_eq_u32 s6, 0
	v_addc_co_u32_e32 v7, vcc, 0, v7, vcc
	s_cselect_b64 vcc, -1, 0
	v_cndmask_b32_e32 v9, v11, v7, vcc
	v_cndmask_b32_e32 v12, v10, v6, vcc
	v_mad_u64_u32 v[6:7], s[4:5], v0, s8, 0
	v_mov_b32_e32 v10, v7
	v_mad_u64_u32 v[10:11], s[4:5], v1, s8, v[10:11]
	v_mov_b32_e32 v7, v10
	s_mov_b32 s23, s9
	v_lshlrev_b64 v[6:7], 3, v[6:7]
	s_lshl_b64 s[4:5], s[8:9], 5
	v_mad_u64_u32 v[4:5], s[8:9], s15, v8, v[4:5]
	v_add_co_u32_e32 v6, vcc, v12, v6
	v_mov_b32_e32 v10, v5
	s_mov_b32 s22, s0
	v_addc_co_u32_e32 v7, vcc, v9, v7, vcc
	v_mad_u64_u32 v[8:9], s[6:7], s7, v8, v[10:11]
	v_pk_mov_b32 v[10:11], s[10:11], s[10:11] op_sel:[0,1]
	v_mad_u64_u32 v[4:5], s[6:7], v4, s22, v[10:11]
	v_mov_b32_e32 v10, v5
	v_mad_u64_u32 v[8:9], s[6:7], v8, s22, v[10:11]
	v_mov_b32_e32 v5, v8
	v_add_co_u32_e32 v8, vcc, v4, v3
	v_addc_co_u32_e32 v9, vcc, 0, v5, vcc
	v_lshlrev_b64 v[4:5], 3, v[8:9]
	v_add_u32_e32 v2, s1, v3
	v_mov_b32_e32 v3, s17
	v_add_co_u32_e32 v4, vcc, s16, v4
	v_addc_co_u32_e32 v5, vcc, v3, v5, vcc
	v_lshlrev_b64 v[8:9], 2, v[8:9]
	v_mov_b32_e32 v3, s21
	v_add_co_u32_e32 v8, vcc, s20, v8
	v_addc_co_u32_e32 v9, vcc, v3, v9, vcc
	v_lshlrev_b64 v[10:11], 2, v[0:1]
	v_mov_b32_e32 v3, s13
	v_add_co_u32_e32 v10, vcc, s12, v10
	s_lshl_b64 s[6:7], s[22:23], 5
	s_lshl_b64 s[8:9], s[22:23], 4
	v_addc_co_u32_e32 v11, vcc, v3, v11, vcc
	s_mov_b64 s[10:11], 0
.LBB229_5:                              ; =>This Inner Loop Header: Depth=1
	global_load_dword v3, v[10:11], off
	global_load_dwordx2 v[12:13], v[6:7], off
	v_add_co_u32_e32 v0, vcc, 4, v0
	v_addc_co_u32_e32 v1, vcc, 0, v1, vcc
	v_add_co_u32_e32 v10, vcc, 16, v10
	v_addc_co_u32_e32 v11, vcc, 0, v11, vcc
	v_mov_b32_e32 v14, s5
	v_add_co_u32_e32 v6, vcc, s4, v6
	v_addc_co_u32_e32 v7, vcc, v7, v14, vcc
	v_cmp_le_i64_e32 vcc, s[2:3], v[0:1]
	v_mov_b32_e32 v15, s7
	s_or_b64 s[10:11], vcc, s[10:11]
	v_mov_b32_e32 v16, s9
	s_waitcnt vmcnt(1)
	v_subrev_u32_e32 v3, s14, v3
	s_waitcnt vmcnt(0)
	global_store_dwordx2 v[4:5], v[12:13], off
	v_add_co_u32_e32 v4, vcc, s6, v4
	v_addc_co_u32_e32 v5, vcc, v5, v15, vcc
	v_mad_u64_u32 v[12:13], s[12:13], v3, s0, v[2:3]
	global_store_dword v[8:9], v12, off
	v_add_co_u32_e32 v8, vcc, s8, v8
	v_addc_co_u32_e32 v9, vcc, v9, v16, vcc
	s_andn2_b64 exec, exec, s[10:11]
	s_cbranch_execnz .LBB229_5
.LBB229_6:
	s_endpgm
	.section	.rodata,"a",@progbits
	.p2align	6, 0x0
	.amdhsa_kernel _ZN9rocsparseL33bsr2csr_block_per_row_8_32_kernelILj1024ELj16EdliEEv20rocsparse_direction_T3_S2_21rocsparse_index_base_PKT1_PKT2_PKS2_S2_S3_PS4_PS7_PS2_
		.amdhsa_group_segment_fixed_size 0
		.amdhsa_private_segment_fixed_size 0
		.amdhsa_kernarg_size 72
		.amdhsa_user_sgpr_count 6
		.amdhsa_user_sgpr_private_segment_buffer 1
		.amdhsa_user_sgpr_dispatch_ptr 0
		.amdhsa_user_sgpr_queue_ptr 0
		.amdhsa_user_sgpr_kernarg_segment_ptr 1
		.amdhsa_user_sgpr_dispatch_id 0
		.amdhsa_user_sgpr_flat_scratch_init 0
		.amdhsa_user_sgpr_kernarg_preload_length 0
		.amdhsa_user_sgpr_kernarg_preload_offset 0
		.amdhsa_user_sgpr_private_segment_size 0
		.amdhsa_uses_dynamic_stack 0
		.amdhsa_system_sgpr_private_segment_wavefront_offset 0
		.amdhsa_system_sgpr_workgroup_id_x 1
		.amdhsa_system_sgpr_workgroup_id_y 0
		.amdhsa_system_sgpr_workgroup_id_z 0
		.amdhsa_system_sgpr_workgroup_info 0
		.amdhsa_system_vgpr_workitem_id 0
		.amdhsa_next_free_vgpr 17
		.amdhsa_next_free_sgpr 24
		.amdhsa_accum_offset 20
		.amdhsa_reserve_vcc 1
		.amdhsa_reserve_flat_scratch 0
		.amdhsa_float_round_mode_32 0
		.amdhsa_float_round_mode_16_64 0
		.amdhsa_float_denorm_mode_32 3
		.amdhsa_float_denorm_mode_16_64 3
		.amdhsa_dx10_clamp 1
		.amdhsa_ieee_mode 1
		.amdhsa_fp16_overflow 0
		.amdhsa_tg_split 0
		.amdhsa_exception_fp_ieee_invalid_op 0
		.amdhsa_exception_fp_denorm_src 0
		.amdhsa_exception_fp_ieee_div_zero 0
		.amdhsa_exception_fp_ieee_overflow 0
		.amdhsa_exception_fp_ieee_underflow 0
		.amdhsa_exception_fp_ieee_inexact 0
		.amdhsa_exception_int_div_zero 0
	.end_amdhsa_kernel
	.section	.text._ZN9rocsparseL33bsr2csr_block_per_row_8_32_kernelILj1024ELj16EdliEEv20rocsparse_direction_T3_S2_21rocsparse_index_base_PKT1_PKT2_PKS2_S2_S3_PS4_PS7_PS2_,"axG",@progbits,_ZN9rocsparseL33bsr2csr_block_per_row_8_32_kernelILj1024ELj16EdliEEv20rocsparse_direction_T3_S2_21rocsparse_index_base_PKT1_PKT2_PKS2_S2_S3_PS4_PS7_PS2_,comdat
.Lfunc_end229:
	.size	_ZN9rocsparseL33bsr2csr_block_per_row_8_32_kernelILj1024ELj16EdliEEv20rocsparse_direction_T3_S2_21rocsparse_index_base_PKT1_PKT2_PKS2_S2_S3_PS4_PS7_PS2_, .Lfunc_end229-_ZN9rocsparseL33bsr2csr_block_per_row_8_32_kernelILj1024ELj16EdliEEv20rocsparse_direction_T3_S2_21rocsparse_index_base_PKT1_PKT2_PKS2_S2_S3_PS4_PS7_PS2_
                                        ; -- End function
	.section	.AMDGPU.csdata,"",@progbits
; Kernel info:
; codeLenInByte = 768
; NumSgprs: 28
; NumVgprs: 17
; NumAgprs: 0
; TotalNumVgprs: 17
; ScratchSize: 0
; MemoryBound: 0
; FloatMode: 240
; IeeeMode: 1
; LDSByteSize: 0 bytes/workgroup (compile time only)
; SGPRBlocks: 3
; VGPRBlocks: 2
; NumSGPRsForWavesPerEU: 28
; NumVGPRsForWavesPerEU: 17
; AccumOffset: 20
; Occupancy: 8
; WaveLimiterHint : 0
; COMPUTE_PGM_RSRC2:SCRATCH_EN: 0
; COMPUTE_PGM_RSRC2:USER_SGPR: 6
; COMPUTE_PGM_RSRC2:TRAP_HANDLER: 0
; COMPUTE_PGM_RSRC2:TGID_X_EN: 1
; COMPUTE_PGM_RSRC2:TGID_Y_EN: 0
; COMPUTE_PGM_RSRC2:TGID_Z_EN: 0
; COMPUTE_PGM_RSRC2:TIDIG_COMP_CNT: 0
; COMPUTE_PGM_RSRC3_GFX90A:ACCUM_OFFSET: 4
; COMPUTE_PGM_RSRC3_GFX90A:TG_SPLIT: 0
	.section	.text._ZN9rocsparseL33bsr2csr_block_per_row_8_32_kernelILj1024ELj32EdliEEv20rocsparse_direction_T3_S2_21rocsparse_index_base_PKT1_PKT2_PKS2_S2_S3_PS4_PS7_PS2_,"axG",@progbits,_ZN9rocsparseL33bsr2csr_block_per_row_8_32_kernelILj1024ELj32EdliEEv20rocsparse_direction_T3_S2_21rocsparse_index_base_PKT1_PKT2_PKS2_S2_S3_PS4_PS7_PS2_,comdat
	.globl	_ZN9rocsparseL33bsr2csr_block_per_row_8_32_kernelILj1024ELj32EdliEEv20rocsparse_direction_T3_S2_21rocsparse_index_base_PKT1_PKT2_PKS2_S2_S3_PS4_PS7_PS2_ ; -- Begin function _ZN9rocsparseL33bsr2csr_block_per_row_8_32_kernelILj1024ELj32EdliEEv20rocsparse_direction_T3_S2_21rocsparse_index_base_PKT1_PKT2_PKS2_S2_S3_PS4_PS7_PS2_
	.p2align	8
	.type	_ZN9rocsparseL33bsr2csr_block_per_row_8_32_kernelILj1024ELj32EdliEEv20rocsparse_direction_T3_S2_21rocsparse_index_base_PKT1_PKT2_PKS2_S2_S3_PS4_PS7_PS2_,@function
_ZN9rocsparseL33bsr2csr_block_per_row_8_32_kernelILj1024ELj32EdliEEv20rocsparse_direction_T3_S2_21rocsparse_index_base_PKT1_PKT2_PKS2_S2_S3_PS4_PS7_PS2_: ; @_ZN9rocsparseL33bsr2csr_block_per_row_8_32_kernelILj1024ELj32EdliEEv20rocsparse_direction_T3_S2_21rocsparse_index_base_PKT1_PKT2_PKS2_S2_S3_PS4_PS7_PS2_
; %bb.0:
	s_load_dwordx2 s[0:1], s[4:5], 0x18
	s_load_dwordx2 s[8:9], s[4:5], 0x28
	;; [unrolled: 1-line block ×3, first 2 shown]
	s_ashr_i32 s7, s6, 31
	s_lshl_b64 s[2:3], s[6:7], 3
	s_waitcnt lgkmcnt(0)
	s_add_u32 s12, s0, s2
	v_or_b32_e32 v1, s6, v0
	s_addc_u32 s13, s1, s3
	v_cmp_eq_u32_e32 vcc, 0, v1
	s_and_saveexec_b64 s[0:1], vcc
	s_cbranch_execz .LBB230_2
; %bb.1:
	v_mov_b32_e32 v2, s9
	v_mov_b32_e32 v3, 0
	global_store_dwordx2 v3, v[2:3], s[18:19]
.LBB230_2:
	s_or_b64 exec, exec, s[0:1]
	v_and_b32_e32 v4, 31, v0
	v_lshrrev_b32_e32 v0, 5, v0
	v_max_i32_e32 v1, v0, v4
	v_cmp_gt_i32_e32 vcc, s8, v1
	s_and_saveexec_b64 s[0:1], vcc
	s_cbranch_execz .LBB230_6
; %bb.3:
	s_load_dwordx4 s[0:3], s[12:13], 0x0
	s_load_dword s10, s[4:5], 0xc
	s_mul_i32 s16, s8, s8
	s_mul_i32 s6, s6, s8
	v_add_u32_e32 v8, s6, v0
	v_ashrrev_i32_e32 v9, 31, v8
	s_waitcnt lgkmcnt(0)
	s_sub_u32 s12, s0, s10
	s_subb_u32 s13, s1, 0
	s_sub_u32 s14, s2, s10
	s_mul_i32 s7, s13, s16
	s_mul_hi_u32 s17, s12, s16
	s_subb_u32 s15, s3, 0
	s_add_i32 s21, s17, s7
	s_sub_u32 s7, s14, s12
	s_mul_i32 s20, s12, s16
	s_subb_u32 s17, s15, s13
	s_mul_i32 s17, s17, s8
	s_mul_hi_u32 s22, s7, s8
	s_mul_i32 s7, s7, s8
	v_pk_mov_b32 v[2:3], s[20:21], s[20:21] op_sel:[0,1]
	s_add_i32 s17, s22, s17
	v_mad_u64_u32 v[2:3], s[22:23], s7, v0, v[2:3]
	v_mov_b32_e32 v6, v3
	s_add_u32 s7, s7, s9
	v_mad_u64_u32 v[6:7], s[22:23], s17, v0, v[6:7]
	s_addc_u32 s17, s17, 0
	v_mov_b32_e32 v3, v6
	v_mov_b32_e32 v1, s17
	v_add_co_u32_e32 v6, vcc, s7, v2
	v_addc_co_u32_e32 v7, vcc, v1, v3, vcc
	v_lshlrev_b64 v[8:9], 3, v[8:9]
	v_mov_b32_e32 v1, s19
	v_add_co_u32_e32 v8, vcc, s18, v8
	v_addc_co_u32_e32 v9, vcc, v1, v9, vcc
	global_store_dwordx2 v[8:9], v[6:7], off offset:8
	v_pk_mov_b32 v[6:7], s[2:3], s[2:3] op_sel:[0,1]
	v_cmp_ge_i64_e32 vcc, s[0:1], v[6:7]
	s_mov_b32 s11, 0
	s_cbranch_vccnz .LBB230_6
; %bb.4:
	s_load_dwordx2 s[18:19], s[4:5], 0x20
	s_load_dwordx2 s[6:7], s[4:5], 0x30
	;; [unrolled: 1-line block ×4, first 2 shown]
	s_load_dword s26, s[4:5], 0x0
	v_mov_b32_e32 v7, 0
	v_mul_lo_u32 v6, v4, s8
	v_lshlrev_b64 v[10:11], 3, v[6:7]
	s_waitcnt lgkmcnt(0)
	v_mov_b32_e32 v5, s3
	v_add_co_u32_e32 v1, vcc, s2, v10
	v_addc_co_u32_e32 v6, vcc, v5, v11, vcc
	v_lshlrev_b32_e32 v9, 3, v0
	v_add_co_u32_e32 v9, vcc, v1, v9
	v_addc_co_u32_e32 v10, vcc, 0, v6, vcc
	v_mul_lo_u32 v6, v0, s8
	v_lshlrev_b64 v[0:1], 3, v[6:7]
	v_add_co_u32_e32 v0, vcc, s2, v0
	v_addc_co_u32_e32 v1, vcc, v5, v1, vcc
	v_lshlrev_b32_e32 v5, 3, v4
	v_add_co_u32_e32 v0, vcc, v0, v5
	s_cmp_eq_u32 s26, 0
	v_addc_co_u32_e32 v1, vcc, 0, v1, vcc
	s_cselect_b64 vcc, -1, 0
	v_cndmask_b32_e32 v0, v9, v0, vcc
	s_lshl_b64 s[2:3], s[20:21], 3
	v_cndmask_b32_e32 v1, v10, v1, vcc
	v_mov_b32_e32 v5, s3
	v_add_co_u32_e32 v0, vcc, s2, v0
	v_addc_co_u32_e32 v1, vcc, v1, v5, vcc
	v_add_u32_e32 v8, s9, v4
	v_add_co_u32_e32 v4, vcc, v2, v4
	v_addc_co_u32_e32 v5, vcc, 0, v3, vcc
	s_mov_b32 s17, s11
	s_mov_b32 s24, s8
	;; [unrolled: 1-line block ×3, first 2 shown]
	v_lshlrev_b64 v[2:3], 3, v[4:5]
	s_lshl_b64 s[2:3], s[16:17], 3
	v_mov_b32_e32 v6, s7
	v_add_co_u32_e32 v2, vcc, s6, v2
	s_lshl_b64 s[4:5], s[24:25], 3
	s_lshl_b64 s[6:7], s[24:25], 2
	;; [unrolled: 1-line block ×4, first 2 shown]
	s_sub_u32 s0, s0, s16
	v_addc_co_u32_e32 v3, vcc, v6, v3, vcc
	v_lshlrev_b64 v[4:5], 2, v[4:5]
	s_subb_u32 s1, s1, s17
	v_mov_b32_e32 v6, s23
	v_add_co_u32_e32 v4, vcc, s22, v4
	s_add_u32 s16, s18, s0
	v_addc_co_u32_e32 v5, vcc, v6, v5, vcc
	s_addc_u32 s17, s19, s1
	v_mov_b32_e32 v9, s3
	v_mov_b32_e32 v10, s5
	;; [unrolled: 1-line block ×3, first 2 shown]
	v_pk_mov_b32 v[6:7], s[14:15], s[14:15] op_sel:[0,1]
.LBB230_5:                              ; =>This Inner Loop Header: Depth=1
	global_load_dwordx2 v[12:13], v[0:1], off
	s_load_dword s0, s[16:17], 0x0
	v_add_co_u32_e32 v0, vcc, s2, v0
	v_addc_co_u32_e32 v1, vcc, v1, v9, vcc
	s_waitcnt lgkmcnt(0)
	s_sub_i32 s0, s0, s10
	s_mul_i32 s0, s0, s8
	v_add_u32_e32 v14, s0, v8
	s_add_u32 s12, s12, 1
	global_store_dword v[4:5], v14, off
	v_add_co_u32_e32 v4, vcc, s6, v4
	s_addc_u32 s13, s13, 0
	v_addc_co_u32_e32 v5, vcc, v5, v11, vcc
	s_add_u32 s16, s16, 4
	v_cmp_lt_i64_e32 vcc, s[12:13], v[6:7]
	s_addc_u32 s17, s17, 0
	s_and_b64 vcc, exec, vcc
	s_waitcnt vmcnt(1)
	global_store_dwordx2 v[2:3], v[12:13], off
	v_add_co_u32_e64 v2, s[0:1], s4, v2
	v_addc_co_u32_e64 v3, s[0:1], v3, v10, s[0:1]
	s_cbranch_vccnz .LBB230_5
.LBB230_6:
	s_endpgm
	.section	.rodata,"a",@progbits
	.p2align	6, 0x0
	.amdhsa_kernel _ZN9rocsparseL33bsr2csr_block_per_row_8_32_kernelILj1024ELj32EdliEEv20rocsparse_direction_T3_S2_21rocsparse_index_base_PKT1_PKT2_PKS2_S2_S3_PS4_PS7_PS2_
		.amdhsa_group_segment_fixed_size 0
		.amdhsa_private_segment_fixed_size 0
		.amdhsa_kernarg_size 72
		.amdhsa_user_sgpr_count 6
		.amdhsa_user_sgpr_private_segment_buffer 1
		.amdhsa_user_sgpr_dispatch_ptr 0
		.amdhsa_user_sgpr_queue_ptr 0
		.amdhsa_user_sgpr_kernarg_segment_ptr 1
		.amdhsa_user_sgpr_dispatch_id 0
		.amdhsa_user_sgpr_flat_scratch_init 0
		.amdhsa_user_sgpr_kernarg_preload_length 0
		.amdhsa_user_sgpr_kernarg_preload_offset 0
		.amdhsa_user_sgpr_private_segment_size 0
		.amdhsa_uses_dynamic_stack 0
		.amdhsa_system_sgpr_private_segment_wavefront_offset 0
		.amdhsa_system_sgpr_workgroup_id_x 1
		.amdhsa_system_sgpr_workgroup_id_y 0
		.amdhsa_system_sgpr_workgroup_id_z 0
		.amdhsa_system_sgpr_workgroup_info 0
		.amdhsa_system_vgpr_workitem_id 0
		.amdhsa_next_free_vgpr 15
		.amdhsa_next_free_sgpr 27
		.amdhsa_accum_offset 16
		.amdhsa_reserve_vcc 1
		.amdhsa_reserve_flat_scratch 0
		.amdhsa_float_round_mode_32 0
		.amdhsa_float_round_mode_16_64 0
		.amdhsa_float_denorm_mode_32 3
		.amdhsa_float_denorm_mode_16_64 3
		.amdhsa_dx10_clamp 1
		.amdhsa_ieee_mode 1
		.amdhsa_fp16_overflow 0
		.amdhsa_tg_split 0
		.amdhsa_exception_fp_ieee_invalid_op 0
		.amdhsa_exception_fp_denorm_src 0
		.amdhsa_exception_fp_ieee_div_zero 0
		.amdhsa_exception_fp_ieee_overflow 0
		.amdhsa_exception_fp_ieee_underflow 0
		.amdhsa_exception_fp_ieee_inexact 0
		.amdhsa_exception_int_div_zero 0
	.end_amdhsa_kernel
	.section	.text._ZN9rocsparseL33bsr2csr_block_per_row_8_32_kernelILj1024ELj32EdliEEv20rocsparse_direction_T3_S2_21rocsparse_index_base_PKT1_PKT2_PKS2_S2_S3_PS4_PS7_PS2_,"axG",@progbits,_ZN9rocsparseL33bsr2csr_block_per_row_8_32_kernelILj1024ELj32EdliEEv20rocsparse_direction_T3_S2_21rocsparse_index_base_PKT1_PKT2_PKS2_S2_S3_PS4_PS7_PS2_,comdat
.Lfunc_end230:
	.size	_ZN9rocsparseL33bsr2csr_block_per_row_8_32_kernelILj1024ELj32EdliEEv20rocsparse_direction_T3_S2_21rocsparse_index_base_PKT1_PKT2_PKS2_S2_S3_PS4_PS7_PS2_, .Lfunc_end230-_ZN9rocsparseL33bsr2csr_block_per_row_8_32_kernelILj1024ELj32EdliEEv20rocsparse_direction_T3_S2_21rocsparse_index_base_PKT1_PKT2_PKS2_S2_S3_PS4_PS7_PS2_
                                        ; -- End function
	.section	.AMDGPU.csdata,"",@progbits
; Kernel info:
; codeLenInByte = 688
; NumSgprs: 31
; NumVgprs: 15
; NumAgprs: 0
; TotalNumVgprs: 15
; ScratchSize: 0
; MemoryBound: 0
; FloatMode: 240
; IeeeMode: 1
; LDSByteSize: 0 bytes/workgroup (compile time only)
; SGPRBlocks: 3
; VGPRBlocks: 1
; NumSGPRsForWavesPerEU: 31
; NumVGPRsForWavesPerEU: 15
; AccumOffset: 16
; Occupancy: 8
; WaveLimiterHint : 0
; COMPUTE_PGM_RSRC2:SCRATCH_EN: 0
; COMPUTE_PGM_RSRC2:USER_SGPR: 6
; COMPUTE_PGM_RSRC2:TRAP_HANDLER: 0
; COMPUTE_PGM_RSRC2:TGID_X_EN: 1
; COMPUTE_PGM_RSRC2:TGID_Y_EN: 0
; COMPUTE_PGM_RSRC2:TGID_Z_EN: 0
; COMPUTE_PGM_RSRC2:TIDIG_COMP_CNT: 0
; COMPUTE_PGM_RSRC3_GFX90A:ACCUM_OFFSET: 3
; COMPUTE_PGM_RSRC3_GFX90A:TG_SPLIT: 0
	.section	.text._ZN9rocsparseL35bsr2csr_block_per_row_33_256_kernelILj1024ELj64ELj32EdliEEv20rocsparse_direction_T4_S2_21rocsparse_index_base_PKT2_PKT3_PKS2_S2_S3_PS4_PS7_PS2_,"axG",@progbits,_ZN9rocsparseL35bsr2csr_block_per_row_33_256_kernelILj1024ELj64ELj32EdliEEv20rocsparse_direction_T4_S2_21rocsparse_index_base_PKT2_PKT3_PKS2_S2_S3_PS4_PS7_PS2_,comdat
	.globl	_ZN9rocsparseL35bsr2csr_block_per_row_33_256_kernelILj1024ELj64ELj32EdliEEv20rocsparse_direction_T4_S2_21rocsparse_index_base_PKT2_PKT3_PKS2_S2_S3_PS4_PS7_PS2_ ; -- Begin function _ZN9rocsparseL35bsr2csr_block_per_row_33_256_kernelILj1024ELj64ELj32EdliEEv20rocsparse_direction_T4_S2_21rocsparse_index_base_PKT2_PKT3_PKS2_S2_S3_PS4_PS7_PS2_
	.p2align	8
	.type	_ZN9rocsparseL35bsr2csr_block_per_row_33_256_kernelILj1024ELj64ELj32EdliEEv20rocsparse_direction_T4_S2_21rocsparse_index_base_PKT2_PKT3_PKS2_S2_S3_PS4_PS7_PS2_,@function
_ZN9rocsparseL35bsr2csr_block_per_row_33_256_kernelILj1024ELj64ELj32EdliEEv20rocsparse_direction_T4_S2_21rocsparse_index_base_PKT2_PKT3_PKS2_S2_S3_PS4_PS7_PS2_: ; @_ZN9rocsparseL35bsr2csr_block_per_row_33_256_kernelILj1024ELj64ELj32EdliEEv20rocsparse_direction_T4_S2_21rocsparse_index_base_PKT2_PKT3_PKS2_S2_S3_PS4_PS7_PS2_
; %bb.0:
	s_load_dwordx2 s[2:3], s[4:5], 0x18
	s_load_dwordx2 s[12:13], s[4:5], 0x28
	;; [unrolled: 1-line block ×3, first 2 shown]
	s_ashr_i32 s7, s6, 31
	s_lshl_b64 s[8:9], s[6:7], 3
	s_waitcnt lgkmcnt(0)
	s_add_u32 s2, s2, s8
	s_addc_u32 s3, s3, s9
	s_load_dwordx4 s[8:11], s[2:3], 0x0
	v_or_b32_e32 v1, s6, v0
	s_mov_b32 s15, 0
	v_cmp_eq_u32_e32 vcc, 0, v1
	s_mov_b32 s16, s13
	s_and_saveexec_b64 s[2:3], vcc
	s_cbranch_execz .LBB231_2
; %bb.1:
	s_mov_b32 s17, s15
	v_mov_b32_e32 v1, 0
	v_pk_mov_b32 v[2:3], s[16:17], s[16:17] op_sel:[0,1]
	global_store_dwordx2 v1, v[2:3], s[0:1]
.LBB231_2:
	s_or_b64 exec, exec, s[2:3]
	s_load_dword s14, s[4:5], 0xc
	s_mul_i32 s24, s12, s12
	v_lshrrev_b32_e32 v8, 5, v0
	s_mul_i32 s25, s6, s12
	s_waitcnt lgkmcnt(0)
	s_sub_u32 s18, s8, s14
	s_subb_u32 s19, s9, 0
	s_mul_hi_u32 s2, s18, s24
	s_sub_u32 s20, s10, s14
	s_mul_i32 s3, s19, s24
	s_subb_u32 s21, s11, 0
	s_add_i32 s29, s2, s3
	s_sub_u32 s35, s20, s18
	s_subb_u32 s34, s21, s19
	s_mul_i32 s2, s34, s12
	s_mul_hi_u32 s3, s35, s12
	s_mul_i32 s28, s18, s24
	s_add_i32 s13, s3, s2
	s_add_u32 s2, s28, s16
	s_mul_i32 s17, s35, s12
	s_addc_u32 s3, s29, 0
	s_add_u32 s22, s2, s17
	s_addc_u32 s23, s3, s13
	v_cmp_gt_i32_e64 s[2:3], s12, v8
	s_and_saveexec_b64 s[6:7], s[2:3]
	s_cbranch_execz .LBB231_4
; %bb.3:
	v_pk_mov_b32 v[2:3], s[22:23], s[22:23] op_sel:[0,1]
	v_mad_u64_u32 v[2:3], s[26:27], s17, v8, v[2:3]
	v_mov_b32_e32 v4, v3
	v_mad_u64_u32 v[4:5], s[26:27], s13, v8, v[4:5]
	v_mov_b32_e32 v3, v4
	v_add_u32_e32 v4, s25, v8
	v_ashrrev_i32_e32 v5, 31, v4
	v_lshlrev_b64 v[4:5], 3, v[4:5]
	v_mov_b32_e32 v1, s1
	v_add_co_u32_e32 v4, vcc, s0, v4
	v_addc_co_u32_e32 v5, vcc, v1, v5, vcc
	global_store_dwordx2 v[4:5], v[2:3], off offset:8
.LBB231_4:
	s_or_b64 exec, exec, s[6:7]
	v_or_b32_e32 v10, 32, v8
	v_cmp_gt_i32_e64 s[6:7], s12, v10
	s_and_saveexec_b64 s[26:27], s[6:7]
	s_cbranch_execz .LBB231_6
; %bb.5:
	s_add_u32 s30, s0, 8
	v_pk_mov_b32 v[2:3], s[22:23], s[22:23] op_sel:[0,1]
	s_addc_u32 s31, s1, 0
	v_mad_u64_u32 v[2:3], s[0:1], s17, v10, v[2:3]
	v_mov_b32_e32 v4, v3
	v_mad_u64_u32 v[4:5], s[0:1], s13, v10, v[4:5]
	s_ashr_i32 s0, s25, 31
	v_mov_b32_e32 v3, v4
	v_mov_b32_e32 v1, s0
	v_add_co_u32_e32 v4, vcc, s25, v8
	v_addc_co_u32_e32 v5, vcc, 0, v1, vcc
	v_lshlrev_b64 v[4:5], 3, v[4:5]
	v_mov_b32_e32 v1, s31
	v_add_co_u32_e32 v4, vcc, s30, v4
	v_addc_co_u32_e32 v5, vcc, v1, v5, vcc
	global_store_dwordx2 v[4:5], v[2:3], off offset:256
.LBB231_6:
	s_or_b64 exec, exec, s[26:27]
	v_pk_mov_b32 v[2:3], s[10:11], s[10:11] op_sel:[0,1]
	v_cmp_lt_i64_e32 vcc, s[8:9], v[2:3]
	s_cbranch_vccz .LBB231_17
; %bb.7:
	s_load_dwordx2 s[26:27], s[4:5], 0x20
	s_load_dwordx2 s[36:37], s[4:5], 0x30
	s_load_dwordx2 s[38:39], s[4:5], 0x10
	s_load_dword s0, s[4:5], 0x0
	s_load_dwordx2 s[30:31], s[4:5], 0x40
	v_and_b32_e32 v12, 31, v0
	v_mul_lo_u32 v0, v8, s12
	v_mov_b32_e32 v1, 0
	s_waitcnt lgkmcnt(0)
	s_cmp_eq_u32 s0, 0
	s_cselect_b64 s[0:1], -1, 0
	s_lshl_b32 s17, s12, 5
	v_cmp_gt_i32_e32 vcc, s12, v12
	v_mov_b32_e32 v5, v1
	v_mov_b32_e32 v7, v1
	v_add_u32_e32 v2, s17, v0
	v_mov_b32_e32 v3, v1
	v_lshlrev_b64 v[0:1], 3, v[0:1]
	v_lshlrev_b32_e32 v22, 3, v12
	s_and_b64 s[10:11], s[2:3], vcc
	s_and_b64 s[22:23], s[6:7], vcc
	v_add_co_u32_e32 v0, vcc, v0, v22
	v_addc_co_u32_e32 v1, vcc, 0, v1, vcc
	v_mov_b32_e32 v9, s39
	v_add_co_u32_e32 v0, vcc, s38, v0
	v_addc_co_u32_e32 v1, vcc, v9, v1, vcc
	v_lshlrev_b64 v[2:3], 3, v[2:3]
	v_add_co_u32_e32 v2, vcc, v2, v22
	v_or_b32_e32 v13, 32, v12
	v_addc_co_u32_e32 v3, vcc, 0, v3, vcc
	v_mul_lo_u32 v4, v12, s12
	v_cmp_gt_i32_e64 s[4:5], s12, v13
	v_add_co_u32_e32 v2, vcc, s38, v2
	s_and_b64 s[2:3], s[2:3], s[4:5]
	v_add_u32_e32 v6, s17, v4
	s_and_b64 s[4:5], s[6:7], s[4:5]
	v_addc_co_u32_e32 v3, vcc, v9, v3, vcc
	v_lshlrev_b32_e32 v11, 3, v8
	v_lshlrev_b64 v[4:5], 3, v[4:5]
	s_mov_b32 s25, s15
	s_add_u32 s17, s36, 0x100
	v_add_co_u32_e32 v4, vcc, v11, v4
	s_addc_u32 s33, s37, 0
	s_lshl_b64 s[6:7], s[28:29], 3
	s_lshl_b64 s[24:25], s[24:25], 3
	v_addc_co_u32_e32 v5, vcc, 0, v5, vcc
	s_lshl_b64 s[8:9], s[8:9], 2
	s_lshl_b64 s[36:37], s[14:15], 2
	v_add_co_u32_e32 v4, vcc, s38, v4
	s_sub_u32 s8, s8, s36
	v_addc_co_u32_e32 v5, vcc, v9, v5, vcc
	v_lshlrev_b64 v[6:7], 3, v[6:7]
	s_subb_u32 s9, s9, s37
	v_add_co_u32_e32 v6, vcc, v11, v6
	s_add_u32 s8, s26, s8
	v_addc_co_u32_e32 v7, vcc, 0, v7, vcc
	s_addc_u32 s9, s27, s9
	v_mad_u64_u32 v[14:15], s[26:27], v8, s35, 0
	v_add_co_u32_e32 v6, vcc, s38, v6
	v_mov_b32_e32 v16, v15
	v_mad_u64_u32 v[18:19], s[26:27], v14, s12, 0
	v_addc_co_u32_e32 v7, vcc, v9, v7, vcc
	v_mad_u64_u32 v[8:9], s[26:27], v8, s34, v[16:17]
	v_mov_b32_e32 v14, v19
	v_mad_u64_u32 v[8:9], s[26:27], v8, s12, v[14:15]
	v_mov_b32_e32 v19, v8
	v_lshlrev_b64 v[8:9], 2, v[18:19]
	v_mov_b32_e32 v11, s31
	v_add_co_u32_e32 v8, vcc, s30, v8
	s_mov_b32 s13, s15
	v_addc_co_u32_e32 v9, vcc, v9, v11, vcc
	s_movk_i32 s15, 0x80
	v_mad_u64_u32 v[16:17], s[36:37], s35, v10, 0
	v_add_co_u32_e32 v14, vcc, s15, v8
	v_mov_b32_e32 v20, v17
	v_addc_co_u32_e32 v15, vcc, 0, v9, vcc
	s_lshl_b64 s[26:27], s[28:29], 2
	v_lshlrev_b32_e32 v8, 2, v12
	v_mad_u64_u32 v[10:11], s[34:35], s34, v10, v[20:21]
	v_mov_b32_e32 v9, s27
	v_add_co_u32_e32 v8, vcc, s26, v8
	v_mul_lo_u32 v17, v10, s12
	v_pk_mov_b32 v[10:11], s[28:29], s[28:29] op_sel:[0,1]
	v_addc_co_u32_e32 v9, vcc, 0, v9, vcc
	v_mad_u64_u32 v[10:11], s[28:29], v16, s12, v[10:11]
	v_add_u32_e32 v11, v17, v11
	v_add_co_u32_e32 v10, vcc, v10, v12
	v_addc_co_u32_e32 v11, vcc, 0, v11, vcc
	v_mad_u64_u32 v[20:21], s[34:35], v16, s12, 0
	v_lshlrev_b64 v[10:11], 3, v[10:11]
	v_add_u32_e32 v21, v21, v17
	v_mov_b32_e32 v16, s33
	v_add_co_u32_e32 v10, vcc, s17, v10
	v_addc_co_u32_e32 v11, vcc, v16, v11, vcc
	v_lshlrev_b64 v[16:17], 2, v[20:21]
	v_mov_b32_e32 v20, s31
	v_add_co_u32_e32 v16, vcc, s30, v16
	v_addc_co_u32_e32 v17, vcc, v20, v17, vcc
	v_lshlrev_b64 v[18:19], 3, v[18:19]
	v_add_co_u32_e32 v18, vcc, v18, v22
	v_addc_co_u32_e32 v19, vcc, 0, v19, vcc
	v_mov_b32_e32 v20, s7
	v_add_co_u32_e32 v18, vcc, s6, v18
	s_lshl_b64 s[26:27], s[12:13], 2
	s_lshl_b64 s[28:29], s[12:13], 3
	v_addc_co_u32_e32 v19, vcc, v20, v19, vcc
	s_branch .LBB231_9
.LBB231_8:                              ;   in Loop: Header=BB231_9 Depth=1
	s_or_b64 exec, exec, s[30:31]
	v_mov_b32_e32 v20, s25
	v_add_co_u32_e32 v0, vcc, s24, v0
	v_addc_co_u32_e32 v1, vcc, v1, v20, vcc
	v_add_co_u32_e32 v2, vcc, s24, v2
	v_addc_co_u32_e32 v3, vcc, v3, v20, vcc
	;; [unrolled: 2-line block ×4, first 2 shown]
	s_add_u32 s18, s18, 1
	v_mov_b32_e32 v20, s27
	v_add_co_u32_e32 v8, vcc, s26, v8
	s_addc_u32 s19, s19, 0
	v_addc_co_u32_e32 v9, vcc, v9, v20, vcc
	s_add_u32 s8, s8, 4
	v_mov_b32_e32 v20, s29
	v_add_co_u32_e32 v10, vcc, s28, v10
	s_addc_u32 s9, s9, 0
	v_addc_co_u32_e32 v11, vcc, v11, v20, vcc
	v_pk_mov_b32 v[20:21], s[20:21], s[20:21] op_sel:[0,1]
	s_add_u32 s17, s17, s28
	v_cmp_ge_i64_e32 vcc, s[18:19], v[20:21]
	s_addc_u32 s33, s33, s29
	s_cbranch_vccnz .LBB231_17
.LBB231_9:                              ; =>This Inner Loop Header: Depth=1
	s_load_dword s13, s[8:9], 0x0
	s_waitcnt lgkmcnt(0)
	s_sub_i32 s13, s13, s14
	s_mul_i32 s13, s13, s12
	s_add_i32 s13, s13, s16
	v_add_u32_e32 v20, s13, v12
	s_and_saveexec_b64 s[30:31], s[10:11]
	s_cbranch_execnz .LBB231_13
; %bb.10:                               ;   in Loop: Header=BB231_9 Depth=1
	s_or_b64 exec, exec, s[30:31]
	v_add_u32_e32 v21, s13, v13
	s_and_saveexec_b64 s[30:31], s[2:3]
	s_cbranch_execnz .LBB231_14
.LBB231_11:                             ;   in Loop: Header=BB231_9 Depth=1
	s_or_b64 exec, exec, s[30:31]
	s_and_saveexec_b64 s[30:31], s[22:23]
	s_cbranch_execnz .LBB231_15
.LBB231_12:                             ;   in Loop: Header=BB231_9 Depth=1
	s_or_b64 exec, exec, s[30:31]
	s_and_saveexec_b64 s[30:31], s[4:5]
	s_cbranch_execz .LBB231_8
	s_branch .LBB231_16
.LBB231_13:                             ;   in Loop: Header=BB231_9 Depth=1
	v_cndmask_b32_e64 v22, v4, v0, s[0:1]
	v_cndmask_b32_e64 v21, v5, v1, s[0:1]
	v_mov_b32_e32 v23, s7
	v_add_co_u32_e32 v22, vcc, s6, v22
	v_addc_co_u32_e32 v23, vcc, v21, v23, vcc
	global_load_dwordx2 v[22:23], v[22:23], off
	v_add_co_u32_e32 v24, vcc, v14, v8
	v_addc_co_u32_e32 v25, vcc, v15, v9, vcc
	global_store_dword v[24:25], v20, off offset:-128
	v_mov_b32_e32 v21, s33
	v_add_co_u32_e32 v24, vcc, s17, v18
	v_addc_co_u32_e32 v25, vcc, v21, v19, vcc
	s_waitcnt vmcnt(1)
	global_store_dwordx2 v[24:25], v[22:23], off offset:-256
	s_or_b64 exec, exec, s[30:31]
	v_add_u32_e32 v21, s13, v13
	s_and_saveexec_b64 s[30:31], s[2:3]
	s_cbranch_execz .LBB231_11
.LBB231_14:                             ;   in Loop: Header=BB231_9 Depth=1
	v_mov_b32_e32 v22, s7
	v_add_co_u32_e32 v23, vcc, s6, v0
	v_addc_co_u32_e32 v24, vcc, v1, v22, vcc
	v_add_co_u32_e32 v25, vcc, 0x100, v23
	v_addc_co_u32_e32 v23, vcc, 0, v24, vcc
	;; [unrolled: 2-line block ×3, first 2 shown]
	v_cndmask_b32_e64 v23, v22, v23, s[0:1]
	v_cndmask_b32_e64 v22, v24, v25, s[0:1]
	global_load_dwordx2 v[22:23], v[22:23], off
	v_add_co_u32_e32 v24, vcc, v14, v8
	v_addc_co_u32_e32 v25, vcc, v15, v9, vcc
	global_store_dword v[24:25], v21, off
	v_mov_b32_e32 v25, s33
	v_add_co_u32_e32 v24, vcc, s17, v18
	v_addc_co_u32_e32 v25, vcc, v25, v19, vcc
	s_waitcnt vmcnt(1)
	global_store_dwordx2 v[24:25], v[22:23], off
	s_or_b64 exec, exec, s[30:31]
	s_and_saveexec_b64 s[30:31], s[22:23]
	s_cbranch_execz .LBB231_12
.LBB231_15:                             ;   in Loop: Header=BB231_9 Depth=1
	v_mov_b32_e32 v22, s7
	v_add_co_u32_e32 v24, vcc, s6, v2
	v_addc_co_u32_e32 v23, vcc, v3, v22, vcc
	v_add_co_u32_e32 v25, vcc, s6, v4
	v_addc_co_u32_e32 v22, vcc, v5, v22, vcc
	;; [unrolled: 2-line block ×3, first 2 shown]
	v_cndmask_b32_e64 v23, v22, v23, s[0:1]
	v_cndmask_b32_e64 v22, v25, v24, s[0:1]
	global_load_dwordx2 v[22:23], v[22:23], off
	v_add_co_u32_e32 v24, vcc, v16, v8
	v_addc_co_u32_e32 v25, vcc, v17, v9, vcc
	global_store_dword v[24:25], v20, off
	s_waitcnt vmcnt(1)
	global_store_dwordx2 v[10:11], v[22:23], off offset:-256
	s_or_b64 exec, exec, s[30:31]
	s_and_saveexec_b64 s[30:31], s[4:5]
	s_cbranch_execz .LBB231_8
.LBB231_16:                             ;   in Loop: Header=BB231_9 Depth=1
	v_cndmask_b32_e64 v22, v6, v2, s[0:1]
	v_cndmask_b32_e64 v20, v7, v3, s[0:1]
	v_mov_b32_e32 v23, s7
	v_add_co_u32_e32 v22, vcc, s6, v22
	v_addc_co_u32_e32 v23, vcc, v20, v23, vcc
	global_load_dwordx2 v[22:23], v[22:23], off offset:256
	v_add_co_u32_e32 v24, vcc, v16, v8
	v_addc_co_u32_e32 v25, vcc, v17, v9, vcc
	global_store_dword v[24:25], v21, off offset:128
	s_waitcnt vmcnt(1)
	global_store_dwordx2 v[10:11], v[22:23], off
	s_branch .LBB231_8
.LBB231_17:
	s_endpgm
	.section	.rodata,"a",@progbits
	.p2align	6, 0x0
	.amdhsa_kernel _ZN9rocsparseL35bsr2csr_block_per_row_33_256_kernelILj1024ELj64ELj32EdliEEv20rocsparse_direction_T4_S2_21rocsparse_index_base_PKT2_PKT3_PKS2_S2_S3_PS4_PS7_PS2_
		.amdhsa_group_segment_fixed_size 0
		.amdhsa_private_segment_fixed_size 0
		.amdhsa_kernarg_size 72
		.amdhsa_user_sgpr_count 6
		.amdhsa_user_sgpr_private_segment_buffer 1
		.amdhsa_user_sgpr_dispatch_ptr 0
		.amdhsa_user_sgpr_queue_ptr 0
		.amdhsa_user_sgpr_kernarg_segment_ptr 1
		.amdhsa_user_sgpr_dispatch_id 0
		.amdhsa_user_sgpr_flat_scratch_init 0
		.amdhsa_user_sgpr_kernarg_preload_length 0
		.amdhsa_user_sgpr_kernarg_preload_offset 0
		.amdhsa_user_sgpr_private_segment_size 0
		.amdhsa_uses_dynamic_stack 0
		.amdhsa_system_sgpr_private_segment_wavefront_offset 0
		.amdhsa_system_sgpr_workgroup_id_x 1
		.amdhsa_system_sgpr_workgroup_id_y 0
		.amdhsa_system_sgpr_workgroup_id_z 0
		.amdhsa_system_sgpr_workgroup_info 0
		.amdhsa_system_vgpr_workitem_id 0
		.amdhsa_next_free_vgpr 26
		.amdhsa_next_free_sgpr 40
		.amdhsa_accum_offset 28
		.amdhsa_reserve_vcc 1
		.amdhsa_reserve_flat_scratch 0
		.amdhsa_float_round_mode_32 0
		.amdhsa_float_round_mode_16_64 0
		.amdhsa_float_denorm_mode_32 3
		.amdhsa_float_denorm_mode_16_64 3
		.amdhsa_dx10_clamp 1
		.amdhsa_ieee_mode 1
		.amdhsa_fp16_overflow 0
		.amdhsa_tg_split 0
		.amdhsa_exception_fp_ieee_invalid_op 0
		.amdhsa_exception_fp_denorm_src 0
		.amdhsa_exception_fp_ieee_div_zero 0
		.amdhsa_exception_fp_ieee_overflow 0
		.amdhsa_exception_fp_ieee_underflow 0
		.amdhsa_exception_fp_ieee_inexact 0
		.amdhsa_exception_int_div_zero 0
	.end_amdhsa_kernel
	.section	.text._ZN9rocsparseL35bsr2csr_block_per_row_33_256_kernelILj1024ELj64ELj32EdliEEv20rocsparse_direction_T4_S2_21rocsparse_index_base_PKT2_PKT3_PKS2_S2_S3_PS4_PS7_PS2_,"axG",@progbits,_ZN9rocsparseL35bsr2csr_block_per_row_33_256_kernelILj1024ELj64ELj32EdliEEv20rocsparse_direction_T4_S2_21rocsparse_index_base_PKT2_PKT3_PKS2_S2_S3_PS4_PS7_PS2_,comdat
.Lfunc_end231:
	.size	_ZN9rocsparseL35bsr2csr_block_per_row_33_256_kernelILj1024ELj64ELj32EdliEEv20rocsparse_direction_T4_S2_21rocsparse_index_base_PKT2_PKT3_PKS2_S2_S3_PS4_PS7_PS2_, .Lfunc_end231-_ZN9rocsparseL35bsr2csr_block_per_row_33_256_kernelILj1024ELj64ELj32EdliEEv20rocsparse_direction_T4_S2_21rocsparse_index_base_PKT2_PKT3_PKS2_S2_S3_PS4_PS7_PS2_
                                        ; -- End function
	.section	.AMDGPU.csdata,"",@progbits
; Kernel info:
; codeLenInByte = 1500
; NumSgprs: 44
; NumVgprs: 26
; NumAgprs: 0
; TotalNumVgprs: 26
; ScratchSize: 0
; MemoryBound: 0
; FloatMode: 240
; IeeeMode: 1
; LDSByteSize: 0 bytes/workgroup (compile time only)
; SGPRBlocks: 5
; VGPRBlocks: 3
; NumSGPRsForWavesPerEU: 44
; NumVGPRsForWavesPerEU: 26
; AccumOffset: 28
; Occupancy: 8
; WaveLimiterHint : 1
; COMPUTE_PGM_RSRC2:SCRATCH_EN: 0
; COMPUTE_PGM_RSRC2:USER_SGPR: 6
; COMPUTE_PGM_RSRC2:TRAP_HANDLER: 0
; COMPUTE_PGM_RSRC2:TGID_X_EN: 1
; COMPUTE_PGM_RSRC2:TGID_Y_EN: 0
; COMPUTE_PGM_RSRC2:TGID_Z_EN: 0
; COMPUTE_PGM_RSRC2:TIDIG_COMP_CNT: 0
; COMPUTE_PGM_RSRC3_GFX90A:ACCUM_OFFSET: 6
; COMPUTE_PGM_RSRC3_GFX90A:TG_SPLIT: 0
	.section	.text._ZN9rocsparseL35bsr2csr_block_per_row_33_256_kernelILj1024ELj128ELj32EdliEEv20rocsparse_direction_T4_S2_21rocsparse_index_base_PKT2_PKT3_PKS2_S2_S3_PS4_PS7_PS2_,"axG",@progbits,_ZN9rocsparseL35bsr2csr_block_per_row_33_256_kernelILj1024ELj128ELj32EdliEEv20rocsparse_direction_T4_S2_21rocsparse_index_base_PKT2_PKT3_PKS2_S2_S3_PS4_PS7_PS2_,comdat
	.globl	_ZN9rocsparseL35bsr2csr_block_per_row_33_256_kernelILj1024ELj128ELj32EdliEEv20rocsparse_direction_T4_S2_21rocsparse_index_base_PKT2_PKT3_PKS2_S2_S3_PS4_PS7_PS2_ ; -- Begin function _ZN9rocsparseL35bsr2csr_block_per_row_33_256_kernelILj1024ELj128ELj32EdliEEv20rocsparse_direction_T4_S2_21rocsparse_index_base_PKT2_PKT3_PKS2_S2_S3_PS4_PS7_PS2_
	.p2align	8
	.type	_ZN9rocsparseL35bsr2csr_block_per_row_33_256_kernelILj1024ELj128ELj32EdliEEv20rocsparse_direction_T4_S2_21rocsparse_index_base_PKT2_PKT3_PKS2_S2_S3_PS4_PS7_PS2_,@function
_ZN9rocsparseL35bsr2csr_block_per_row_33_256_kernelILj1024ELj128ELj32EdliEEv20rocsparse_direction_T4_S2_21rocsparse_index_base_PKT2_PKT3_PKS2_S2_S3_PS4_PS7_PS2_: ; @_ZN9rocsparseL35bsr2csr_block_per_row_33_256_kernelILj1024ELj128ELj32EdliEEv20rocsparse_direction_T4_S2_21rocsparse_index_base_PKT2_PKT3_PKS2_S2_S3_PS4_PS7_PS2_
; %bb.0:
	s_load_dwordx2 s[0:1], s[4:5], 0x18
	s_load_dwordx2 s[20:21], s[4:5], 0x28
	;; [unrolled: 1-line block ×3, first 2 shown]
	s_ashr_i32 s7, s6, 31
	s_lshl_b64 s[2:3], s[6:7], 3
	s_waitcnt lgkmcnt(0)
	s_add_u32 s0, s0, s2
	s_addc_u32 s1, s1, s3
	s_load_dwordx4 s[16:19], s[0:1], 0x0
	v_or_b32_e32 v1, s6, v0
	s_mov_b32 s23, 0
	v_cmp_eq_u32_e32 vcc, 0, v1
	s_mov_b32 s24, s21
	s_and_saveexec_b64 s[0:1], vcc
	s_cbranch_execz .LBB232_2
; %bb.1:
	s_mov_b32 s25, s23
	v_mov_b32_e32 v1, 0
	v_pk_mov_b32 v[2:3], s[24:25], s[24:25] op_sel:[0,1]
	global_store_dwordx2 v1, v[2:3], s[8:9]
.LBB232_2:
	s_or_b64 exec, exec, s[0:1]
	s_load_dword s22, s[4:5], 0xc
	s_mul_i32 s56, s20, s20
	v_lshrrev_b32_e32 v1, 5, v0
	s_mul_i32 s21, s6, s20
	v_cmp_gt_i32_e64 s[2:3], s20, v1
	s_waitcnt lgkmcnt(0)
	s_sub_u32 s26, s16, s22
	s_subb_u32 s27, s17, 0
	s_mul_hi_u32 s0, s26, s56
	s_sub_u32 s28, s18, s22
	s_mul_i32 s1, s27, s56
	s_subb_u32 s29, s19, 0
	s_add_i32 s55, s0, s1
	s_sub_u32 s61, s28, s26
	s_subb_u32 s60, s29, s27
	s_mul_i32 s0, s60, s20
	s_mul_hi_u32 s1, s61, s20
	s_mul_i32 s54, s26, s56
	s_add_i32 s14, s1, s0
	s_add_u32 s0, s54, s24
	s_mul_i32 s15, s61, s20
	s_addc_u32 s1, s55, 0
	s_add_u32 s0, s0, s15
	s_addc_u32 s1, s1, s14
	s_and_saveexec_b64 s[6:7], s[2:3]
	s_cbranch_execz .LBB232_4
; %bb.3:
	v_pk_mov_b32 v[2:3], s[0:1], s[0:1] op_sel:[0,1]
	v_mad_u64_u32 v[2:3], s[10:11], s15, v1, v[2:3]
	v_mov_b32_e32 v4, v3
	v_mad_u64_u32 v[4:5], s[10:11], s14, v1, v[4:5]
	v_mov_b32_e32 v3, v4
	v_add_u32_e32 v4, s21, v1
	v_ashrrev_i32_e32 v5, 31, v4
	v_lshlrev_b64 v[4:5], 3, v[4:5]
	v_mov_b32_e32 v6, s9
	v_add_co_u32_e32 v4, vcc, s8, v4
	v_addc_co_u32_e32 v5, vcc, v6, v5, vcc
	global_store_dwordx2 v[4:5], v[2:3], off offset:8
.LBB232_4:
	s_or_b64 exec, exec, s[6:7]
	s_add_u32 s25, s8, 8
	v_or_b32_e32 v8, 32, v1
	s_addc_u32 s30, s9, 0
	v_cmp_gt_i32_e64 s[6:7], s20, v8
	s_and_saveexec_b64 s[8:9], s[6:7]
	s_cbranch_execz .LBB232_6
; %bb.5:
	v_pk_mov_b32 v[2:3], s[0:1], s[0:1] op_sel:[0,1]
	v_mad_u64_u32 v[2:3], s[10:11], s15, v8, v[2:3]
	v_mov_b32_e32 v4, v3
	v_mad_u64_u32 v[4:5], s[10:11], s14, v8, v[4:5]
	s_ashr_i32 s10, s21, 31
	v_mov_b32_e32 v3, v4
	v_mov_b32_e32 v5, s10
	v_add_co_u32_e32 v4, vcc, s21, v1
	v_addc_co_u32_e32 v5, vcc, 0, v5, vcc
	v_lshlrev_b64 v[4:5], 3, v[4:5]
	v_mov_b32_e32 v6, s30
	v_add_co_u32_e32 v4, vcc, s25, v4
	v_addc_co_u32_e32 v5, vcc, v6, v5, vcc
	global_store_dwordx2 v[4:5], v[2:3], off offset:256
.LBB232_6:
	s_or_b64 exec, exec, s[8:9]
	v_or_b32_e32 v12, 64, v1
	v_cmp_gt_i32_e64 s[8:9], s20, v12
	s_and_saveexec_b64 s[10:11], s[8:9]
	s_cbranch_execz .LBB232_8
; %bb.7:
	v_pk_mov_b32 v[2:3], s[0:1], s[0:1] op_sel:[0,1]
	v_mad_u64_u32 v[2:3], s[12:13], s15, v12, v[2:3]
	v_mov_b32_e32 v4, v3
	v_mad_u64_u32 v[4:5], s[12:13], s14, v12, v[4:5]
	s_ashr_i32 s12, s21, 31
	v_mov_b32_e32 v3, v4
	v_mov_b32_e32 v5, s12
	v_add_co_u32_e32 v4, vcc, s21, v1
	v_addc_co_u32_e32 v5, vcc, 0, v5, vcc
	v_lshlrev_b64 v[4:5], 3, v[4:5]
	v_mov_b32_e32 v6, s30
	v_add_co_u32_e32 v4, vcc, s25, v4
	v_addc_co_u32_e32 v5, vcc, v6, v5, vcc
	global_store_dwordx2 v[4:5], v[2:3], off offset:512
.LBB232_8:
	s_or_b64 exec, exec, s[10:11]
	v_or_b32_e32 v4, 0x60, v1
	v_cmp_gt_i32_e64 s[10:11], s20, v4
	s_and_saveexec_b64 s[12:13], s[10:11]
	s_cbranch_execz .LBB232_10
; %bb.9:
	v_pk_mov_b32 v[2:3], s[0:1], s[0:1] op_sel:[0,1]
	v_mad_u64_u32 v[2:3], s[0:1], s15, v4, v[2:3]
	v_mov_b32_e32 v6, v3
	v_mad_u64_u32 v[6:7], s[0:1], s14, v4, v[6:7]
	s_ashr_i32 s0, s21, 31
	v_mov_b32_e32 v3, v6
	v_mov_b32_e32 v5, s0
	v_add_co_u32_e32 v6, vcc, s21, v1
	v_addc_co_u32_e32 v7, vcc, 0, v5, vcc
	v_lshlrev_b64 v[6:7], 3, v[6:7]
	v_mov_b32_e32 v5, s30
	v_add_co_u32_e32 v6, vcc, s25, v6
	v_addc_co_u32_e32 v7, vcc, v5, v7, vcc
	global_store_dwordx2 v[6:7], v[2:3], off offset:768
.LBB232_10:
	s_or_b64 exec, exec, s[12:13]
	v_pk_mov_b32 v[2:3], s[18:19], s[18:19] op_sel:[0,1]
	v_cmp_lt_i64_e32 vcc, s[16:17], v[2:3]
	s_cbranch_vccz .LBB232_45
; %bb.11:
	s_load_dwordx2 s[58:59], s[4:5], 0x20
	s_load_dwordx2 s[18:19], s[4:5], 0x30
	s_load_dwordx2 s[62:63], s[4:5], 0x10
	s_load_dword s0, s[4:5], 0x0
	s_load_dwordx2 s[30:31], s[4:5], 0x40
	v_and_b32_e32 v16, 31, v0
	v_mul_lo_u32 v2, v1, s20
	v_mov_b32_e32 v3, 0
	s_waitcnt lgkmcnt(0)
	s_cmp_eq_u32 s0, 0
	s_cselect_b64 s[0:1], -1, 0
	s_lshl_b32 s25, s20, 5
	v_cmp_gt_i32_e32 vcc, s20, v16
	v_mov_b32_e32 v7, v3
	v_mov_b32_e32 v11, v3
	;; [unrolled: 1-line block ×4, first 2 shown]
	v_add_u32_e32 v22, s25, v2
	v_mov_b32_e32 v23, v3
	v_mov_b32_e32 v25, v3
	;; [unrolled: 1-line block ×3, first 2 shown]
	v_lshlrev_b64 v[2:3], 3, v[2:3]
	v_lshlrev_b32_e32 v0, 3, v16
	s_and_b64 s[34:35], s[2:3], vcc
	s_and_b64 s[40:41], s[6:7], vcc
	;; [unrolled: 1-line block ×4, first 2 shown]
	v_add_co_u32_e32 v20, vcc, v2, v0
	v_addc_co_u32_e32 v21, vcc, 0, v3, vcc
	v_lshlrev_b64 v[2:3], 3, v[22:23]
	v_add_u32_e32 v24, s25, v22
	v_add_co_u32_e32 v22, vcc, v2, v0
	v_addc_co_u32_e32 v23, vcc, 0, v3, vcc
	v_lshlrev_b64 v[2:3], 3, v[24:25]
	v_add_u32_e32 v26, s25, v24
	v_add_co_u32_e32 v24, vcc, v2, v0
	v_addc_co_u32_e32 v25, vcc, 0, v3, vcc
	v_lshlrev_b64 v[2:3], 3, v[26:27]
	v_mul_lo_u32 v6, v16, s20
	v_add_co_u32_e32 v26, vcc, v2, v0
	v_addc_co_u32_e32 v27, vcc, 0, v3, vcc
	v_lshlrev_b32_e32 v0, 3, v1
	v_lshlrev_b64 v[2:3], 3, v[6:7]
	v_add_u32_e32 v10, s25, v6
	v_add_co_u32_e32 v28, vcc, v0, v2
	v_or_b32_e32 v17, 32, v16
	v_or_b32_e32 v18, 64, v16
	v_or_b32_e32 v19, 0x60, v16
	v_addc_co_u32_e32 v29, vcc, 0, v3, vcc
	v_lshlrev_b64 v[2:3], 3, v[10:11]
	v_cmp_gt_i32_e64 s[4:5], s20, v17
	v_cmp_gt_i32_e64 s[12:13], s20, v18
	v_add_u32_e32 v14, s25, v10
	v_cmp_gt_i32_e64 s[14:15], s20, v19
	v_add_co_u32_e32 v30, vcc, v0, v2
	s_and_b64 s[36:37], s[2:3], s[4:5]
	s_and_b64 s[38:39], s[2:3], s[12:13]
	;; [unrolled: 1-line block ×12, first 2 shown]
	s_lshl_b64 s[14:15], s[54:55], 3
	v_addc_co_u32_e32 v31, vcc, 0, v3, vcc
	v_lshlrev_b64 v[2:3], 3, v[14:15]
	s_mov_b32 s57, s23
	v_add_u32_e32 v34, s25, v14
	s_add_u32 s25, s62, s14
	v_add_co_u32_e32 v32, vcc, v0, v2
	s_addc_u32 s33, s63, s15
	s_lshl_b64 s[14:15], s[56:57], 3
	v_addc_co_u32_e32 v33, vcc, 0, v3, vcc
	v_lshlrev_b64 v[2:3], 3, v[34:35]
	s_lshl_b64 s[16:17], s[16:17], 2
	s_lshl_b64 s[56:57], s[22:23], 2
	v_add_co_u32_e32 v34, vcc, v0, v2
	s_sub_u32 s16, s16, s56
	v_addc_co_u32_e32 v35, vcc, 0, v3, vcc
	s_subb_u32 s17, s17, s57
	v_mad_u64_u32 v[2:3], s[56:57], v1, s61, 0
	v_pk_mov_b32 v[14:15], s[54:55], s[54:55] op_sel:[0,1]
	v_mov_b32_e32 v0, v3
	v_mad_u64_u32 v[2:3], s[54:55], v2, s20, v[14:15]
	s_add_u32 s16, s58, s16
	v_mad_u64_u32 v[0:1], s[56:57], v1, s60, v[0:1]
	v_mov_b32_e32 v6, v3
	s_addc_u32 s17, s59, s17
	v_mad_u64_u32 v[0:1], s[54:55], v0, s20, v[6:7]
	v_mad_u64_u32 v[6:7], s[58:59], s61, v4, 0
	v_mov_b32_e32 v10, v7
	v_mad_u64_u32 v[6:7], s[58:59], v6, s20, v[14:15]
	v_mad_u64_u32 v[4:5], s[58:59], s60, v4, v[10:11]
	v_mov_b32_e32 v10, v7
	;; [unrolled: 3-line block ×3, first 2 shown]
	v_add_co_u32_e32 v2, vcc, v2, v16
	v_mov_b32_e32 v36, v11
	v_mad_u64_u32 v[10:11], s[58:59], v10, s20, v[14:15]
	v_addc_co_u32_e32 v3, vcc, 0, v1, vcc
	v_mad_u64_u32 v[8:9], s[58:59], s60, v8, v[36:37]
	v_mov_b32_e32 v36, v11
	v_mov_b32_e32 v5, v4
	v_add_co_u32_e32 v6, vcc, v6, v16
	v_mad_u64_u32 v[8:9], s[58:59], v8, s20, v[36:37]
	v_mad_u64_u32 v[36:37], s[58:59], s61, v12, 0
	v_addc_co_u32_e32 v7, vcc, 0, v5, vcc
	v_mov_b32_e32 v38, v37
	v_mad_u64_u32 v[14:15], s[58:59], v36, s20, v[14:15]
	v_mov_b32_e32 v9, v8
	v_add_co_u32_e32 v10, vcc, v10, v16
	v_mad_u64_u32 v[12:13], s[58:59], s60, v12, v[38:39]
	v_mov_b32_e32 v36, v15
	v_addc_co_u32_e32 v11, vcc, 0, v9, vcc
	v_mad_u64_u32 v[12:13], s[58:59], v12, s20, v[36:37]
	v_mov_b32_e32 v13, v12
	v_add_co_u32_e32 v14, vcc, v14, v16
	s_mov_b32 s21, s23
	v_addc_co_u32_e32 v15, vcc, 0, v13, vcc
	v_lshlrev_b64 v[0:1], 2, v[2:3]
	s_lshl_b64 s[54:55], s[20:21], 2
	v_lshlrev_b64 v[2:3], 3, v[2:3]
	s_lshl_b64 s[56:57], s[20:21], 3
	v_lshlrev_b64 v[4:5], 3, v[6:7]
	v_lshlrev_b64 v[6:7], 2, v[6:7]
	;; [unrolled: 1-line block ×6, first 2 shown]
	s_branch .LBB232_13
.LBB232_12:                             ;   in Loop: Header=BB232_13 Depth=1
	s_or_b64 exec, exec, s[58:59]
	s_add_u32 s26, s26, 1
	s_addc_u32 s27, s27, 0
	s_add_u32 s25, s25, s14
	s_addc_u32 s33, s33, s15
	;; [unrolled: 2-line block ×4, first 2 shown]
	v_pk_mov_b32 v[36:37], s[28:29], s[28:29] op_sel:[0,1]
	s_add_u32 s18, s18, s56
	v_cmp_ge_i64_e32 vcc, s[26:27], v[36:37]
	s_addc_u32 s19, s19, s57
	s_cbranch_vccnz .LBB232_45
.LBB232_13:                             ; =>This Inner Loop Header: Depth=1
	s_load_dword s21, s[16:17], 0x0
	s_waitcnt lgkmcnt(0)
	s_sub_i32 s21, s21, s22
	s_mul_i32 s21, s21, s20
	s_add_i32 s21, s21, s24
	v_add_u32_e32 v39, s21, v16
	s_and_saveexec_b64 s[58:59], s[34:35]
	s_cbranch_execnz .LBB232_29
; %bb.14:                               ;   in Loop: Header=BB232_13 Depth=1
	s_or_b64 exec, exec, s[58:59]
	v_add_u32_e32 v37, s21, v17
	s_and_saveexec_b64 s[58:59], s[36:37]
	s_cbranch_execnz .LBB232_30
.LBB232_15:                             ;   in Loop: Header=BB232_13 Depth=1
	s_or_b64 exec, exec, s[58:59]
	v_add_u32_e32 v36, s21, v18
	s_and_saveexec_b64 s[58:59], s[38:39]
	s_cbranch_execnz .LBB232_31
.LBB232_16:                             ;   in Loop: Header=BB232_13 Depth=1
	s_or_b64 exec, exec, s[58:59]
	v_add_u32_e32 v38, s21, v19
	s_and_saveexec_b64 s[58:59], s[2:3]
	s_cbranch_execnz .LBB232_32
.LBB232_17:                             ;   in Loop: Header=BB232_13 Depth=1
	s_or_b64 exec, exec, s[58:59]
	s_and_saveexec_b64 s[58:59], s[40:41]
	s_cbranch_execnz .LBB232_33
.LBB232_18:                             ;   in Loop: Header=BB232_13 Depth=1
	s_or_b64 exec, exec, s[58:59]
	s_and_saveexec_b64 s[58:59], s[42:43]
	s_cbranch_execnz .LBB232_34
.LBB232_19:                             ;   in Loop: Header=BB232_13 Depth=1
	s_or_b64 exec, exec, s[58:59]
	s_and_saveexec_b64 s[58:59], s[44:45]
	s_cbranch_execnz .LBB232_35
.LBB232_20:                             ;   in Loop: Header=BB232_13 Depth=1
	s_or_b64 exec, exec, s[58:59]
	s_and_saveexec_b64 s[58:59], s[6:7]
	s_cbranch_execnz .LBB232_36
.LBB232_21:                             ;   in Loop: Header=BB232_13 Depth=1
	s_or_b64 exec, exec, s[58:59]
	s_and_saveexec_b64 s[58:59], s[46:47]
	s_cbranch_execnz .LBB232_37
.LBB232_22:                             ;   in Loop: Header=BB232_13 Depth=1
	s_or_b64 exec, exec, s[58:59]
	s_and_saveexec_b64 s[58:59], s[48:49]
	s_cbranch_execnz .LBB232_38
.LBB232_23:                             ;   in Loop: Header=BB232_13 Depth=1
	s_or_b64 exec, exec, s[58:59]
	s_and_saveexec_b64 s[58:59], s[50:51]
	s_cbranch_execnz .LBB232_39
.LBB232_24:                             ;   in Loop: Header=BB232_13 Depth=1
	s_or_b64 exec, exec, s[58:59]
	s_and_saveexec_b64 s[58:59], s[8:9]
	s_cbranch_execnz .LBB232_40
.LBB232_25:                             ;   in Loop: Header=BB232_13 Depth=1
	s_or_b64 exec, exec, s[58:59]
	s_and_saveexec_b64 s[58:59], s[52:53]
	s_cbranch_execnz .LBB232_41
.LBB232_26:                             ;   in Loop: Header=BB232_13 Depth=1
	s_or_b64 exec, exec, s[58:59]
	s_and_saveexec_b64 s[58:59], s[4:5]
	s_cbranch_execnz .LBB232_42
.LBB232_27:                             ;   in Loop: Header=BB232_13 Depth=1
	s_or_b64 exec, exec, s[58:59]
	s_and_saveexec_b64 s[58:59], s[12:13]
	s_cbranch_execnz .LBB232_43
.LBB232_28:                             ;   in Loop: Header=BB232_13 Depth=1
	s_or_b64 exec, exec, s[58:59]
	s_and_saveexec_b64 s[58:59], s[10:11]
	s_cbranch_execz .LBB232_12
	s_branch .LBB232_44
.LBB232_29:                             ;   in Loop: Header=BB232_13 Depth=1
	v_cndmask_b32_e64 v36, v28, v20, s[0:1]
	v_cndmask_b32_e64 v37, v29, v21, s[0:1]
	v_mov_b32_e32 v38, s33
	v_add_co_u32_e32 v36, vcc, s25, v36
	v_addc_co_u32_e32 v37, vcc, v38, v37, vcc
	global_load_dwordx2 v[36:37], v[36:37], off
	v_mov_b32_e32 v38, s31
	v_add_co_u32_e32 v40, vcc, s30, v0
	v_addc_co_u32_e32 v41, vcc, v38, v1, vcc
	global_store_dword v[40:41], v39, off
	v_mov_b32_e32 v38, s19
	v_add_co_u32_e32 v40, vcc, s18, v2
	v_addc_co_u32_e32 v41, vcc, v38, v3, vcc
	s_waitcnt vmcnt(1)
	global_store_dwordx2 v[40:41], v[36:37], off
	s_or_b64 exec, exec, s[58:59]
	v_add_u32_e32 v37, s21, v17
	s_and_saveexec_b64 s[58:59], s[36:37]
	s_cbranch_execz .LBB232_15
.LBB232_30:                             ;   in Loop: Header=BB232_13 Depth=1
	v_mov_b32_e32 v36, s33
	v_add_co_u32_e32 v38, vcc, s25, v20
	v_addc_co_u32_e32 v40, vcc, v36, v21, vcc
	v_add_co_u32_e32 v38, vcc, 0x100, v38
	v_addc_co_u32_e32 v40, vcc, 0, v40, vcc
	;; [unrolled: 2-line block ×3, first 2 shown]
	v_cndmask_b32_e64 v41, v36, v40, s[0:1]
	v_cndmask_b32_e64 v40, v42, v38, s[0:1]
	global_load_dwordx2 v[40:41], v[40:41], off
	v_mov_b32_e32 v36, s31
	v_add_co_u32_e32 v42, vcc, s30, v0
	v_addc_co_u32_e32 v43, vcc, v36, v1, vcc
	global_store_dword v[42:43], v37, off offset:128
	v_mov_b32_e32 v36, s19
	v_add_co_u32_e32 v42, vcc, s18, v2
	v_addc_co_u32_e32 v43, vcc, v36, v3, vcc
	s_waitcnt vmcnt(1)
	global_store_dwordx2 v[42:43], v[40:41], off offset:256
	s_or_b64 exec, exec, s[58:59]
	v_add_u32_e32 v36, s21, v18
	s_and_saveexec_b64 s[58:59], s[38:39]
	s_cbranch_execz .LBB232_16
.LBB232_31:                             ;   in Loop: Header=BB232_13 Depth=1
	v_mov_b32_e32 v38, s33
	v_add_co_u32_e32 v40, vcc, s25, v20
	v_addc_co_u32_e32 v41, vcc, v38, v21, vcc
	v_add_co_u32_e32 v40, vcc, 0x200, v40
	v_addc_co_u32_e32 v41, vcc, 0, v41, vcc
	;; [unrolled: 2-line block ×3, first 2 shown]
	v_cndmask_b32_e64 v41, v38, v41, s[0:1]
	v_cndmask_b32_e64 v40, v42, v40, s[0:1]
	global_load_dwordx2 v[40:41], v[40:41], off
	v_mov_b32_e32 v38, s31
	v_add_co_u32_e32 v42, vcc, s30, v0
	v_addc_co_u32_e32 v43, vcc, v38, v1, vcc
	global_store_dword v[42:43], v36, off offset:256
	v_mov_b32_e32 v38, s19
	v_add_co_u32_e32 v42, vcc, s18, v2
	v_addc_co_u32_e32 v43, vcc, v38, v3, vcc
	s_waitcnt vmcnt(1)
	global_store_dwordx2 v[42:43], v[40:41], off offset:512
	s_or_b64 exec, exec, s[58:59]
	v_add_u32_e32 v38, s21, v19
	s_and_saveexec_b64 s[58:59], s[2:3]
	s_cbranch_execz .LBB232_17
.LBB232_32:                             ;   in Loop: Header=BB232_13 Depth=1
	v_mov_b32_e32 v40, s33
	v_add_co_u32_e32 v41, vcc, s25, v20
	v_addc_co_u32_e32 v42, vcc, v40, v21, vcc
	v_add_co_u32_e32 v43, vcc, 0x300, v41
	v_addc_co_u32_e32 v41, vcc, 0, v42, vcc
	;; [unrolled: 2-line block ×3, first 2 shown]
	v_cndmask_b32_e64 v41, v40, v41, s[0:1]
	v_cndmask_b32_e64 v40, v42, v43, s[0:1]
	global_load_dwordx2 v[40:41], v[40:41], off
	v_mov_b32_e32 v43, s31
	v_add_co_u32_e32 v42, vcc, s30, v0
	v_addc_co_u32_e32 v43, vcc, v43, v1, vcc
	global_store_dword v[42:43], v38, off offset:384
	v_mov_b32_e32 v43, s19
	v_add_co_u32_e32 v42, vcc, s18, v2
	v_addc_co_u32_e32 v43, vcc, v43, v3, vcc
	s_waitcnt vmcnt(1)
	global_store_dwordx2 v[42:43], v[40:41], off offset:768
	s_or_b64 exec, exec, s[58:59]
	s_and_saveexec_b64 s[58:59], s[40:41]
	s_cbranch_execz .LBB232_18
.LBB232_33:                             ;   in Loop: Header=BB232_13 Depth=1
	v_mov_b32_e32 v40, s33
	v_add_co_u32_e32 v42, vcc, s25, v22
	v_addc_co_u32_e32 v41, vcc, v40, v23, vcc
	v_add_co_u32_e32 v43, vcc, s25, v28
	v_addc_co_u32_e32 v40, vcc, v40, v29, vcc
	;; [unrolled: 2-line block ×3, first 2 shown]
	v_cndmask_b32_e64 v41, v40, v41, s[0:1]
	v_cndmask_b32_e64 v40, v43, v42, s[0:1]
	global_load_dwordx2 v[40:41], v[40:41], off
	v_mov_b32_e32 v43, s31
	v_add_co_u32_e32 v42, vcc, s30, v8
	v_addc_co_u32_e32 v43, vcc, v43, v9, vcc
	global_store_dword v[42:43], v39, off
	v_mov_b32_e32 v43, s19
	v_add_co_u32_e32 v42, vcc, s18, v10
	v_addc_co_u32_e32 v43, vcc, v43, v11, vcc
	s_waitcnt vmcnt(1)
	global_store_dwordx2 v[42:43], v[40:41], off
	s_or_b64 exec, exec, s[58:59]
	s_and_saveexec_b64 s[58:59], s[42:43]
	s_cbranch_execz .LBB232_19
.LBB232_34:                             ;   in Loop: Header=BB232_13 Depth=1
	v_cndmask_b32_e64 v40, v30, v22, s[0:1]
	v_cndmask_b32_e64 v41, v31, v23, s[0:1]
	v_mov_b32_e32 v42, s33
	v_add_co_u32_e32 v40, vcc, s25, v40
	v_addc_co_u32_e32 v41, vcc, v42, v41, vcc
	global_load_dwordx2 v[40:41], v[40:41], off offset:256
	v_mov_b32_e32 v43, s31
	v_add_co_u32_e32 v42, vcc, s30, v8
	v_addc_co_u32_e32 v43, vcc, v43, v9, vcc
	global_store_dword v[42:43], v37, off offset:128
	v_mov_b32_e32 v43, s19
	v_add_co_u32_e32 v42, vcc, s18, v10
	v_addc_co_u32_e32 v43, vcc, v43, v11, vcc
	s_waitcnt vmcnt(1)
	global_store_dwordx2 v[42:43], v[40:41], off offset:256
	s_or_b64 exec, exec, s[58:59]
	s_and_saveexec_b64 s[58:59], s[44:45]
	s_cbranch_execz .LBB232_20
.LBB232_35:                             ;   in Loop: Header=BB232_13 Depth=1
	v_mov_b32_e32 v40, s33
	v_add_co_u32_e32 v41, vcc, s25, v22
	v_addc_co_u32_e32 v42, vcc, v40, v23, vcc
	v_add_co_u32_e32 v43, vcc, 0x200, v41
	v_addc_co_u32_e32 v41, vcc, 0, v42, vcc
	;; [unrolled: 2-line block ×4, first 2 shown]
	v_cndmask_b32_e64 v41, v40, v41, s[0:1]
	v_cndmask_b32_e64 v40, v42, v43, s[0:1]
	global_load_dwordx2 v[40:41], v[40:41], off
	v_mov_b32_e32 v43, s31
	v_add_co_u32_e32 v42, vcc, s30, v8
	v_addc_co_u32_e32 v43, vcc, v43, v9, vcc
	global_store_dword v[42:43], v36, off offset:256
	v_mov_b32_e32 v43, s19
	v_add_co_u32_e32 v42, vcc, s18, v10
	v_addc_co_u32_e32 v43, vcc, v43, v11, vcc
	s_waitcnt vmcnt(1)
	global_store_dwordx2 v[42:43], v[40:41], off offset:512
	s_or_b64 exec, exec, s[58:59]
	s_and_saveexec_b64 s[58:59], s[6:7]
	s_cbranch_execz .LBB232_21
.LBB232_36:                             ;   in Loop: Header=BB232_13 Depth=1
	v_mov_b32_e32 v40, s33
	v_add_co_u32_e32 v41, vcc, s25, v22
	v_addc_co_u32_e32 v42, vcc, v40, v23, vcc
	v_add_co_u32_e32 v43, vcc, 0x300, v41
	v_addc_co_u32_e32 v41, vcc, 0, v42, vcc
	;; [unrolled: 2-line block ×4, first 2 shown]
	v_cndmask_b32_e64 v41, v40, v41, s[0:1]
	v_cndmask_b32_e64 v40, v42, v43, s[0:1]
	global_load_dwordx2 v[40:41], v[40:41], off
	v_mov_b32_e32 v43, s31
	v_add_co_u32_e32 v42, vcc, s30, v8
	v_addc_co_u32_e32 v43, vcc, v43, v9, vcc
	global_store_dword v[42:43], v38, off offset:384
	v_mov_b32_e32 v43, s19
	v_add_co_u32_e32 v42, vcc, s18, v10
	v_addc_co_u32_e32 v43, vcc, v43, v11, vcc
	s_waitcnt vmcnt(1)
	global_store_dwordx2 v[42:43], v[40:41], off offset:768
	s_or_b64 exec, exec, s[58:59]
	s_and_saveexec_b64 s[58:59], s[46:47]
	s_cbranch_execz .LBB232_22
.LBB232_37:                             ;   in Loop: Header=BB232_13 Depth=1
	v_mov_b32_e32 v40, s33
	v_add_co_u32_e32 v42, vcc, s25, v24
	v_addc_co_u32_e32 v41, vcc, v40, v25, vcc
	v_add_co_u32_e32 v43, vcc, s25, v28
	v_addc_co_u32_e32 v40, vcc, v40, v29, vcc
	;; [unrolled: 2-line block ×3, first 2 shown]
	v_cndmask_b32_e64 v41, v40, v41, s[0:1]
	v_cndmask_b32_e64 v40, v43, v42, s[0:1]
	global_load_dwordx2 v[40:41], v[40:41], off
	v_mov_b32_e32 v43, s31
	v_add_co_u32_e32 v42, vcc, s30, v14
	v_addc_co_u32_e32 v43, vcc, v43, v15, vcc
	global_store_dword v[42:43], v39, off
	v_mov_b32_e32 v43, s19
	v_add_co_u32_e32 v42, vcc, s18, v12
	v_addc_co_u32_e32 v43, vcc, v43, v13, vcc
	s_waitcnt vmcnt(1)
	global_store_dwordx2 v[42:43], v[40:41], off
	s_or_b64 exec, exec, s[58:59]
	s_and_saveexec_b64 s[58:59], s[48:49]
	s_cbranch_execz .LBB232_23
.LBB232_38:                             ;   in Loop: Header=BB232_13 Depth=1
	v_mov_b32_e32 v40, s33
	v_add_co_u32_e32 v41, vcc, s25, v24
	v_addc_co_u32_e32 v42, vcc, v40, v25, vcc
	v_add_co_u32_e32 v43, vcc, 0x100, v41
	v_addc_co_u32_e32 v41, vcc, 0, v42, vcc
	;; [unrolled: 2-line block ×4, first 2 shown]
	v_cndmask_b32_e64 v41, v40, v41, s[0:1]
	v_cndmask_b32_e64 v40, v42, v43, s[0:1]
	global_load_dwordx2 v[40:41], v[40:41], off
	v_mov_b32_e32 v43, s31
	v_add_co_u32_e32 v42, vcc, s30, v14
	v_addc_co_u32_e32 v43, vcc, v43, v15, vcc
	global_store_dword v[42:43], v37, off offset:128
	v_mov_b32_e32 v43, s19
	v_add_co_u32_e32 v42, vcc, s18, v12
	v_addc_co_u32_e32 v43, vcc, v43, v13, vcc
	s_waitcnt vmcnt(1)
	global_store_dwordx2 v[42:43], v[40:41], off offset:256
	s_or_b64 exec, exec, s[58:59]
	s_and_saveexec_b64 s[58:59], s[50:51]
	s_cbranch_execz .LBB232_24
.LBB232_39:                             ;   in Loop: Header=BB232_13 Depth=1
	v_cndmask_b32_e64 v40, v32, v24, s[0:1]
	v_cndmask_b32_e64 v41, v33, v25, s[0:1]
	v_mov_b32_e32 v42, s33
	v_add_co_u32_e32 v40, vcc, s25, v40
	v_addc_co_u32_e32 v41, vcc, v42, v41, vcc
	global_load_dwordx2 v[40:41], v[40:41], off offset:512
	v_mov_b32_e32 v43, s31
	v_add_co_u32_e32 v42, vcc, s30, v14
	v_addc_co_u32_e32 v43, vcc, v43, v15, vcc
	global_store_dword v[42:43], v36, off offset:256
	v_mov_b32_e32 v43, s19
	v_add_co_u32_e32 v42, vcc, s18, v12
	v_addc_co_u32_e32 v43, vcc, v43, v13, vcc
	s_waitcnt vmcnt(1)
	global_store_dwordx2 v[42:43], v[40:41], off offset:512
	s_or_b64 exec, exec, s[58:59]
	s_and_saveexec_b64 s[58:59], s[8:9]
	s_cbranch_execz .LBB232_25
.LBB232_40:                             ;   in Loop: Header=BB232_13 Depth=1
	v_mov_b32_e32 v40, s33
	v_add_co_u32_e32 v41, vcc, s25, v24
	v_addc_co_u32_e32 v42, vcc, v40, v25, vcc
	v_add_co_u32_e32 v43, vcc, 0x300, v41
	v_addc_co_u32_e32 v41, vcc, 0, v42, vcc
	;; [unrolled: 2-line block ×4, first 2 shown]
	v_cndmask_b32_e64 v41, v40, v41, s[0:1]
	v_cndmask_b32_e64 v40, v42, v43, s[0:1]
	global_load_dwordx2 v[40:41], v[40:41], off
	v_mov_b32_e32 v43, s31
	v_add_co_u32_e32 v42, vcc, s30, v14
	v_addc_co_u32_e32 v43, vcc, v43, v15, vcc
	global_store_dword v[42:43], v38, off offset:384
	v_mov_b32_e32 v43, s19
	v_add_co_u32_e32 v42, vcc, s18, v12
	v_addc_co_u32_e32 v43, vcc, v43, v13, vcc
	s_waitcnt vmcnt(1)
	global_store_dwordx2 v[42:43], v[40:41], off offset:768
	s_or_b64 exec, exec, s[58:59]
	s_and_saveexec_b64 s[58:59], s[52:53]
	s_cbranch_execz .LBB232_26
.LBB232_41:                             ;   in Loop: Header=BB232_13 Depth=1
	v_mov_b32_e32 v40, s33
	v_add_co_u32_e32 v42, vcc, s25, v26
	v_addc_co_u32_e32 v41, vcc, v40, v27, vcc
	v_add_co_u32_e32 v43, vcc, s25, v28
	v_addc_co_u32_e32 v40, vcc, v40, v29, vcc
	;; [unrolled: 2-line block ×3, first 2 shown]
	v_cndmask_b32_e64 v41, v40, v41, s[0:1]
	v_cndmask_b32_e64 v40, v43, v42, s[0:1]
	global_load_dwordx2 v[40:41], v[40:41], off
	v_mov_b32_e32 v43, s31
	v_add_co_u32_e32 v42, vcc, s30, v6
	v_addc_co_u32_e32 v43, vcc, v43, v7, vcc
	global_store_dword v[42:43], v39, off
	v_mov_b32_e32 v39, s19
	v_add_co_u32_e32 v42, vcc, s18, v4
	v_addc_co_u32_e32 v43, vcc, v39, v5, vcc
	s_waitcnt vmcnt(1)
	global_store_dwordx2 v[42:43], v[40:41], off
	s_or_b64 exec, exec, s[58:59]
	s_and_saveexec_b64 s[58:59], s[4:5]
	s_cbranch_execz .LBB232_27
.LBB232_42:                             ;   in Loop: Header=BB232_13 Depth=1
	v_mov_b32_e32 v39, s33
	v_add_co_u32_e32 v40, vcc, s25, v26
	v_addc_co_u32_e32 v41, vcc, v39, v27, vcc
	v_add_co_u32_e32 v40, vcc, 0x100, v40
	v_addc_co_u32_e32 v41, vcc, 0, v41, vcc
	;; [unrolled: 2-line block ×4, first 2 shown]
	v_cndmask_b32_e64 v41, v39, v41, s[0:1]
	v_cndmask_b32_e64 v40, v42, v40, s[0:1]
	global_load_dwordx2 v[40:41], v[40:41], off
	v_mov_b32_e32 v39, s31
	v_add_co_u32_e32 v42, vcc, s30, v6
	v_addc_co_u32_e32 v43, vcc, v39, v7, vcc
	global_store_dword v[42:43], v37, off offset:128
	v_mov_b32_e32 v37, s19
	v_add_co_u32_e32 v42, vcc, s18, v4
	v_addc_co_u32_e32 v43, vcc, v37, v5, vcc
	s_waitcnt vmcnt(1)
	global_store_dwordx2 v[42:43], v[40:41], off offset:256
	s_or_b64 exec, exec, s[58:59]
	s_and_saveexec_b64 s[58:59], s[12:13]
	s_cbranch_execz .LBB232_28
.LBB232_43:                             ;   in Loop: Header=BB232_13 Depth=1
	v_mov_b32_e32 v37, s33
	v_add_co_u32_e32 v39, vcc, s25, v26
	v_addc_co_u32_e32 v40, vcc, v37, v27, vcc
	v_add_co_u32_e32 v39, vcc, 0x200, v39
	v_addc_co_u32_e32 v40, vcc, 0, v40, vcc
	;; [unrolled: 2-line block ×4, first 2 shown]
	v_cndmask_b32_e64 v41, v37, v40, s[0:1]
	v_cndmask_b32_e64 v40, v42, v39, s[0:1]
	global_load_dwordx2 v[40:41], v[40:41], off
	v_mov_b32_e32 v37, s31
	v_add_co_u32_e32 v42, vcc, s30, v6
	v_addc_co_u32_e32 v43, vcc, v37, v7, vcc
	global_store_dword v[42:43], v36, off offset:256
	v_mov_b32_e32 v37, s19
	v_add_co_u32_e32 v36, vcc, s18, v4
	v_addc_co_u32_e32 v37, vcc, v37, v5, vcc
	s_waitcnt vmcnt(1)
	global_store_dwordx2 v[36:37], v[40:41], off offset:512
	s_or_b64 exec, exec, s[58:59]
	s_and_saveexec_b64 s[58:59], s[10:11]
	s_cbranch_execz .LBB232_12
.LBB232_44:                             ;   in Loop: Header=BB232_13 Depth=1
	v_cndmask_b32_e64 v36, v34, v26, s[0:1]
	v_cndmask_b32_e64 v37, v35, v27, s[0:1]
	v_mov_b32_e32 v39, s33
	v_add_co_u32_e32 v36, vcc, s25, v36
	v_addc_co_u32_e32 v37, vcc, v39, v37, vcc
	global_load_dwordx2 v[36:37], v[36:37], off offset:768
	v_mov_b32_e32 v39, s31
	v_add_co_u32_e32 v40, vcc, s30, v6
	v_addc_co_u32_e32 v41, vcc, v39, v7, vcc
	global_store_dword v[40:41], v38, off offset:384
	v_mov_b32_e32 v39, s19
	v_add_co_u32_e32 v38, vcc, s18, v4
	v_addc_co_u32_e32 v39, vcc, v39, v5, vcc
	s_waitcnt vmcnt(1)
	global_store_dwordx2 v[38:39], v[36:37], off offset:768
	s_branch .LBB232_12
.LBB232_45:
	s_endpgm
	.section	.rodata,"a",@progbits
	.p2align	6, 0x0
	.amdhsa_kernel _ZN9rocsparseL35bsr2csr_block_per_row_33_256_kernelILj1024ELj128ELj32EdliEEv20rocsparse_direction_T4_S2_21rocsparse_index_base_PKT2_PKT3_PKS2_S2_S3_PS4_PS7_PS2_
		.amdhsa_group_segment_fixed_size 0
		.amdhsa_private_segment_fixed_size 0
		.amdhsa_kernarg_size 72
		.amdhsa_user_sgpr_count 6
		.amdhsa_user_sgpr_private_segment_buffer 1
		.amdhsa_user_sgpr_dispatch_ptr 0
		.amdhsa_user_sgpr_queue_ptr 0
		.amdhsa_user_sgpr_kernarg_segment_ptr 1
		.amdhsa_user_sgpr_dispatch_id 0
		.amdhsa_user_sgpr_flat_scratch_init 0
		.amdhsa_user_sgpr_kernarg_preload_length 0
		.amdhsa_user_sgpr_kernarg_preload_offset 0
		.amdhsa_user_sgpr_private_segment_size 0
		.amdhsa_uses_dynamic_stack 0
		.amdhsa_system_sgpr_private_segment_wavefront_offset 0
		.amdhsa_system_sgpr_workgroup_id_x 1
		.amdhsa_system_sgpr_workgroup_id_y 0
		.amdhsa_system_sgpr_workgroup_id_z 0
		.amdhsa_system_sgpr_workgroup_info 0
		.amdhsa_system_vgpr_workitem_id 0
		.amdhsa_next_free_vgpr 44
		.amdhsa_next_free_sgpr 64
		.amdhsa_accum_offset 44
		.amdhsa_reserve_vcc 1
		.amdhsa_reserve_flat_scratch 0
		.amdhsa_float_round_mode_32 0
		.amdhsa_float_round_mode_16_64 0
		.amdhsa_float_denorm_mode_32 3
		.amdhsa_float_denorm_mode_16_64 3
		.amdhsa_dx10_clamp 1
		.amdhsa_ieee_mode 1
		.amdhsa_fp16_overflow 0
		.amdhsa_tg_split 0
		.amdhsa_exception_fp_ieee_invalid_op 0
		.amdhsa_exception_fp_denorm_src 0
		.amdhsa_exception_fp_ieee_div_zero 0
		.amdhsa_exception_fp_ieee_overflow 0
		.amdhsa_exception_fp_ieee_underflow 0
		.amdhsa_exception_fp_ieee_inexact 0
		.amdhsa_exception_int_div_zero 0
	.end_amdhsa_kernel
	.section	.text._ZN9rocsparseL35bsr2csr_block_per_row_33_256_kernelILj1024ELj128ELj32EdliEEv20rocsparse_direction_T4_S2_21rocsparse_index_base_PKT2_PKT3_PKS2_S2_S3_PS4_PS7_PS2_,"axG",@progbits,_ZN9rocsparseL35bsr2csr_block_per_row_33_256_kernelILj1024ELj128ELj32EdliEEv20rocsparse_direction_T4_S2_21rocsparse_index_base_PKT2_PKT3_PKS2_S2_S3_PS4_PS7_PS2_,comdat
.Lfunc_end232:
	.size	_ZN9rocsparseL35bsr2csr_block_per_row_33_256_kernelILj1024ELj128ELj32EdliEEv20rocsparse_direction_T4_S2_21rocsparse_index_base_PKT2_PKT3_PKS2_S2_S3_PS4_PS7_PS2_, .Lfunc_end232-_ZN9rocsparseL35bsr2csr_block_per_row_33_256_kernelILj1024ELj128ELj32EdliEEv20rocsparse_direction_T4_S2_21rocsparse_index_base_PKT2_PKT3_PKS2_S2_S3_PS4_PS7_PS2_
                                        ; -- End function
	.section	.AMDGPU.csdata,"",@progbits
; Kernel info:
; codeLenInByte = 3416
; NumSgprs: 68
; NumVgprs: 44
; NumAgprs: 0
; TotalNumVgprs: 44
; ScratchSize: 0
; MemoryBound: 0
; FloatMode: 240
; IeeeMode: 1
; LDSByteSize: 0 bytes/workgroup (compile time only)
; SGPRBlocks: 8
; VGPRBlocks: 5
; NumSGPRsForWavesPerEU: 68
; NumVGPRsForWavesPerEU: 44
; AccumOffset: 44
; Occupancy: 8
; WaveLimiterHint : 1
; COMPUTE_PGM_RSRC2:SCRATCH_EN: 0
; COMPUTE_PGM_RSRC2:USER_SGPR: 6
; COMPUTE_PGM_RSRC2:TRAP_HANDLER: 0
; COMPUTE_PGM_RSRC2:TGID_X_EN: 1
; COMPUTE_PGM_RSRC2:TGID_Y_EN: 0
; COMPUTE_PGM_RSRC2:TGID_Z_EN: 0
; COMPUTE_PGM_RSRC2:TIDIG_COMP_CNT: 0
; COMPUTE_PGM_RSRC3_GFX90A:ACCUM_OFFSET: 10
; COMPUTE_PGM_RSRC3_GFX90A:TG_SPLIT: 0
	.section	.text._ZN9rocsparseL35bsr2csr_block_per_row_33_256_kernelILj1024ELj256ELj32EdliEEv20rocsparse_direction_T4_S2_21rocsparse_index_base_PKT2_PKT3_PKS2_S2_S3_PS4_PS7_PS2_,"axG",@progbits,_ZN9rocsparseL35bsr2csr_block_per_row_33_256_kernelILj1024ELj256ELj32EdliEEv20rocsparse_direction_T4_S2_21rocsparse_index_base_PKT2_PKT3_PKS2_S2_S3_PS4_PS7_PS2_,comdat
	.globl	_ZN9rocsparseL35bsr2csr_block_per_row_33_256_kernelILj1024ELj256ELj32EdliEEv20rocsparse_direction_T4_S2_21rocsparse_index_base_PKT2_PKT3_PKS2_S2_S3_PS4_PS7_PS2_ ; -- Begin function _ZN9rocsparseL35bsr2csr_block_per_row_33_256_kernelILj1024ELj256ELj32EdliEEv20rocsparse_direction_T4_S2_21rocsparse_index_base_PKT2_PKT3_PKS2_S2_S3_PS4_PS7_PS2_
	.p2align	8
	.type	_ZN9rocsparseL35bsr2csr_block_per_row_33_256_kernelILj1024ELj256ELj32EdliEEv20rocsparse_direction_T4_S2_21rocsparse_index_base_PKT2_PKT3_PKS2_S2_S3_PS4_PS7_PS2_,@function
_ZN9rocsparseL35bsr2csr_block_per_row_33_256_kernelILj1024ELj256ELj32EdliEEv20rocsparse_direction_T4_S2_21rocsparse_index_base_PKT2_PKT3_PKS2_S2_S3_PS4_PS7_PS2_: ; @_ZN9rocsparseL35bsr2csr_block_per_row_33_256_kernelILj1024ELj256ELj32EdliEEv20rocsparse_direction_T4_S2_21rocsparse_index_base_PKT2_PKT3_PKS2_S2_S3_PS4_PS7_PS2_
; %bb.0:
	s_load_dwordx2 s[0:1], s[4:5], 0x18
	s_load_dwordx2 s[36:37], s[4:5], 0x28
	;; [unrolled: 1-line block ×3, first 2 shown]
	s_ashr_i32 s7, s6, 31
	s_lshl_b64 s[2:3], s[6:7], 3
	s_waitcnt lgkmcnt(0)
	s_add_u32 s0, s0, s2
	s_addc_u32 s1, s1, s3
	s_load_dwordx4 s[20:23], s[0:1], 0x0
	v_or_b32_e32 v1, s6, v0
	s_mov_b32 s39, 0
	v_cmp_eq_u32_e32 vcc, 0, v1
	s_mov_b32 s38, s37
	s_and_saveexec_b64 s[0:1], vcc
	s_cbranch_execz .LBB233_2
; %bb.1:
	v_mov_b32_e32 v1, 0
	v_pk_mov_b32 v[2:3], s[38:39], s[38:39] op_sel:[0,1]
	global_store_dwordx2 v1, v[2:3], s[8:9]
.LBB233_2:
	s_or_b64 exec, exec, s[0:1]
	s_load_dword s1, s[4:5], 0xc
	s_mul_i32 s37, s36, s36
                                        ; implicit-def: $vgpr80 : SGPR spill to VGPR lane
	v_lshrrev_b32_e32 v18, 5, v0
	s_mul_i32 s28, s6, s36
	v_cmp_gt_i32_e64 s[2:3], s36, v18
	s_waitcnt lgkmcnt(0)
	s_sub_u32 s48, s20, s1
	s_subb_u32 s49, s21, 0
	s_mul_hi_u32 s0, s48, s37
	v_writelane_b32 v80, s1, 0
	s_sub_u32 s42, s22, s1
	s_mul_i32 s1, s49, s37
	s_subb_u32 s43, s23, 0
	s_add_i32 s45, s0, s1
	s_sub_u32 s39, s42, s48
	s_subb_u32 s33, s43, s49
	s_mul_i32 s0, s33, s36
	s_mul_hi_u32 s1, s39, s36
	s_mul_i32 s44, s48, s37
	s_add_i32 s26, s1, s0
	s_add_u32 s0, s44, s38
	s_mul_i32 s27, s39, s36
	s_addc_u32 s1, s45, 0
	s_add_u32 s0, s0, s27
	s_addc_u32 s1, s1, s26
	s_and_saveexec_b64 s[6:7], s[2:3]
	s_cbranch_execz .LBB233_4
; %bb.3:
	v_pk_mov_b32 v[2:3], s[0:1], s[0:1] op_sel:[0,1]
	v_mad_u64_u32 v[2:3], s[10:11], s27, v18, v[2:3]
	v_mov_b32_e32 v4, v3
	v_mad_u64_u32 v[4:5], s[10:11], s26, v18, v[4:5]
	v_mov_b32_e32 v3, v4
	v_add_u32_e32 v4, s28, v18
	v_ashrrev_i32_e32 v5, 31, v4
	v_lshlrev_b64 v[4:5], 3, v[4:5]
	v_mov_b32_e32 v1, s9
	v_add_co_u32_e32 v4, vcc, s8, v4
	v_addc_co_u32_e32 v5, vcc, v1, v5, vcc
	global_store_dwordx2 v[4:5], v[2:3], off offset:8
.LBB233_4:
	s_or_b64 exec, exec, s[6:7]
	s_add_u32 s29, s8, 8
	v_or_b32_e32 v1, 32, v18
	s_addc_u32 s30, s9, 0
	v_cmp_gt_i32_e64 s[6:7], s36, v1
	s_and_saveexec_b64 s[8:9], s[6:7]
	s_cbranch_execz .LBB233_6
; %bb.5:
	v_pk_mov_b32 v[2:3], s[0:1], s[0:1] op_sel:[0,1]
	v_mad_u64_u32 v[2:3], s[10:11], s27, v1, v[2:3]
	v_mov_b32_e32 v4, v3
	v_mad_u64_u32 v[4:5], s[10:11], s26, v1, v[4:5]
	s_ashr_i32 s10, s28, 31
	v_mov_b32_e32 v3, v4
	v_mov_b32_e32 v5, s10
	v_add_co_u32_e32 v4, vcc, s28, v18
	v_addc_co_u32_e32 v5, vcc, 0, v5, vcc
	v_lshlrev_b64 v[4:5], 3, v[4:5]
	v_mov_b32_e32 v6, s30
	v_add_co_u32_e32 v4, vcc, s29, v4
	v_addc_co_u32_e32 v5, vcc, v6, v5, vcc
	global_store_dwordx2 v[4:5], v[2:3], off offset:256
.LBB233_6:
	s_or_b64 exec, exec, s[8:9]
	v_or_b32_e32 v19, 64, v18
	v_cmp_gt_i32_e64 s[8:9], s36, v19
	s_and_saveexec_b64 s[10:11], s[8:9]
	s_cbranch_execz .LBB233_8
; %bb.7:
	v_pk_mov_b32 v[2:3], s[0:1], s[0:1] op_sel:[0,1]
	v_mad_u64_u32 v[2:3], s[12:13], s27, v19, v[2:3]
	v_mov_b32_e32 v4, v3
	v_mad_u64_u32 v[4:5], s[12:13], s26, v19, v[4:5]
	s_ashr_i32 s12, s28, 31
	v_mov_b32_e32 v3, v4
	v_mov_b32_e32 v5, s12
	v_add_co_u32_e32 v4, vcc, s28, v18
	v_addc_co_u32_e32 v5, vcc, 0, v5, vcc
	v_lshlrev_b64 v[4:5], 3, v[4:5]
	v_mov_b32_e32 v6, s30
	v_add_co_u32_e32 v4, vcc, s29, v4
	v_addc_co_u32_e32 v5, vcc, v6, v5, vcc
	global_store_dwordx2 v[4:5], v[2:3], off offset:512
.LBB233_8:
	s_or_b64 exec, exec, s[10:11]
	v_or_b32_e32 v20, 0x60, v18
	;; [unrolled: 21-line block ×6, first 2 shown]
	v_cmp_gt_i32_e64 s[18:19], s36, v24
	s_and_saveexec_b64 s[24:25], s[18:19]
	s_cbranch_execz .LBB233_18
; %bb.17:
	v_pk_mov_b32 v[2:3], s[0:1], s[0:1] op_sel:[0,1]
	v_mad_u64_u32 v[2:3], s[0:1], s27, v24, v[2:3]
	v_mov_b32_e32 v4, v3
	v_mad_u64_u32 v[4:5], s[0:1], s26, v24, v[4:5]
	s_ashr_i32 s0, s28, 31
	v_mov_b32_e32 v3, v4
	v_mov_b32_e32 v5, s0
	v_add_co_u32_e32 v4, vcc, s28, v18
	v_addc_co_u32_e32 v5, vcc, 0, v5, vcc
	v_lshlrev_b64 v[4:5], 3, v[4:5]
	v_mov_b32_e32 v6, s30
	v_add_co_u32_e32 v4, vcc, s29, v4
	v_addc_co_u32_e32 v5, vcc, v6, v5, vcc
	global_store_dwordx2 v[4:5], v[2:3], off offset:1792
.LBB233_18:
	s_or_b64 exec, exec, s[24:25]
	v_pk_mov_b32 v[2:3], s[22:23], s[22:23] op_sel:[0,1]
	v_cmp_lt_i64_e32 vcc, s[20:21], v[2:3]
	s_cbranch_vccz .LBB233_149
; %bb.19:
	s_load_dword s0, s[4:5], 0x0
	s_load_dwordx2 s[46:47], s[4:5], 0x30
	s_load_dwordx2 s[22:23], s[4:5], 0x10
	v_and_b32_e32 v0, 31, v0
	v_cmp_gt_i32_e32 vcc, s36, v0
	v_or_b32_e32 v52, 32, v0
	s_waitcnt lgkmcnt(0)
	s_cmp_eq_u32 s0, 0
	v_writelane_b32 v80, s22, 1
	v_writelane_b32 v80, s23, 2
	s_cselect_b64 s[0:1], -1, 0
	s_and_b64 s[40:41], s[2:3], vcc
	v_cmp_gt_i32_e64 s[20:21], s36, v52
	v_writelane_b32 v80, s40, 3
	v_or_b32_e32 v53, 64, v0
	v_writelane_b32 v80, s41, 4
	s_and_b64 s[40:41], s[2:3], s[20:21]
	v_cmp_gt_i32_e64 s[22:23], s36, v53
	v_writelane_b32 v80, s40, 5
	v_or_b32_e32 v54, 0x60, v0
	v_writelane_b32 v80, s41, 6
	s_and_b64 s[40:41], s[2:3], s[22:23]
	;; [unrolled: 5-line block ×6, first 2 shown]
	v_cmp_gt_i32_e64 s[34:35], s36, v58
	v_writelane_b32 v80, s40, 15
	v_writelane_b32 v80, s41, 16
	s_and_b64 s[2:3], s[2:3], s[34:35]
	v_writelane_b32 v80, s2, 17
	v_writelane_b32 v80, s3, 18
	s_and_b64 s[2:3], s[6:7], vcc
	v_writelane_b32 v80, s2, 19
	v_writelane_b32 v80, s3, 20
	s_and_b64 s[2:3], s[6:7], s[20:21]
	v_writelane_b32 v80, s2, 21
	v_writelane_b32 v80, s3, 22
	s_and_b64 s[2:3], s[6:7], s[22:23]
	v_writelane_b32 v80, s2, 23
	v_writelane_b32 v80, s3, 24
	s_and_b64 s[2:3], s[6:7], s[24:25]
	v_writelane_b32 v80, s2, 25
	v_writelane_b32 v80, s3, 26
	s_and_b64 s[2:3], s[6:7], s[26:27]
	v_writelane_b32 v80, s2, 27
	v_writelane_b32 v80, s3, 28
	s_and_b64 s[2:3], s[6:7], s[28:29]
	v_writelane_b32 v80, s2, 29
	v_writelane_b32 v80, s3, 30
	s_and_b64 s[2:3], s[6:7], s[30:31]
	v_writelane_b32 v80, s2, 31
	v_writelane_b32 v80, s3, 32
	s_and_b64 s[2:3], s[6:7], s[34:35]
	v_writelane_b32 v80, s2, 33
	v_writelane_b32 v80, s3, 34
	s_and_b64 s[2:3], s[8:9], vcc
	v_writelane_b32 v80, s2, 35
	v_writelane_b32 v80, s3, 36
	s_and_b64 s[2:3], s[8:9], s[20:21]
	v_writelane_b32 v80, s2, 37
	v_writelane_b32 v80, s3, 38
	s_and_b64 s[2:3], s[8:9], s[22:23]
	v_writelane_b32 v80, s2, 39
	v_writelane_b32 v80, s3, 40
	s_and_b64 s[2:3], s[8:9], s[24:25]
	v_writelane_b32 v80, s2, 41
	v_writelane_b32 v80, s3, 42
	s_and_b64 s[2:3], s[8:9], s[26:27]
	v_writelane_b32 v80, s2, 43
	v_writelane_b32 v80, s3, 44
	s_and_b64 s[2:3], s[8:9], s[28:29]
	v_writelane_b32 v80, s2, 45
	v_writelane_b32 v80, s3, 46
	s_and_b64 s[2:3], s[8:9], s[30:31]
	;; [unrolled: 24-line block ×3, first 2 shown]
                                        ; implicit-def: $vgpr79 : SGPR spill to VGPR lane
	v_writelane_b32 v80, s2, 63
	v_writelane_b32 v79, s3, 0
	s_and_b64 s[2:3], s[10:11], s[34:35]
	v_writelane_b32 v79, s2, 1
	v_writelane_b32 v79, s3, 2
	s_and_b64 s[2:3], s[12:13], vcc
	v_writelane_b32 v79, s2, 3
	v_writelane_b32 v79, s3, 4
	s_and_b64 s[2:3], s[12:13], s[20:21]
	v_writelane_b32 v79, s2, 5
	v_writelane_b32 v79, s3, 6
	s_and_b64 s[2:3], s[12:13], s[22:23]
	;; [unrolled: 3-line block ×7, first 2 shown]
	v_writelane_b32 v79, s2, 17
	v_writelane_b32 v79, s3, 18
	s_and_b64 s[2:3], s[14:15], vcc
	v_writelane_b32 v79, s2, 19
	v_writelane_b32 v79, s3, 20
	s_and_b64 s[2:3], s[14:15], s[20:21]
	v_writelane_b32 v79, s2, 21
	v_writelane_b32 v79, s3, 22
	s_and_b64 s[2:3], s[14:15], s[22:23]
	;; [unrolled: 3-line block ×7, first 2 shown]
	s_and_b64 s[82:83], s[16:17], vcc
	s_and_b64 s[84:85], s[16:17], s[20:21]
	s_and_b64 s[86:87], s[16:17], s[22:23]
	;; [unrolled: 1-line block ×7, first 2 shown]
	s_and_b64 s[94:95], s[18:19], vcc
	s_and_b64 s[20:21], s[18:19], s[20:21]
	s_and_b64 s[22:23], s[18:19], s[22:23]
	s_and_b64 s[24:25], s[18:19], s[24:25]
	s_and_b64 s[26:27], s[18:19], s[26:27]
	s_and_b64 s[28:29], s[18:19], s[28:29]
	s_and_b64 s[30:31], s[18:19], s[30:31]
	s_and_b64 s[18:19], s[18:19], s[34:35]
	v_mad_u64_u32 v[8:9], s[2:3], s39, v20, 0
	v_mad_u64_u32 v[12:13], s[2:3], s39, v22, 0
	s_load_dwordx2 s[34:35], s[4:5], 0x20
	s_nop 0
	s_load_dwordx2 s[4:5], s[4:5], 0x40
	v_mad_u64_u32 v[2:3], s[2:3], s39, v18, 0
	v_mad_u64_u32 v[4:5], s[2:3], s39, v1, 0
	;; [unrolled: 1-line block ×6, first 2 shown]
	v_mov_b32_e32 v32, v9
	v_mov_b32_e32 v34, v13
	;; [unrolled: 1-line block ×5, first 2 shown]
	v_mad_u64_u32 v[32:33], s[2:3], s33, v20, v[32:33]
	v_mov_b32_e32 v20, v11
	v_mad_u64_u32 v[34:35], s[2:3], s33, v22, v[34:35]
	v_mov_b32_e32 v22, v15
	v_mov_b32_e32 v36, v17
	v_mad_u64_u32 v[26:27], s[2:3], s33, v18, v[26:27]
	v_mad_u64_u32 v[28:29], s[2:3], s33, v1, v[28:29]
	v_mad_u64_u32 v[30:31], s[2:3], s33, v19, v[30:31]
	v_mad_u64_u32 v[20:21], s[2:3], s33, v21, v[20:21]
	v_mad_u64_u32 v[22:23], s[2:3], s33, v23, v[22:23]
	v_mad_u64_u32 v[24:25], s[2:3], s33, v24, v[36:37]
	s_lshl_b32 s2, s36, 5
	s_waitcnt lgkmcnt(0)
	s_add_u32 s39, s4, 0x80
	s_addc_u32 s33, s5, 0
	s_add_u32 s52, s46, 0x100
	s_addc_u32 s53, s47, 0
	s_add_u32 s54, s4, 0x100
	s_addc_u32 s55, s5, 0
	s_add_u32 s56, s46, 0x200
	s_addc_u32 s57, s47, 0
	s_add_u32 s10, s4, 0x180
	v_mul_lo_u32 v36, v0, s36
	v_mul_lo_u32 v60, v18, s36
	s_addc_u32 s11, s5, 0
	v_add_u32_e32 v38, s2, v36
	v_add_u32_e32 v62, s2, v60
	s_add_u32 s58, s46, 0x300
	v_add_u32_e32 v40, s2, v38
	v_add_u32_e32 v64, s2, v62
	s_addc_u32 s59, s47, 0
	v_add_u32_e32 v42, s2, v40
	v_add_u32_e32 v66, s2, v64
	s_add_u32 s60, s4, 0x200
	v_add_u32_e32 v44, s2, v42
	v_add_u32_e32 v68, s2, v66
	;; [unrolled: 6-line block ×3, first 2 shown]
	s_addc_u32 s63, s47, 0
	v_add_u32_e32 v50, s2, v48
	v_add_u32_e32 v74, s2, v72
	s_add_u32 s2, s4, 0x280
	s_addc_u32 s3, s5, 0
	s_add_u32 s64, s46, 0x500
	s_addc_u32 s65, s47, 0
	;; [unrolled: 2-line block ×4, first 2 shown]
	s_add_u32 s12, s4, 0x380
	v_mov_b32_e32 v37, 0
	s_addc_u32 s13, s5, 0
	v_mov_b32_e32 v39, v37
	v_mov_b32_e32 v41, v37
	;; [unrolled: 1-line block ×15, first 2 shown]
	s_add_u32 s70, s46, 0x700
	v_mov_b32_e32 v1, v26
	v_mov_b32_e32 v3, v28
	;; [unrolled: 1-line block ×8, first 2 shown]
	v_lshlrev_b32_e32 v59, 3, v18
	v_lshlrev_b64 v[18:19], 3, v[60:61]
	v_lshlrev_b64 v[20:21], 3, v[62:63]
	;; [unrolled: 1-line block ×16, first 2 shown]
	s_addc_u32 s71, s47, 0
	s_movk_i32 s72, 0x100
	s_movk_i32 s73, 0x200
	;; [unrolled: 1-line block ×7, first 2 shown]
	s_mov_b64 s[40:41], s[48:49]
	s_branch .LBB233_21
.LBB233_20:                             ;   in Loop: Header=BB233_21 Depth=1
	s_or_b64 exec, exec, s[50:51]
	s_add_u32 s40, s40, 1
	s_addc_u32 s41, s41, 0
	v_pk_mov_b32 v[50:51], s[42:43], s[42:43] op_sel:[0,1]
	v_cmp_ge_i64_e32 vcc, s[40:41], v[50:51]
	s_cbranch_vccnz .LBB233_149
.LBB233_21:                             ; =>This Inner Loop Header: Depth=1
	s_lshl_b64 s[50:51], s[40:41], 2
	s_add_u32 s50, s34, s50
	s_addc_u32 s51, s35, s51
	s_load_dword s7, s[50:51], 0x0
	v_readlane_b32 s78, v80, 0
	s_mul_i32 s50, s41, s37
	s_mul_hi_u32 s51, s40, s37
	v_readlane_b32 vcc_lo, v80, 1
	s_waitcnt lgkmcnt(0)
	s_sub_i32 s7, s7, s78
	s_sub_u32 s78, s40, s48
	s_mul_i32 s81, s7, s36
	s_subb_u32 s80, s41, s49
	s_add_i32 s51, s51, s50
	s_mul_i32 s50, s40, s37
	s_add_i32 s81, s81, s38
	s_lshl_b64 s[50:51], s[50:51], 3
	v_readlane_b32 vcc_hi, v80, 2
	s_add_u32 s7, vcc_lo, s50
	s_addc_u32 s79, vcc_hi, s51
	v_add_co_u32_e32 v60, vcc, s78, v2
	v_pk_mov_b32 v[50:51], s[44:45], s[44:45] op_sel:[0,1]
	v_mov_b32_e32 v17, s80
	v_mad_u64_u32 v[50:51], s[50:51], v60, s36, v[50:51]
	v_addc_co_u32_e32 v17, vcc, v1, v17, vcc
	v_mov_b32_e32 v60, v51
	v_mad_u64_u32 v[60:61], s[50:51], v17, s36, v[60:61]
	v_mov_b32_e32 v17, v60
	v_mov_b32_e32 v51, s79
	v_add_co_u32_e32 v60, vcc, s7, v59
	v_addc_co_u32_e32 v61, vcc, 0, v51, vcc
	v_mov_b32_e32 v62, s79
	v_add_co_u32_e32 v51, vcc, s7, v18
	v_add_u32_e32 v63, s81, v0
	v_addc_co_u32_e32 v71, vcc, v62, v19, vcc
	v_lshlrev_b32_e32 v62, 3, v0
	s_mov_b64 s[50:51], exec
	v_readlane_b32 vcc_lo, v80, 3
	v_readlane_b32 vcc_hi, v80, 4
	s_and_b64 vcc, s[50:51], vcc
	s_mov_b64 exec, vcc
	s_cbranch_execz .LBB233_23
; %bb.22:                               ;   in Loop: Header=BB233_21 Depth=1
	v_add_co_u32_e32 v64, vcc, v51, v62
	v_addc_co_u32_e32 v65, vcc, 0, v71, vcc
	v_add_co_u32_e32 v66, vcc, v60, v34
	v_addc_co_u32_e32 v67, vcc, v61, v35, vcc
	v_cndmask_b32_e64 v65, v67, v65, s[0:1]
	v_cndmask_b32_e64 v64, v66, v64, s[0:1]
	global_load_dwordx2 v[64:65], v[64:65], off
	v_add_co_u32_e32 v66, vcc, v50, v0
	v_addc_co_u32_e32 v67, vcc, 0, v17, vcc
	v_lshlrev_b64 v[68:69], 2, v[66:67]
	v_mov_b32_e32 v70, s5
	v_add_co_u32_e32 v68, vcc, s4, v68
	v_addc_co_u32_e32 v69, vcc, v70, v69, vcc
	v_lshlrev_b64 v[66:67], 3, v[66:67]
	global_store_dword v[68:69], v63, off
	v_mov_b32_e32 v68, s47
	v_add_co_u32_e32 v66, vcc, s46, v66
	v_addc_co_u32_e32 v67, vcc, v68, v67, vcc
	s_waitcnt vmcnt(1)
	global_store_dwordx2 v[66:67], v[64:65], off
.LBB233_23:                             ;   in Loop: Header=BB233_21 Depth=1
	s_or_b64 exec, exec, s[50:51]
	v_add_u32_e32 v69, s81, v52
	s_mov_b64 s[50:51], exec
	v_readlane_b32 vcc_lo, v80, 5
	v_readlane_b32 vcc_hi, v80, 6
	s_and_b64 vcc, s[50:51], vcc
	s_mov_b64 exec, vcc
	s_cbranch_execz .LBB233_25
; %bb.24:                               ;   in Loop: Header=BB233_21 Depth=1
	v_add_co_u32_e32 v64, vcc, v51, v62
	v_addc_co_u32_e32 v65, vcc, 0, v71, vcc
	v_add_co_u32_e32 v64, vcc, s72, v64
	v_addc_co_u32_e32 v65, vcc, 0, v65, vcc
	v_add_co_u32_e32 v66, vcc, v60, v36
	v_addc_co_u32_e32 v67, vcc, v61, v37, vcc
	v_cndmask_b32_e64 v65, v67, v65, s[0:1]
	v_cndmask_b32_e64 v64, v66, v64, s[0:1]
	global_load_dwordx2 v[64:65], v[64:65], off
	v_add_co_u32_e32 v66, vcc, v50, v0
	v_addc_co_u32_e32 v67, vcc, 0, v17, vcc
	v_lshlrev_b64 v[72:73], 2, v[66:67]
	v_mov_b32_e32 v68, s33
	v_add_co_u32_e32 v72, vcc, s39, v72
	v_addc_co_u32_e32 v73, vcc, v68, v73, vcc
	v_lshlrev_b64 v[66:67], 3, v[66:67]
	v_mov_b32_e32 v68, s53
	v_add_co_u32_e32 v66, vcc, s52, v66
	v_addc_co_u32_e32 v67, vcc, v68, v67, vcc
	global_store_dword v[72:73], v69, off
	s_waitcnt vmcnt(1)
	global_store_dwordx2 v[66:67], v[64:65], off
.LBB233_25:                             ;   in Loop: Header=BB233_21 Depth=1
	s_or_b64 exec, exec, s[50:51]
	v_add_u32_e32 v68, s81, v53
	s_mov_b64 s[50:51], exec
	v_readlane_b32 vcc_lo, v80, 7
	v_readlane_b32 vcc_hi, v80, 8
	s_and_b64 vcc, s[50:51], vcc
	s_mov_b64 exec, vcc
	s_cbranch_execz .LBB233_27
; %bb.26:                               ;   in Loop: Header=BB233_21 Depth=1
	v_add_co_u32_e32 v64, vcc, v51, v62
	v_addc_co_u32_e32 v65, vcc, 0, v71, vcc
	v_add_co_u32_e32 v64, vcc, s73, v64
	v_addc_co_u32_e32 v65, vcc, 0, v65, vcc
	v_add_co_u32_e32 v66, vcc, v60, v38
	v_addc_co_u32_e32 v67, vcc, v61, v39, vcc
	v_cndmask_b32_e64 v65, v67, v65, s[0:1]
	v_cndmask_b32_e64 v64, v66, v64, s[0:1]
	global_load_dwordx2 v[64:65], v[64:65], off
	v_add_co_u32_e32 v66, vcc, v50, v0
	v_addc_co_u32_e32 v67, vcc, 0, v17, vcc
	v_lshlrev_b64 v[72:73], 2, v[66:67]
	v_mov_b32_e32 v70, s55
	v_add_co_u32_e32 v72, vcc, s54, v72
	v_addc_co_u32_e32 v73, vcc, v70, v73, vcc
	v_lshlrev_b64 v[66:67], 3, v[66:67]
	v_mov_b32_e32 v70, s57
	v_add_co_u32_e32 v66, vcc, s56, v66
	v_addc_co_u32_e32 v67, vcc, v70, v67, vcc
	global_store_dword v[72:73], v68, off
	s_waitcnt vmcnt(1)
	global_store_dwordx2 v[66:67], v[64:65], off
.LBB233_27:                             ;   in Loop: Header=BB233_21 Depth=1
	;; [unrolled: 32-line block ×7, first 2 shown]
	s_or_b64 exec, exec, s[50:51]
	v_add_co_u32_e32 v71, vcc, s78, v4
	v_pk_mov_b32 v[50:51], s[44:45], s[44:45] op_sel:[0,1]
	v_mov_b32_e32 v17, s80
	v_mad_u64_u32 v[50:51], s[50:51], v71, s36, v[50:51]
	v_addc_co_u32_e32 v17, vcc, v3, v17, vcc
	v_mov_b32_e32 v72, v51
	v_mad_u64_u32 v[72:73], s[50:51], v17, s36, v[72:73]
	v_mov_b32_e32 v71, s79
	v_add_co_u32_e32 v51, vcc, s7, v20
	v_mov_b32_e32 v17, v72
	v_addc_co_u32_e32 v71, vcc, v71, v21, vcc
	s_mov_b64 s[50:51], exec
	v_readlane_b32 vcc_lo, v80, 19
	v_readlane_b32 vcc_hi, v80, 20
	s_and_b64 vcc, s[50:51], vcc
	s_mov_b64 exec, vcc
	s_cbranch_execz .LBB233_39
; %bb.38:                               ;   in Loop: Header=BB233_21 Depth=1
	v_add_co_u32_e32 v72, vcc, v51, v62
	v_addc_co_u32_e32 v73, vcc, 0, v71, vcc
	v_add_co_u32_e32 v74, vcc, v60, v34
	v_addc_co_u32_e32 v75, vcc, v61, v35, vcc
	;; [unrolled: 2-line block ×3, first 2 shown]
	v_cndmask_b32_e64 v73, v75, v73, s[0:1]
	v_cndmask_b32_e64 v72, v74, v72, s[0:1]
	global_load_dwordx2 v[72:73], v[72:73], off
	v_add_co_u32_e32 v74, vcc, v50, v0
	v_addc_co_u32_e32 v75, vcc, 0, v17, vcc
	v_lshlrev_b64 v[76:77], 2, v[74:75]
	v_mov_b32_e32 v78, s5
	v_add_co_u32_e32 v76, vcc, s4, v76
	v_addc_co_u32_e32 v77, vcc, v78, v77, vcc
	v_lshlrev_b64 v[74:75], 3, v[74:75]
	global_store_dword v[76:77], v63, off
	v_mov_b32_e32 v76, s47
	v_add_co_u32_e32 v74, vcc, s46, v74
	v_addc_co_u32_e32 v75, vcc, v76, v75, vcc
	s_waitcnt vmcnt(1)
	global_store_dwordx2 v[74:75], v[72:73], off
.LBB233_39:                             ;   in Loop: Header=BB233_21 Depth=1
	s_or_b64 exec, exec, s[50:51]
	s_mov_b64 s[50:51], exec
	v_readlane_b32 vcc_lo, v80, 21
	v_readlane_b32 vcc_hi, v80, 22
	s_and_b64 vcc, s[50:51], vcc
	s_mov_b64 exec, vcc
	s_cbranch_execz .LBB233_41
; %bb.40:                               ;   in Loop: Header=BB233_21 Depth=1
	v_add_co_u32_e32 v72, vcc, v51, v62
	v_addc_co_u32_e32 v73, vcc, 0, v71, vcc
	v_add_co_u32_e32 v74, vcc, v60, v36
	v_addc_co_u32_e32 v75, vcc, v61, v37, vcc
	v_cndmask_b32_e64 v73, v75, v73, s[0:1]
	v_cndmask_b32_e64 v72, v74, v72, s[0:1]
	global_load_dwordx2 v[72:73], v[72:73], off offset:256
	v_add_co_u32_e32 v74, vcc, v50, v0
	v_addc_co_u32_e32 v75, vcc, 0, v17, vcc
	v_lshlrev_b64 v[76:77], 2, v[74:75]
	v_mov_b32_e32 v78, s33
	v_add_co_u32_e32 v76, vcc, s39, v76
	v_addc_co_u32_e32 v77, vcc, v78, v77, vcc
	v_lshlrev_b64 v[74:75], 3, v[74:75]
	global_store_dword v[76:77], v69, off
	v_mov_b32_e32 v76, s53
	v_add_co_u32_e32 v74, vcc, s52, v74
	v_addc_co_u32_e32 v75, vcc, v76, v75, vcc
	s_waitcnt vmcnt(1)
	global_store_dwordx2 v[74:75], v[72:73], off
.LBB233_41:                             ;   in Loop: Header=BB233_21 Depth=1
	s_or_b64 exec, exec, s[50:51]
	s_mov_b64 s[50:51], exec
	v_readlane_b32 vcc_lo, v80, 23
	v_readlane_b32 vcc_hi, v80, 24
	s_and_b64 vcc, s[50:51], vcc
	s_mov_b64 exec, vcc
	s_cbranch_execz .LBB233_43
; %bb.42:                               ;   in Loop: Header=BB233_21 Depth=1
	v_add_co_u32_e32 v72, vcc, v51, v62
	v_addc_co_u32_e32 v73, vcc, 0, v71, vcc
	v_add_co_u32_e32 v72, vcc, s73, v72
	v_addc_co_u32_e32 v73, vcc, 0, v73, vcc
	v_add_co_u32_e32 v74, vcc, v60, v38
	v_addc_co_u32_e32 v75, vcc, v61, v39, vcc
	v_add_co_u32_e32 v74, vcc, 0x100, v74
	v_addc_co_u32_e32 v75, vcc, 0, v75, vcc
	v_cndmask_b32_e64 v73, v75, v73, s[0:1]
	v_cndmask_b32_e64 v72, v74, v72, s[0:1]
	global_load_dwordx2 v[72:73], v[72:73], off
	v_add_co_u32_e32 v74, vcc, v50, v0
	v_addc_co_u32_e32 v75, vcc, 0, v17, vcc
	v_lshlrev_b64 v[76:77], 2, v[74:75]
	v_mov_b32_e32 v78, s55
	v_add_co_u32_e32 v76, vcc, s54, v76
	v_addc_co_u32_e32 v77, vcc, v78, v77, vcc
	v_lshlrev_b64 v[74:75], 3, v[74:75]
	global_store_dword v[76:77], v68, off
	v_mov_b32_e32 v76, s57
	v_add_co_u32_e32 v74, vcc, s56, v74
	v_addc_co_u32_e32 v75, vcc, v76, v75, vcc
	s_waitcnt vmcnt(1)
	global_store_dwordx2 v[74:75], v[72:73], off
.LBB233_43:                             ;   in Loop: Header=BB233_21 Depth=1
	s_or_b64 exec, exec, s[50:51]
	s_mov_b64 s[50:51], exec
	v_readlane_b32 vcc_lo, v80, 25
	v_readlane_b32 vcc_hi, v80, 26
	s_and_b64 vcc, s[50:51], vcc
	s_mov_b64 exec, vcc
	s_cbranch_execz .LBB233_45
; %bb.44:                               ;   in Loop: Header=BB233_21 Depth=1
	v_add_co_u32_e32 v72, vcc, v51, v62
	v_addc_co_u32_e32 v73, vcc, 0, v71, vcc
	v_add_co_u32_e32 v72, vcc, s74, v72
	v_addc_co_u32_e32 v73, vcc, 0, v73, vcc
	v_add_co_u32_e32 v74, vcc, v60, v40
	v_addc_co_u32_e32 v75, vcc, v61, v41, vcc
	v_add_co_u32_e32 v74, vcc, 0x100, v74
	v_addc_co_u32_e32 v75, vcc, 0, v75, vcc
	v_cndmask_b32_e64 v73, v75, v73, s[0:1]
	v_cndmask_b32_e64 v72, v74, v72, s[0:1]
	global_load_dwordx2 v[72:73], v[72:73], off
	v_add_co_u32_e32 v74, vcc, v50, v0
	v_addc_co_u32_e32 v75, vcc, 0, v17, vcc
	v_lshlrev_b64 v[76:77], 2, v[74:75]
	v_mov_b32_e32 v78, s11
	v_add_co_u32_e32 v76, vcc, s10, v76
	v_addc_co_u32_e32 v77, vcc, v78, v77, vcc
	v_lshlrev_b64 v[74:75], 3, v[74:75]
	global_store_dword v[76:77], v67, off
	v_mov_b32_e32 v76, s59
	v_add_co_u32_e32 v74, vcc, s58, v74
	v_addc_co_u32_e32 v75, vcc, v76, v75, vcc
	s_waitcnt vmcnt(1)
	global_store_dwordx2 v[74:75], v[72:73], off
.LBB233_45:                             ;   in Loop: Header=BB233_21 Depth=1
	;; [unrolled: 33-line block ×5, first 2 shown]
	s_or_b64 exec, exec, s[50:51]
	s_mov_b64 s[50:51], exec
	v_readlane_b32 vcc_lo, v80, 33
	v_readlane_b32 vcc_hi, v80, 34
	s_and_b64 vcc, s[50:51], vcc
	s_mov_b64 exec, vcc
	s_cbranch_execz .LBB233_53
; %bb.52:                               ;   in Loop: Header=BB233_21 Depth=1
	v_add_co_u32_e32 v51, vcc, v51, v62
	v_addc_co_u32_e32 v71, vcc, 0, v71, vcc
	v_add_co_u32_e32 v51, vcc, s6, v51
	v_addc_co_u32_e32 v71, vcc, 0, v71, vcc
	;; [unrolled: 2-line block ×4, first 2 shown]
	v_cndmask_b32_e64 v73, v73, v71, s[0:1]
	v_cndmask_b32_e64 v72, v72, v51, s[0:1]
	global_load_dwordx2 v[72:73], v[72:73], off
	v_add_co_u32_e32 v50, vcc, v50, v0
	v_addc_co_u32_e32 v51, vcc, 0, v17, vcc
	v_lshlrev_b64 v[74:75], 2, v[50:51]
	v_mov_b32_e32 v17, s13
	v_add_co_u32_e32 v74, vcc, s12, v74
	v_addc_co_u32_e32 v75, vcc, v17, v75, vcc
	v_lshlrev_b64 v[50:51], 3, v[50:51]
	v_mov_b32_e32 v17, s71
	v_add_co_u32_e32 v50, vcc, s70, v50
	v_addc_co_u32_e32 v51, vcc, v17, v51, vcc
	global_store_dword v[74:75], v70, off
	s_waitcnt vmcnt(1)
	global_store_dwordx2 v[50:51], v[72:73], off
.LBB233_53:                             ;   in Loop: Header=BB233_21 Depth=1
	s_or_b64 exec, exec, s[50:51]
	v_add_co_u32_e32 v71, vcc, s78, v6
	v_pk_mov_b32 v[50:51], s[44:45], s[44:45] op_sel:[0,1]
	v_mov_b32_e32 v17, s80
	v_mad_u64_u32 v[50:51], s[50:51], v71, s36, v[50:51]
	v_addc_co_u32_e32 v17, vcc, v5, v17, vcc
	v_mov_b32_e32 v72, v51
	v_mad_u64_u32 v[72:73], s[50:51], v17, s36, v[72:73]
	v_mov_b32_e32 v71, s79
	v_add_co_u32_e32 v51, vcc, s7, v22
	v_mov_b32_e32 v17, v72
	v_addc_co_u32_e32 v71, vcc, v71, v23, vcc
	s_mov_b64 s[50:51], exec
	v_readlane_b32 vcc_lo, v80, 35
	v_readlane_b32 vcc_hi, v80, 36
	s_and_b64 vcc, s[50:51], vcc
	s_mov_b64 exec, vcc
	s_cbranch_execz .LBB233_55
; %bb.54:                               ;   in Loop: Header=BB233_21 Depth=1
	v_add_co_u32_e32 v72, vcc, v51, v62
	v_addc_co_u32_e32 v73, vcc, 0, v71, vcc
	v_add_co_u32_e32 v74, vcc, v60, v34
	v_addc_co_u32_e32 v75, vcc, v61, v35, vcc
	;; [unrolled: 2-line block ×3, first 2 shown]
	v_cndmask_b32_e64 v73, v75, v73, s[0:1]
	v_cndmask_b32_e64 v72, v74, v72, s[0:1]
	global_load_dwordx2 v[72:73], v[72:73], off
	v_add_co_u32_e32 v74, vcc, v50, v0
	v_addc_co_u32_e32 v75, vcc, 0, v17, vcc
	v_lshlrev_b64 v[76:77], 2, v[74:75]
	v_mov_b32_e32 v78, s5
	v_add_co_u32_e32 v76, vcc, s4, v76
	v_addc_co_u32_e32 v77, vcc, v78, v77, vcc
	v_lshlrev_b64 v[74:75], 3, v[74:75]
	global_store_dword v[76:77], v63, off
	v_mov_b32_e32 v76, s47
	v_add_co_u32_e32 v74, vcc, s46, v74
	v_addc_co_u32_e32 v75, vcc, v76, v75, vcc
	s_waitcnt vmcnt(1)
	global_store_dwordx2 v[74:75], v[72:73], off
.LBB233_55:                             ;   in Loop: Header=BB233_21 Depth=1
	s_or_b64 exec, exec, s[50:51]
	s_mov_b64 s[50:51], exec
	v_readlane_b32 vcc_lo, v80, 37
	v_readlane_b32 vcc_hi, v80, 38
	s_and_b64 vcc, s[50:51], vcc
	s_mov_b64 exec, vcc
	s_cbranch_execz .LBB233_57
; %bb.56:                               ;   in Loop: Header=BB233_21 Depth=1
	v_add_co_u32_e32 v72, vcc, v51, v62
	v_addc_co_u32_e32 v73, vcc, 0, v71, vcc
	v_add_co_u32_e32 v72, vcc, s72, v72
	v_addc_co_u32_e32 v73, vcc, 0, v73, vcc
	;; [unrolled: 2-line block ×4, first 2 shown]
	v_cndmask_b32_e64 v73, v75, v73, s[0:1]
	v_cndmask_b32_e64 v72, v74, v72, s[0:1]
	global_load_dwordx2 v[72:73], v[72:73], off
	v_add_co_u32_e32 v74, vcc, v50, v0
	v_addc_co_u32_e32 v75, vcc, 0, v17, vcc
	v_lshlrev_b64 v[76:77], 2, v[74:75]
	v_mov_b32_e32 v78, s33
	v_add_co_u32_e32 v76, vcc, s39, v76
	v_addc_co_u32_e32 v77, vcc, v78, v77, vcc
	v_lshlrev_b64 v[74:75], 3, v[74:75]
	global_store_dword v[76:77], v69, off
	v_mov_b32_e32 v76, s53
	v_add_co_u32_e32 v74, vcc, s52, v74
	v_addc_co_u32_e32 v75, vcc, v76, v75, vcc
	s_waitcnt vmcnt(1)
	global_store_dwordx2 v[74:75], v[72:73], off
.LBB233_57:                             ;   in Loop: Header=BB233_21 Depth=1
	s_or_b64 exec, exec, s[50:51]
	s_mov_b64 s[50:51], exec
	v_readlane_b32 vcc_lo, v80, 39
	v_readlane_b32 vcc_hi, v80, 40
	s_and_b64 vcc, s[50:51], vcc
	s_mov_b64 exec, vcc
	s_cbranch_execz .LBB233_59
; %bb.58:                               ;   in Loop: Header=BB233_21 Depth=1
	v_add_co_u32_e32 v72, vcc, v51, v62
	v_addc_co_u32_e32 v73, vcc, 0, v71, vcc
	v_add_co_u32_e32 v74, vcc, v60, v38
	v_addc_co_u32_e32 v75, vcc, v61, v39, vcc
	v_cndmask_b32_e64 v73, v75, v73, s[0:1]
	v_cndmask_b32_e64 v72, v74, v72, s[0:1]
	global_load_dwordx2 v[72:73], v[72:73], off offset:512
	v_add_co_u32_e32 v74, vcc, v50, v0
	v_addc_co_u32_e32 v75, vcc, 0, v17, vcc
	v_lshlrev_b64 v[76:77], 2, v[74:75]
	v_mov_b32_e32 v78, s55
	v_add_co_u32_e32 v76, vcc, s54, v76
	v_addc_co_u32_e32 v77, vcc, v78, v77, vcc
	v_lshlrev_b64 v[74:75], 3, v[74:75]
	global_store_dword v[76:77], v68, off
	v_mov_b32_e32 v76, s57
	v_add_co_u32_e32 v74, vcc, s56, v74
	v_addc_co_u32_e32 v75, vcc, v76, v75, vcc
	s_waitcnt vmcnt(1)
	global_store_dwordx2 v[74:75], v[72:73], off
.LBB233_59:                             ;   in Loop: Header=BB233_21 Depth=1
	s_or_b64 exec, exec, s[50:51]
	s_mov_b64 s[50:51], exec
	v_readlane_b32 vcc_lo, v80, 41
	v_readlane_b32 vcc_hi, v80, 42
	s_and_b64 vcc, s[50:51], vcc
	s_mov_b64 exec, vcc
	s_cbranch_execz .LBB233_61
; %bb.60:                               ;   in Loop: Header=BB233_21 Depth=1
	v_add_co_u32_e32 v72, vcc, v51, v62
	v_addc_co_u32_e32 v73, vcc, 0, v71, vcc
	v_add_co_u32_e32 v72, vcc, s74, v72
	v_addc_co_u32_e32 v73, vcc, 0, v73, vcc
	v_add_co_u32_e32 v74, vcc, v60, v40
	v_addc_co_u32_e32 v75, vcc, v61, v41, vcc
	v_add_co_u32_e32 v74, vcc, 0x200, v74
	v_addc_co_u32_e32 v75, vcc, 0, v75, vcc
	v_cndmask_b32_e64 v73, v75, v73, s[0:1]
	v_cndmask_b32_e64 v72, v74, v72, s[0:1]
	global_load_dwordx2 v[72:73], v[72:73], off
	v_add_co_u32_e32 v74, vcc, v50, v0
	v_addc_co_u32_e32 v75, vcc, 0, v17, vcc
	v_lshlrev_b64 v[76:77], 2, v[74:75]
	v_mov_b32_e32 v78, s11
	v_add_co_u32_e32 v76, vcc, s10, v76
	v_addc_co_u32_e32 v77, vcc, v78, v77, vcc
	v_lshlrev_b64 v[74:75], 3, v[74:75]
	global_store_dword v[76:77], v67, off
	v_mov_b32_e32 v76, s59
	v_add_co_u32_e32 v74, vcc, s58, v74
	v_addc_co_u32_e32 v75, vcc, v76, v75, vcc
	s_waitcnt vmcnt(1)
	global_store_dwordx2 v[74:75], v[72:73], off
.LBB233_61:                             ;   in Loop: Header=BB233_21 Depth=1
	s_or_b64 exec, exec, s[50:51]
	s_mov_b64 s[50:51], exec
	v_readlane_b32 vcc_lo, v80, 43
	v_readlane_b32 vcc_hi, v80, 44
	s_and_b64 vcc, s[50:51], vcc
	s_mov_b64 exec, vcc
	s_cbranch_execz .LBB233_63
; %bb.62:                               ;   in Loop: Header=BB233_21 Depth=1
	v_add_co_u32_e32 v72, vcc, v51, v62
	v_addc_co_u32_e32 v73, vcc, 0, v71, vcc
	v_add_co_u32_e32 v72, vcc, s75, v72
	v_addc_co_u32_e32 v73, vcc, 0, v73, vcc
	v_add_co_u32_e32 v74, vcc, v60, v42
	v_addc_co_u32_e32 v75, vcc, v61, v43, vcc
	v_add_co_u32_e32 v74, vcc, 0x200, v74
	v_addc_co_u32_e32 v75, vcc, 0, v75, vcc
	v_cndmask_b32_e64 v73, v75, v73, s[0:1]
	v_cndmask_b32_e64 v72, v74, v72, s[0:1]
	global_load_dwordx2 v[72:73], v[72:73], off
	v_add_co_u32_e32 v74, vcc, v50, v0
	v_addc_co_u32_e32 v75, vcc, 0, v17, vcc
	v_lshlrev_b64 v[76:77], 2, v[74:75]
	v_mov_b32_e32 v78, s61
	v_add_co_u32_e32 v76, vcc, s60, v76
	v_addc_co_u32_e32 v77, vcc, v78, v77, vcc
	v_lshlrev_b64 v[74:75], 3, v[74:75]
	global_store_dword v[76:77], v66, off
	v_mov_b32_e32 v76, s63
	v_add_co_u32_e32 v74, vcc, s62, v74
	v_addc_co_u32_e32 v75, vcc, v76, v75, vcc
	s_waitcnt vmcnt(1)
	global_store_dwordx2 v[74:75], v[72:73], off
.LBB233_63:                             ;   in Loop: Header=BB233_21 Depth=1
	;; [unrolled: 33-line block ×4, first 2 shown]
	s_or_b64 exec, exec, s[50:51]
	s_mov_b64 s[50:51], exec
	v_readlane_b32 vcc_lo, v80, 49
	v_readlane_b32 vcc_hi, v80, 50
	s_and_b64 vcc, s[50:51], vcc
	s_mov_b64 exec, vcc
	s_cbranch_execz .LBB233_69
; %bb.68:                               ;   in Loop: Header=BB233_21 Depth=1
	v_add_co_u32_e32 v51, vcc, v51, v62
	v_addc_co_u32_e32 v71, vcc, 0, v71, vcc
	v_add_co_u32_e32 v51, vcc, s6, v51
	v_addc_co_u32_e32 v71, vcc, 0, v71, vcc
	;; [unrolled: 2-line block ×4, first 2 shown]
	v_cndmask_b32_e64 v73, v73, v71, s[0:1]
	v_cndmask_b32_e64 v72, v72, v51, s[0:1]
	global_load_dwordx2 v[72:73], v[72:73], off
	v_add_co_u32_e32 v50, vcc, v50, v0
	v_addc_co_u32_e32 v51, vcc, 0, v17, vcc
	v_lshlrev_b64 v[74:75], 2, v[50:51]
	v_mov_b32_e32 v17, s13
	v_add_co_u32_e32 v74, vcc, s12, v74
	v_addc_co_u32_e32 v75, vcc, v17, v75, vcc
	v_lshlrev_b64 v[50:51], 3, v[50:51]
	v_mov_b32_e32 v17, s71
	v_add_co_u32_e32 v50, vcc, s70, v50
	v_addc_co_u32_e32 v51, vcc, v17, v51, vcc
	global_store_dword v[74:75], v70, off
	s_waitcnt vmcnt(1)
	global_store_dwordx2 v[50:51], v[72:73], off
.LBB233_69:                             ;   in Loop: Header=BB233_21 Depth=1
	s_or_b64 exec, exec, s[50:51]
	v_add_co_u32_e32 v71, vcc, s78, v8
	v_pk_mov_b32 v[50:51], s[44:45], s[44:45] op_sel:[0,1]
	v_mov_b32_e32 v17, s80
	v_mad_u64_u32 v[50:51], s[50:51], v71, s36, v[50:51]
	v_addc_co_u32_e32 v17, vcc, v7, v17, vcc
	v_mov_b32_e32 v72, v51
	v_mad_u64_u32 v[72:73], s[50:51], v17, s36, v[72:73]
	v_mov_b32_e32 v71, s79
	v_add_co_u32_e32 v51, vcc, s7, v24
	v_mov_b32_e32 v17, v72
	v_addc_co_u32_e32 v71, vcc, v71, v25, vcc
	s_mov_b64 s[50:51], exec
	v_readlane_b32 vcc_lo, v80, 51
	v_readlane_b32 vcc_hi, v80, 52
	s_and_b64 vcc, s[50:51], vcc
	s_mov_b64 exec, vcc
	s_cbranch_execz .LBB233_71
; %bb.70:                               ;   in Loop: Header=BB233_21 Depth=1
	v_add_co_u32_e32 v72, vcc, v51, v62
	v_addc_co_u32_e32 v73, vcc, 0, v71, vcc
	v_add_co_u32_e32 v74, vcc, v60, v34
	v_addc_co_u32_e32 v75, vcc, v61, v35, vcc
	;; [unrolled: 2-line block ×3, first 2 shown]
	v_cndmask_b32_e64 v73, v75, v73, s[0:1]
	v_cndmask_b32_e64 v72, v74, v72, s[0:1]
	global_load_dwordx2 v[72:73], v[72:73], off
	v_add_co_u32_e32 v74, vcc, v50, v0
	v_addc_co_u32_e32 v75, vcc, 0, v17, vcc
	v_lshlrev_b64 v[76:77], 2, v[74:75]
	v_mov_b32_e32 v78, s5
	v_add_co_u32_e32 v76, vcc, s4, v76
	v_addc_co_u32_e32 v77, vcc, v78, v77, vcc
	v_lshlrev_b64 v[74:75], 3, v[74:75]
	global_store_dword v[76:77], v63, off
	v_mov_b32_e32 v76, s47
	v_add_co_u32_e32 v74, vcc, s46, v74
	v_addc_co_u32_e32 v75, vcc, v76, v75, vcc
	s_waitcnt vmcnt(1)
	global_store_dwordx2 v[74:75], v[72:73], off
.LBB233_71:                             ;   in Loop: Header=BB233_21 Depth=1
	s_or_b64 exec, exec, s[50:51]
	s_mov_b64 s[50:51], exec
	v_readlane_b32 vcc_lo, v80, 53
	v_readlane_b32 vcc_hi, v80, 54
	s_and_b64 vcc, s[50:51], vcc
	s_mov_b64 exec, vcc
	s_cbranch_execz .LBB233_73
; %bb.72:                               ;   in Loop: Header=BB233_21 Depth=1
	v_add_co_u32_e32 v72, vcc, v51, v62
	v_addc_co_u32_e32 v73, vcc, 0, v71, vcc
	v_add_co_u32_e32 v72, vcc, s72, v72
	v_addc_co_u32_e32 v73, vcc, 0, v73, vcc
	;; [unrolled: 2-line block ×4, first 2 shown]
	v_cndmask_b32_e64 v73, v75, v73, s[0:1]
	v_cndmask_b32_e64 v72, v74, v72, s[0:1]
	global_load_dwordx2 v[72:73], v[72:73], off
	v_add_co_u32_e32 v74, vcc, v50, v0
	v_addc_co_u32_e32 v75, vcc, 0, v17, vcc
	v_lshlrev_b64 v[76:77], 2, v[74:75]
	v_mov_b32_e32 v78, s33
	v_add_co_u32_e32 v76, vcc, s39, v76
	v_addc_co_u32_e32 v77, vcc, v78, v77, vcc
	v_lshlrev_b64 v[74:75], 3, v[74:75]
	global_store_dword v[76:77], v69, off
	v_mov_b32_e32 v76, s53
	v_add_co_u32_e32 v74, vcc, s52, v74
	v_addc_co_u32_e32 v75, vcc, v76, v75, vcc
	s_waitcnt vmcnt(1)
	global_store_dwordx2 v[74:75], v[72:73], off
.LBB233_73:                             ;   in Loop: Header=BB233_21 Depth=1
	s_or_b64 exec, exec, s[50:51]
	s_mov_b64 s[50:51], exec
	v_readlane_b32 vcc_lo, v80, 55
	v_readlane_b32 vcc_hi, v80, 56
	s_and_b64 vcc, s[50:51], vcc
	s_mov_b64 exec, vcc
	s_cbranch_execz .LBB233_75
; %bb.74:                               ;   in Loop: Header=BB233_21 Depth=1
	v_add_co_u32_e32 v72, vcc, v51, v62
	v_addc_co_u32_e32 v73, vcc, 0, v71, vcc
	v_add_co_u32_e32 v72, vcc, s73, v72
	v_addc_co_u32_e32 v73, vcc, 0, v73, vcc
	;; [unrolled: 2-line block ×4, first 2 shown]
	v_cndmask_b32_e64 v73, v75, v73, s[0:1]
	v_cndmask_b32_e64 v72, v74, v72, s[0:1]
	global_load_dwordx2 v[72:73], v[72:73], off
	v_add_co_u32_e32 v74, vcc, v50, v0
	v_addc_co_u32_e32 v75, vcc, 0, v17, vcc
	v_lshlrev_b64 v[76:77], 2, v[74:75]
	v_mov_b32_e32 v78, s55
	v_add_co_u32_e32 v76, vcc, s54, v76
	v_addc_co_u32_e32 v77, vcc, v78, v77, vcc
	v_lshlrev_b64 v[74:75], 3, v[74:75]
	global_store_dword v[76:77], v68, off
	v_mov_b32_e32 v76, s57
	v_add_co_u32_e32 v74, vcc, s56, v74
	v_addc_co_u32_e32 v75, vcc, v76, v75, vcc
	s_waitcnt vmcnt(1)
	global_store_dwordx2 v[74:75], v[72:73], off
.LBB233_75:                             ;   in Loop: Header=BB233_21 Depth=1
	s_or_b64 exec, exec, s[50:51]
	s_mov_b64 s[50:51], exec
	v_readlane_b32 vcc_lo, v80, 57
	v_readlane_b32 vcc_hi, v80, 58
	s_and_b64 vcc, s[50:51], vcc
	s_mov_b64 exec, vcc
	s_cbranch_execz .LBB233_77
; %bb.76:                               ;   in Loop: Header=BB233_21 Depth=1
	v_add_co_u32_e32 v72, vcc, v51, v62
	v_addc_co_u32_e32 v73, vcc, 0, v71, vcc
	v_add_co_u32_e32 v74, vcc, v60, v40
	v_addc_co_u32_e32 v75, vcc, v61, v41, vcc
	v_cndmask_b32_e64 v73, v75, v73, s[0:1]
	v_cndmask_b32_e64 v72, v74, v72, s[0:1]
	global_load_dwordx2 v[72:73], v[72:73], off offset:768
	v_add_co_u32_e32 v74, vcc, v50, v0
	v_addc_co_u32_e32 v75, vcc, 0, v17, vcc
	v_lshlrev_b64 v[76:77], 2, v[74:75]
	v_mov_b32_e32 v78, s11
	v_add_co_u32_e32 v76, vcc, s10, v76
	v_addc_co_u32_e32 v77, vcc, v78, v77, vcc
	v_lshlrev_b64 v[74:75], 3, v[74:75]
	global_store_dword v[76:77], v67, off
	v_mov_b32_e32 v76, s59
	v_add_co_u32_e32 v74, vcc, s58, v74
	v_addc_co_u32_e32 v75, vcc, v76, v75, vcc
	s_waitcnt vmcnt(1)
	global_store_dwordx2 v[74:75], v[72:73], off
.LBB233_77:                             ;   in Loop: Header=BB233_21 Depth=1
	s_or_b64 exec, exec, s[50:51]
	s_mov_b64 s[50:51], exec
	v_readlane_b32 vcc_lo, v80, 59
	v_readlane_b32 vcc_hi, v80, 60
	s_and_b64 vcc, s[50:51], vcc
	s_mov_b64 exec, vcc
	s_cbranch_execz .LBB233_79
; %bb.78:                               ;   in Loop: Header=BB233_21 Depth=1
	v_add_co_u32_e32 v72, vcc, v51, v62
	v_addc_co_u32_e32 v73, vcc, 0, v71, vcc
	v_add_co_u32_e32 v72, vcc, s75, v72
	v_addc_co_u32_e32 v73, vcc, 0, v73, vcc
	v_add_co_u32_e32 v74, vcc, v60, v42
	v_addc_co_u32_e32 v75, vcc, v61, v43, vcc
	v_add_co_u32_e32 v74, vcc, 0x300, v74
	v_addc_co_u32_e32 v75, vcc, 0, v75, vcc
	v_cndmask_b32_e64 v73, v75, v73, s[0:1]
	v_cndmask_b32_e64 v72, v74, v72, s[0:1]
	global_load_dwordx2 v[72:73], v[72:73], off
	v_add_co_u32_e32 v74, vcc, v50, v0
	v_addc_co_u32_e32 v75, vcc, 0, v17, vcc
	v_lshlrev_b64 v[76:77], 2, v[74:75]
	v_mov_b32_e32 v78, s61
	v_add_co_u32_e32 v76, vcc, s60, v76
	v_addc_co_u32_e32 v77, vcc, v78, v77, vcc
	v_lshlrev_b64 v[74:75], 3, v[74:75]
	global_store_dword v[76:77], v66, off
	v_mov_b32_e32 v76, s63
	v_add_co_u32_e32 v74, vcc, s62, v74
	v_addc_co_u32_e32 v75, vcc, v76, v75, vcc
	s_waitcnt vmcnt(1)
	global_store_dwordx2 v[74:75], v[72:73], off
.LBB233_79:                             ;   in Loop: Header=BB233_21 Depth=1
	s_or_b64 exec, exec, s[50:51]
	s_mov_b64 s[50:51], exec
	v_readlane_b32 vcc_lo, v80, 61
	v_readlane_b32 vcc_hi, v80, 62
	s_and_b64 vcc, s[50:51], vcc
	s_mov_b64 exec, vcc
	s_cbranch_execz .LBB233_81
; %bb.80:                               ;   in Loop: Header=BB233_21 Depth=1
	v_add_co_u32_e32 v72, vcc, v51, v62
	v_addc_co_u32_e32 v73, vcc, 0, v71, vcc
	v_add_co_u32_e32 v72, vcc, s76, v72
	v_addc_co_u32_e32 v73, vcc, 0, v73, vcc
	v_add_co_u32_e32 v74, vcc, v60, v44
	v_addc_co_u32_e32 v75, vcc, v61, v45, vcc
	v_add_co_u32_e32 v74, vcc, 0x300, v74
	v_addc_co_u32_e32 v75, vcc, 0, v75, vcc
	v_cndmask_b32_e64 v73, v75, v73, s[0:1]
	v_cndmask_b32_e64 v72, v74, v72, s[0:1]
	global_load_dwordx2 v[72:73], v[72:73], off
	v_add_co_u32_e32 v74, vcc, v50, v0
	v_addc_co_u32_e32 v75, vcc, 0, v17, vcc
	v_lshlrev_b64 v[76:77], 2, v[74:75]
	v_mov_b32_e32 v78, s3
	v_add_co_u32_e32 v76, vcc, s2, v76
	v_addc_co_u32_e32 v77, vcc, v78, v77, vcc
	v_lshlrev_b64 v[74:75], 3, v[74:75]
	global_store_dword v[76:77], v65, off
	v_mov_b32_e32 v76, s65
	v_add_co_u32_e32 v74, vcc, s64, v74
	v_addc_co_u32_e32 v75, vcc, v76, v75, vcc
	s_waitcnt vmcnt(1)
	global_store_dwordx2 v[74:75], v[72:73], off
.LBB233_81:                             ;   in Loop: Header=BB233_21 Depth=1
	;; [unrolled: 33-line block ×3, first 2 shown]
	s_or_b64 exec, exec, s[50:51]
	s_mov_b64 s[50:51], exec
	v_readlane_b32 vcc_lo, v79, 1
	v_readlane_b32 vcc_hi, v79, 2
	s_and_b64 vcc, s[50:51], vcc
	s_mov_b64 exec, vcc
	s_cbranch_execz .LBB233_85
; %bb.84:                               ;   in Loop: Header=BB233_21 Depth=1
	v_add_co_u32_e32 v51, vcc, v51, v62
	v_addc_co_u32_e32 v71, vcc, 0, v71, vcc
	v_add_co_u32_e32 v51, vcc, s6, v51
	v_addc_co_u32_e32 v71, vcc, 0, v71, vcc
	;; [unrolled: 2-line block ×4, first 2 shown]
	v_cndmask_b32_e64 v73, v73, v71, s[0:1]
	v_cndmask_b32_e64 v72, v72, v51, s[0:1]
	global_load_dwordx2 v[72:73], v[72:73], off
	v_add_co_u32_e32 v50, vcc, v50, v0
	v_addc_co_u32_e32 v51, vcc, 0, v17, vcc
	v_lshlrev_b64 v[74:75], 2, v[50:51]
	v_mov_b32_e32 v17, s13
	v_add_co_u32_e32 v74, vcc, s12, v74
	v_addc_co_u32_e32 v75, vcc, v17, v75, vcc
	v_lshlrev_b64 v[50:51], 3, v[50:51]
	v_mov_b32_e32 v17, s71
	v_add_co_u32_e32 v50, vcc, s70, v50
	v_addc_co_u32_e32 v51, vcc, v17, v51, vcc
	global_store_dword v[74:75], v70, off
	s_waitcnt vmcnt(1)
	global_store_dwordx2 v[50:51], v[72:73], off
.LBB233_85:                             ;   in Loop: Header=BB233_21 Depth=1
	s_or_b64 exec, exec, s[50:51]
	v_add_co_u32_e32 v71, vcc, s78, v10
	v_pk_mov_b32 v[50:51], s[44:45], s[44:45] op_sel:[0,1]
	v_mov_b32_e32 v17, s80
	v_mad_u64_u32 v[50:51], s[50:51], v71, s36, v[50:51]
	v_addc_co_u32_e32 v17, vcc, v9, v17, vcc
	v_mov_b32_e32 v72, v51
	v_mad_u64_u32 v[72:73], s[50:51], v17, s36, v[72:73]
	v_mov_b32_e32 v71, s79
	v_add_co_u32_e32 v51, vcc, s7, v26
	v_mov_b32_e32 v17, v72
	v_addc_co_u32_e32 v71, vcc, v71, v27, vcc
	s_mov_b64 s[50:51], exec
	v_readlane_b32 vcc_lo, v79, 3
	v_readlane_b32 vcc_hi, v79, 4
	s_and_b64 vcc, s[50:51], vcc
	s_mov_b64 exec, vcc
	s_cbranch_execz .LBB233_87
; %bb.86:                               ;   in Loop: Header=BB233_21 Depth=1
	v_add_co_u32_e32 v72, vcc, v51, v62
	v_addc_co_u32_e32 v73, vcc, 0, v71, vcc
	v_add_co_u32_e32 v74, vcc, v60, v34
	v_addc_co_u32_e32 v75, vcc, v61, v35, vcc
	;; [unrolled: 2-line block ×3, first 2 shown]
	v_cndmask_b32_e64 v73, v75, v73, s[0:1]
	v_cndmask_b32_e64 v72, v74, v72, s[0:1]
	global_load_dwordx2 v[72:73], v[72:73], off
	v_add_co_u32_e32 v74, vcc, v50, v0
	v_addc_co_u32_e32 v75, vcc, 0, v17, vcc
	v_lshlrev_b64 v[76:77], 2, v[74:75]
	v_mov_b32_e32 v78, s5
	v_add_co_u32_e32 v76, vcc, s4, v76
	v_addc_co_u32_e32 v77, vcc, v78, v77, vcc
	v_lshlrev_b64 v[74:75], 3, v[74:75]
	global_store_dword v[76:77], v63, off
	v_mov_b32_e32 v76, s47
	v_add_co_u32_e32 v74, vcc, s46, v74
	v_addc_co_u32_e32 v75, vcc, v76, v75, vcc
	s_waitcnt vmcnt(1)
	global_store_dwordx2 v[74:75], v[72:73], off
.LBB233_87:                             ;   in Loop: Header=BB233_21 Depth=1
	s_or_b64 exec, exec, s[50:51]
	s_mov_b64 s[50:51], exec
	v_readlane_b32 vcc_lo, v79, 5
	v_readlane_b32 vcc_hi, v79, 6
	s_and_b64 vcc, s[50:51], vcc
	s_mov_b64 exec, vcc
	s_cbranch_execz .LBB233_89
; %bb.88:                               ;   in Loop: Header=BB233_21 Depth=1
	v_add_co_u32_e32 v72, vcc, v51, v62
	v_addc_co_u32_e32 v73, vcc, 0, v71, vcc
	v_add_co_u32_e32 v72, vcc, s72, v72
	v_addc_co_u32_e32 v73, vcc, 0, v73, vcc
	v_add_co_u32_e32 v74, vcc, v60, v36
	v_addc_co_u32_e32 v75, vcc, v61, v37, vcc
	v_add_co_u32_e32 v74, vcc, 0x400, v74
	v_addc_co_u32_e32 v75, vcc, 0, v75, vcc
	v_cndmask_b32_e64 v73, v75, v73, s[0:1]
	v_cndmask_b32_e64 v72, v74, v72, s[0:1]
	global_load_dwordx2 v[72:73], v[72:73], off
	v_add_co_u32_e32 v74, vcc, v50, v0
	v_addc_co_u32_e32 v75, vcc, 0, v17, vcc
	v_lshlrev_b64 v[76:77], 2, v[74:75]
	v_mov_b32_e32 v78, s33
	v_add_co_u32_e32 v76, vcc, s39, v76
	v_addc_co_u32_e32 v77, vcc, v78, v77, vcc
	v_lshlrev_b64 v[74:75], 3, v[74:75]
	global_store_dword v[76:77], v69, off
	v_mov_b32_e32 v76, s53
	v_add_co_u32_e32 v74, vcc, s52, v74
	v_addc_co_u32_e32 v75, vcc, v76, v75, vcc
	s_waitcnt vmcnt(1)
	global_store_dwordx2 v[74:75], v[72:73], off
.LBB233_89:                             ;   in Loop: Header=BB233_21 Depth=1
	s_or_b64 exec, exec, s[50:51]
	s_mov_b64 s[50:51], exec
	v_readlane_b32 vcc_lo, v79, 7
	v_readlane_b32 vcc_hi, v79, 8
	s_and_b64 vcc, s[50:51], vcc
	s_mov_b64 exec, vcc
	s_cbranch_execz .LBB233_91
; %bb.90:                               ;   in Loop: Header=BB233_21 Depth=1
	v_add_co_u32_e32 v72, vcc, v51, v62
	v_addc_co_u32_e32 v73, vcc, 0, v71, vcc
	v_add_co_u32_e32 v72, vcc, s73, v72
	v_addc_co_u32_e32 v73, vcc, 0, v73, vcc
	v_add_co_u32_e32 v74, vcc, v60, v38
	v_addc_co_u32_e32 v75, vcc, v61, v39, vcc
	v_add_co_u32_e32 v74, vcc, 0x400, v74
	v_addc_co_u32_e32 v75, vcc, 0, v75, vcc
	v_cndmask_b32_e64 v73, v75, v73, s[0:1]
	v_cndmask_b32_e64 v72, v74, v72, s[0:1]
	global_load_dwordx2 v[72:73], v[72:73], off
	v_add_co_u32_e32 v74, vcc, v50, v0
	v_addc_co_u32_e32 v75, vcc, 0, v17, vcc
	v_lshlrev_b64 v[76:77], 2, v[74:75]
	v_mov_b32_e32 v78, s55
	v_add_co_u32_e32 v76, vcc, s54, v76
	v_addc_co_u32_e32 v77, vcc, v78, v77, vcc
	v_lshlrev_b64 v[74:75], 3, v[74:75]
	global_store_dword v[76:77], v68, off
	v_mov_b32_e32 v76, s57
	v_add_co_u32_e32 v74, vcc, s56, v74
	v_addc_co_u32_e32 v75, vcc, v76, v75, vcc
	s_waitcnt vmcnt(1)
	global_store_dwordx2 v[74:75], v[72:73], off
.LBB233_91:                             ;   in Loop: Header=BB233_21 Depth=1
	;; [unrolled: 33-line block ×3, first 2 shown]
	s_or_b64 exec, exec, s[50:51]
	s_mov_b64 s[50:51], exec
	v_readlane_b32 vcc_lo, v79, 11
	v_readlane_b32 vcc_hi, v79, 12
	s_and_b64 vcc, s[50:51], vcc
	s_mov_b64 exec, vcc
	s_cbranch_execz .LBB233_95
; %bb.94:                               ;   in Loop: Header=BB233_21 Depth=1
	v_add_co_u32_e32 v72, vcc, v51, v62
	v_addc_co_u32_e32 v73, vcc, 0, v71, vcc
	v_add_co_u32_e32 v74, vcc, v60, v42
	v_addc_co_u32_e32 v75, vcc, v61, v43, vcc
	v_cndmask_b32_e64 v73, v75, v73, s[0:1]
	v_cndmask_b32_e64 v72, v74, v72, s[0:1]
	global_load_dwordx2 v[72:73], v[72:73], off offset:1024
	v_add_co_u32_e32 v74, vcc, v50, v0
	v_addc_co_u32_e32 v75, vcc, 0, v17, vcc
	v_lshlrev_b64 v[76:77], 2, v[74:75]
	v_mov_b32_e32 v78, s61
	v_add_co_u32_e32 v76, vcc, s60, v76
	v_addc_co_u32_e32 v77, vcc, v78, v77, vcc
	v_lshlrev_b64 v[74:75], 3, v[74:75]
	global_store_dword v[76:77], v66, off
	v_mov_b32_e32 v76, s63
	v_add_co_u32_e32 v74, vcc, s62, v74
	v_addc_co_u32_e32 v75, vcc, v76, v75, vcc
	s_waitcnt vmcnt(1)
	global_store_dwordx2 v[74:75], v[72:73], off
.LBB233_95:                             ;   in Loop: Header=BB233_21 Depth=1
	s_or_b64 exec, exec, s[50:51]
	s_mov_b64 s[50:51], exec
	v_readlane_b32 vcc_lo, v79, 13
	v_readlane_b32 vcc_hi, v79, 14
	s_and_b64 vcc, s[50:51], vcc
	s_mov_b64 exec, vcc
	s_cbranch_execz .LBB233_97
; %bb.96:                               ;   in Loop: Header=BB233_21 Depth=1
	v_add_co_u32_e32 v72, vcc, v51, v62
	v_addc_co_u32_e32 v73, vcc, 0, v71, vcc
	v_add_co_u32_e32 v72, vcc, s76, v72
	v_addc_co_u32_e32 v73, vcc, 0, v73, vcc
	;; [unrolled: 2-line block ×4, first 2 shown]
	v_cndmask_b32_e64 v73, v75, v73, s[0:1]
	v_cndmask_b32_e64 v72, v74, v72, s[0:1]
	global_load_dwordx2 v[72:73], v[72:73], off
	v_add_co_u32_e32 v74, vcc, v50, v0
	v_addc_co_u32_e32 v75, vcc, 0, v17, vcc
	v_lshlrev_b64 v[76:77], 2, v[74:75]
	v_mov_b32_e32 v78, s3
	v_add_co_u32_e32 v76, vcc, s2, v76
	v_addc_co_u32_e32 v77, vcc, v78, v77, vcc
	v_lshlrev_b64 v[74:75], 3, v[74:75]
	global_store_dword v[76:77], v65, off
	v_mov_b32_e32 v76, s65
	v_add_co_u32_e32 v74, vcc, s64, v74
	v_addc_co_u32_e32 v75, vcc, v76, v75, vcc
	s_waitcnt vmcnt(1)
	global_store_dwordx2 v[74:75], v[72:73], off
.LBB233_97:                             ;   in Loop: Header=BB233_21 Depth=1
	s_or_b64 exec, exec, s[50:51]
	s_mov_b64 s[50:51], exec
	v_readlane_b32 vcc_lo, v79, 15
	v_readlane_b32 vcc_hi, v79, 16
	s_and_b64 vcc, s[50:51], vcc
	s_mov_b64 exec, vcc
	s_cbranch_execz .LBB233_99
; %bb.98:                               ;   in Loop: Header=BB233_21 Depth=1
	v_add_co_u32_e32 v72, vcc, v51, v62
	v_addc_co_u32_e32 v73, vcc, 0, v71, vcc
	v_add_co_u32_e32 v72, vcc, s77, v72
	v_addc_co_u32_e32 v73, vcc, 0, v73, vcc
	;; [unrolled: 2-line block ×4, first 2 shown]
	v_cndmask_b32_e64 v73, v75, v73, s[0:1]
	v_cndmask_b32_e64 v72, v74, v72, s[0:1]
	global_load_dwordx2 v[72:73], v[72:73], off
	v_add_co_u32_e32 v74, vcc, v50, v0
	v_addc_co_u32_e32 v75, vcc, 0, v17, vcc
	v_lshlrev_b64 v[76:77], 2, v[74:75]
	v_mov_b32_e32 v78, s67
	v_add_co_u32_e32 v76, vcc, s66, v76
	v_addc_co_u32_e32 v77, vcc, v78, v77, vcc
	v_lshlrev_b64 v[74:75], 3, v[74:75]
	global_store_dword v[76:77], v64, off
	v_mov_b32_e32 v76, s69
	v_add_co_u32_e32 v74, vcc, s68, v74
	v_addc_co_u32_e32 v75, vcc, v76, v75, vcc
	s_waitcnt vmcnt(1)
	global_store_dwordx2 v[74:75], v[72:73], off
.LBB233_99:                             ;   in Loop: Header=BB233_21 Depth=1
	s_or_b64 exec, exec, s[50:51]
	s_mov_b64 s[50:51], exec
	v_readlane_b32 vcc_lo, v79, 17
	v_readlane_b32 vcc_hi, v79, 18
	s_and_b64 vcc, s[50:51], vcc
	s_mov_b64 exec, vcc
	s_cbranch_execz .LBB233_101
; %bb.100:                              ;   in Loop: Header=BB233_21 Depth=1
	v_add_co_u32_e32 v51, vcc, v51, v62
	v_addc_co_u32_e32 v71, vcc, 0, v71, vcc
	v_add_co_u32_e32 v51, vcc, s6, v51
	v_addc_co_u32_e32 v71, vcc, 0, v71, vcc
	;; [unrolled: 2-line block ×4, first 2 shown]
	v_cndmask_b32_e64 v73, v73, v71, s[0:1]
	v_cndmask_b32_e64 v72, v72, v51, s[0:1]
	global_load_dwordx2 v[72:73], v[72:73], off
	v_add_co_u32_e32 v50, vcc, v50, v0
	v_addc_co_u32_e32 v51, vcc, 0, v17, vcc
	v_lshlrev_b64 v[74:75], 2, v[50:51]
	v_mov_b32_e32 v17, s13
	v_add_co_u32_e32 v74, vcc, s12, v74
	v_addc_co_u32_e32 v75, vcc, v17, v75, vcc
	v_lshlrev_b64 v[50:51], 3, v[50:51]
	v_mov_b32_e32 v17, s71
	v_add_co_u32_e32 v50, vcc, s70, v50
	v_addc_co_u32_e32 v51, vcc, v17, v51, vcc
	global_store_dword v[74:75], v70, off
	s_waitcnt vmcnt(1)
	global_store_dwordx2 v[50:51], v[72:73], off
.LBB233_101:                            ;   in Loop: Header=BB233_21 Depth=1
	s_or_b64 exec, exec, s[50:51]
	v_add_co_u32_e32 v71, vcc, s78, v12
	v_pk_mov_b32 v[50:51], s[44:45], s[44:45] op_sel:[0,1]
	v_mov_b32_e32 v17, s80
	v_mad_u64_u32 v[50:51], s[50:51], v71, s36, v[50:51]
	v_addc_co_u32_e32 v17, vcc, v11, v17, vcc
	v_mov_b32_e32 v72, v51
	v_mad_u64_u32 v[72:73], s[50:51], v17, s36, v[72:73]
	v_mov_b32_e32 v71, s79
	v_add_co_u32_e32 v51, vcc, s7, v28
	v_mov_b32_e32 v17, v72
	v_addc_co_u32_e32 v71, vcc, v71, v29, vcc
	s_mov_b64 s[50:51], exec
	v_readlane_b32 vcc_lo, v79, 19
	v_readlane_b32 vcc_hi, v79, 20
	s_and_b64 vcc, s[50:51], vcc
	s_mov_b64 exec, vcc
	s_cbranch_execz .LBB233_103
; %bb.102:                              ;   in Loop: Header=BB233_21 Depth=1
	v_add_co_u32_e32 v72, vcc, v51, v62
	v_addc_co_u32_e32 v73, vcc, 0, v71, vcc
	v_add_co_u32_e32 v74, vcc, v60, v34
	v_addc_co_u32_e32 v75, vcc, v61, v35, vcc
	;; [unrolled: 2-line block ×3, first 2 shown]
	v_cndmask_b32_e64 v73, v75, v73, s[0:1]
	v_cndmask_b32_e64 v72, v74, v72, s[0:1]
	global_load_dwordx2 v[72:73], v[72:73], off
	v_add_co_u32_e32 v74, vcc, v50, v0
	v_addc_co_u32_e32 v75, vcc, 0, v17, vcc
	v_lshlrev_b64 v[76:77], 2, v[74:75]
	v_mov_b32_e32 v78, s5
	v_add_co_u32_e32 v76, vcc, s4, v76
	v_addc_co_u32_e32 v77, vcc, v78, v77, vcc
	v_lshlrev_b64 v[74:75], 3, v[74:75]
	global_store_dword v[76:77], v63, off
	v_mov_b32_e32 v76, s47
	v_add_co_u32_e32 v74, vcc, s46, v74
	v_addc_co_u32_e32 v75, vcc, v76, v75, vcc
	s_waitcnt vmcnt(1)
	global_store_dwordx2 v[74:75], v[72:73], off
.LBB233_103:                            ;   in Loop: Header=BB233_21 Depth=1
	s_or_b64 exec, exec, s[50:51]
	s_mov_b64 s[50:51], exec
	v_readlane_b32 vcc_lo, v79, 21
	v_readlane_b32 vcc_hi, v79, 22
	s_and_b64 vcc, s[50:51], vcc
	s_mov_b64 exec, vcc
	s_cbranch_execz .LBB233_105
; %bb.104:                              ;   in Loop: Header=BB233_21 Depth=1
	v_add_co_u32_e32 v72, vcc, v51, v62
	v_addc_co_u32_e32 v73, vcc, 0, v71, vcc
	v_add_co_u32_e32 v72, vcc, s72, v72
	v_addc_co_u32_e32 v73, vcc, 0, v73, vcc
	v_add_co_u32_e32 v74, vcc, v60, v36
	v_addc_co_u32_e32 v75, vcc, v61, v37, vcc
	v_add_co_u32_e32 v74, vcc, 0x500, v74
	v_addc_co_u32_e32 v75, vcc, 0, v75, vcc
	v_cndmask_b32_e64 v73, v75, v73, s[0:1]
	v_cndmask_b32_e64 v72, v74, v72, s[0:1]
	global_load_dwordx2 v[72:73], v[72:73], off
	v_add_co_u32_e32 v74, vcc, v50, v0
	v_addc_co_u32_e32 v75, vcc, 0, v17, vcc
	v_lshlrev_b64 v[76:77], 2, v[74:75]
	v_mov_b32_e32 v78, s33
	v_add_co_u32_e32 v76, vcc, s39, v76
	v_addc_co_u32_e32 v77, vcc, v78, v77, vcc
	v_lshlrev_b64 v[74:75], 3, v[74:75]
	global_store_dword v[76:77], v69, off
	v_mov_b32_e32 v76, s53
	v_add_co_u32_e32 v74, vcc, s52, v74
	v_addc_co_u32_e32 v75, vcc, v76, v75, vcc
	s_waitcnt vmcnt(1)
	global_store_dwordx2 v[74:75], v[72:73], off
.LBB233_105:                            ;   in Loop: Header=BB233_21 Depth=1
	s_or_b64 exec, exec, s[50:51]
	s_mov_b64 s[50:51], exec
	v_readlane_b32 vcc_lo, v79, 23
	v_readlane_b32 vcc_hi, v79, 24
	s_and_b64 vcc, s[50:51], vcc
	s_mov_b64 exec, vcc
	s_cbranch_execz .LBB233_107
; %bb.106:                              ;   in Loop: Header=BB233_21 Depth=1
	v_add_co_u32_e32 v72, vcc, v51, v62
	v_addc_co_u32_e32 v73, vcc, 0, v71, vcc
	v_add_co_u32_e32 v72, vcc, s73, v72
	v_addc_co_u32_e32 v73, vcc, 0, v73, vcc
	v_add_co_u32_e32 v74, vcc, v60, v38
	v_addc_co_u32_e32 v75, vcc, v61, v39, vcc
	v_add_co_u32_e32 v74, vcc, 0x500, v74
	v_addc_co_u32_e32 v75, vcc, 0, v75, vcc
	v_cndmask_b32_e64 v73, v75, v73, s[0:1]
	v_cndmask_b32_e64 v72, v74, v72, s[0:1]
	global_load_dwordx2 v[72:73], v[72:73], off
	v_add_co_u32_e32 v74, vcc, v50, v0
	v_addc_co_u32_e32 v75, vcc, 0, v17, vcc
	v_lshlrev_b64 v[76:77], 2, v[74:75]
	v_mov_b32_e32 v78, s55
	v_add_co_u32_e32 v76, vcc, s54, v76
	v_addc_co_u32_e32 v77, vcc, v78, v77, vcc
	v_lshlrev_b64 v[74:75], 3, v[74:75]
	global_store_dword v[76:77], v68, off
	v_mov_b32_e32 v76, s57
	v_add_co_u32_e32 v74, vcc, s56, v74
	v_addc_co_u32_e32 v75, vcc, v76, v75, vcc
	s_waitcnt vmcnt(1)
	global_store_dwordx2 v[74:75], v[72:73], off
.LBB233_107:                            ;   in Loop: Header=BB233_21 Depth=1
	;; [unrolled: 33-line block ×4, first 2 shown]
	s_or_b64 exec, exec, s[50:51]
	s_mov_b64 s[50:51], exec
	v_readlane_b32 vcc_lo, v79, 29
	v_readlane_b32 vcc_hi, v79, 30
	s_and_b64 vcc, s[50:51], vcc
	s_mov_b64 exec, vcc
	s_cbranch_execz .LBB233_113
; %bb.112:                              ;   in Loop: Header=BB233_21 Depth=1
	v_add_co_u32_e32 v72, vcc, v51, v62
	v_addc_co_u32_e32 v73, vcc, 0, v71, vcc
	v_add_co_u32_e32 v74, vcc, v60, v44
	v_addc_co_u32_e32 v75, vcc, v61, v45, vcc
	v_cndmask_b32_e64 v73, v75, v73, s[0:1]
	v_cndmask_b32_e64 v72, v74, v72, s[0:1]
	global_load_dwordx2 v[72:73], v[72:73], off offset:1280
	v_add_co_u32_e32 v74, vcc, v50, v0
	v_addc_co_u32_e32 v75, vcc, 0, v17, vcc
	v_lshlrev_b64 v[76:77], 2, v[74:75]
	v_mov_b32_e32 v78, s3
	v_add_co_u32_e32 v76, vcc, s2, v76
	v_addc_co_u32_e32 v77, vcc, v78, v77, vcc
	v_lshlrev_b64 v[74:75], 3, v[74:75]
	global_store_dword v[76:77], v65, off
	v_mov_b32_e32 v76, s65
	v_add_co_u32_e32 v74, vcc, s64, v74
	v_addc_co_u32_e32 v75, vcc, v76, v75, vcc
	s_waitcnt vmcnt(1)
	global_store_dwordx2 v[74:75], v[72:73], off
.LBB233_113:                            ;   in Loop: Header=BB233_21 Depth=1
	s_or_b64 exec, exec, s[50:51]
	s_mov_b64 s[50:51], exec
	v_readlane_b32 vcc_lo, v79, 31
	v_readlane_b32 vcc_hi, v79, 32
	s_and_b64 vcc, s[50:51], vcc
	s_mov_b64 exec, vcc
	s_cbranch_execz .LBB233_115
; %bb.114:                              ;   in Loop: Header=BB233_21 Depth=1
	v_add_co_u32_e32 v72, vcc, v51, v62
	v_addc_co_u32_e32 v73, vcc, 0, v71, vcc
	v_add_co_u32_e32 v72, vcc, s77, v72
	v_addc_co_u32_e32 v73, vcc, 0, v73, vcc
	;; [unrolled: 2-line block ×4, first 2 shown]
	v_cndmask_b32_e64 v73, v75, v73, s[0:1]
	v_cndmask_b32_e64 v72, v74, v72, s[0:1]
	global_load_dwordx2 v[72:73], v[72:73], off
	v_add_co_u32_e32 v74, vcc, v50, v0
	v_addc_co_u32_e32 v75, vcc, 0, v17, vcc
	v_lshlrev_b64 v[76:77], 2, v[74:75]
	v_mov_b32_e32 v78, s67
	v_add_co_u32_e32 v76, vcc, s66, v76
	v_addc_co_u32_e32 v77, vcc, v78, v77, vcc
	v_lshlrev_b64 v[74:75], 3, v[74:75]
	global_store_dword v[76:77], v64, off
	v_mov_b32_e32 v76, s69
	v_add_co_u32_e32 v74, vcc, s68, v74
	v_addc_co_u32_e32 v75, vcc, v76, v75, vcc
	s_waitcnt vmcnt(1)
	global_store_dwordx2 v[74:75], v[72:73], off
.LBB233_115:                            ;   in Loop: Header=BB233_21 Depth=1
	s_or_b64 exec, exec, s[50:51]
	s_and_saveexec_b64 s[50:51], s[14:15]
	s_cbranch_execz .LBB233_117
; %bb.116:                              ;   in Loop: Header=BB233_21 Depth=1
	v_add_co_u32_e32 v51, vcc, v51, v62
	v_addc_co_u32_e32 v71, vcc, 0, v71, vcc
	v_add_co_u32_e32 v51, vcc, s6, v51
	v_addc_co_u32_e32 v71, vcc, 0, v71, vcc
	v_add_co_u32_e32 v72, vcc, v60, v48
	v_addc_co_u32_e32 v73, vcc, v61, v49, vcc
	v_add_co_u32_e32 v72, vcc, 0x500, v72
	v_addc_co_u32_e32 v73, vcc, 0, v73, vcc
	v_cndmask_b32_e64 v73, v73, v71, s[0:1]
	v_cndmask_b32_e64 v72, v72, v51, s[0:1]
	global_load_dwordx2 v[72:73], v[72:73], off
	v_add_co_u32_e32 v50, vcc, v50, v0
	v_addc_co_u32_e32 v51, vcc, 0, v17, vcc
	v_lshlrev_b64 v[74:75], 2, v[50:51]
	v_mov_b32_e32 v17, s13
	v_add_co_u32_e32 v74, vcc, s12, v74
	v_addc_co_u32_e32 v75, vcc, v17, v75, vcc
	v_lshlrev_b64 v[50:51], 3, v[50:51]
	v_mov_b32_e32 v17, s71
	v_add_co_u32_e32 v50, vcc, s70, v50
	v_addc_co_u32_e32 v51, vcc, v17, v51, vcc
	global_store_dword v[74:75], v70, off
	s_waitcnt vmcnt(1)
	global_store_dwordx2 v[50:51], v[72:73], off
.LBB233_117:                            ;   in Loop: Header=BB233_21 Depth=1
	s_or_b64 exec, exec, s[50:51]
	v_add_co_u32_e32 v71, vcc, s78, v14
	v_pk_mov_b32 v[50:51], s[44:45], s[44:45] op_sel:[0,1]
	v_mov_b32_e32 v17, s80
	v_mad_u64_u32 v[50:51], s[50:51], v71, s36, v[50:51]
	v_addc_co_u32_e32 v17, vcc, v13, v17, vcc
	v_mov_b32_e32 v72, v51
	v_mad_u64_u32 v[72:73], s[50:51], v17, s36, v[72:73]
	v_mov_b32_e32 v71, s79
	v_add_co_u32_e32 v51, vcc, s7, v30
	v_mov_b32_e32 v17, v72
	v_addc_co_u32_e32 v71, vcc, v71, v31, vcc
	s_and_saveexec_b64 s[50:51], s[82:83]
	s_cbranch_execnz .LBB233_134
; %bb.118:                              ;   in Loop: Header=BB233_21 Depth=1
	s_or_b64 exec, exec, s[50:51]
	s_and_saveexec_b64 s[50:51], s[84:85]
	s_cbranch_execnz .LBB233_135
.LBB233_119:                            ;   in Loop: Header=BB233_21 Depth=1
	s_or_b64 exec, exec, s[50:51]
	s_and_saveexec_b64 s[50:51], s[86:87]
	s_cbranch_execnz .LBB233_136
.LBB233_120:                            ;   in Loop: Header=BB233_21 Depth=1
	s_or_b64 exec, exec, s[50:51]
	s_and_saveexec_b64 s[50:51], s[88:89]
	s_cbranch_execnz .LBB233_137
.LBB233_121:                            ;   in Loop: Header=BB233_21 Depth=1
	s_or_b64 exec, exec, s[50:51]
	s_and_saveexec_b64 s[50:51], s[90:91]
	s_cbranch_execnz .LBB233_138
.LBB233_122:                            ;   in Loop: Header=BB233_21 Depth=1
	s_or_b64 exec, exec, s[50:51]
	s_and_saveexec_b64 s[50:51], s[8:9]
	s_cbranch_execnz .LBB233_139
.LBB233_123:                            ;   in Loop: Header=BB233_21 Depth=1
	s_or_b64 exec, exec, s[50:51]
	s_and_saveexec_b64 s[50:51], s[92:93]
	s_cbranch_execnz .LBB233_140
.LBB233_124:                            ;   in Loop: Header=BB233_21 Depth=1
	s_or_b64 exec, exec, s[50:51]
	s_and_saveexec_b64 s[50:51], s[16:17]
	s_cbranch_execz .LBB233_126
.LBB233_125:                            ;   in Loop: Header=BB233_21 Depth=1
	v_add_co_u32_e32 v51, vcc, v51, v62
	v_addc_co_u32_e32 v71, vcc, 0, v71, vcc
	v_add_co_u32_e32 v51, vcc, s6, v51
	v_addc_co_u32_e32 v71, vcc, 0, v71, vcc
	;; [unrolled: 2-line block ×4, first 2 shown]
	v_cndmask_b32_e64 v73, v73, v71, s[0:1]
	v_cndmask_b32_e64 v72, v72, v51, s[0:1]
	global_load_dwordx2 v[72:73], v[72:73], off
	v_add_co_u32_e32 v50, vcc, v50, v0
	v_addc_co_u32_e32 v51, vcc, 0, v17, vcc
	v_lshlrev_b64 v[74:75], 2, v[50:51]
	v_mov_b32_e32 v17, s13
	v_add_co_u32_e32 v74, vcc, s12, v74
	v_addc_co_u32_e32 v75, vcc, v17, v75, vcc
	v_lshlrev_b64 v[50:51], 3, v[50:51]
	v_mov_b32_e32 v17, s71
	v_add_co_u32_e32 v50, vcc, s70, v50
	v_addc_co_u32_e32 v51, vcc, v17, v51, vcc
	global_store_dword v[74:75], v70, off
	s_waitcnt vmcnt(1)
	global_store_dwordx2 v[50:51], v[72:73], off
.LBB233_126:                            ;   in Loop: Header=BB233_21 Depth=1
	s_or_b64 exec, exec, s[50:51]
	v_add_co_u32_e32 v71, vcc, s78, v16
	v_pk_mov_b32 v[50:51], s[44:45], s[44:45] op_sel:[0,1]
	v_mov_b32_e32 v17, s80
	v_mad_u64_u32 v[50:51], s[50:51], v71, s36, v[50:51]
	v_addc_co_u32_e32 v17, vcc, v15, v17, vcc
	v_mov_b32_e32 v72, v51
	v_mad_u64_u32 v[72:73], s[50:51], v17, s36, v[72:73]
	v_mov_b32_e32 v71, s79
	v_add_co_u32_e32 v51, vcc, s7, v32
	v_mov_b32_e32 v17, v72
	v_addc_co_u32_e32 v71, vcc, v71, v33, vcc
	s_and_saveexec_b64 s[50:51], s[94:95]
	s_cbranch_execnz .LBB233_141
; %bb.127:                              ;   in Loop: Header=BB233_21 Depth=1
	s_or_b64 exec, exec, s[50:51]
	s_and_saveexec_b64 s[50:51], s[20:21]
	s_cbranch_execnz .LBB233_142
.LBB233_128:                            ;   in Loop: Header=BB233_21 Depth=1
	s_or_b64 exec, exec, s[50:51]
	s_and_saveexec_b64 s[50:51], s[22:23]
	s_cbranch_execnz .LBB233_143
.LBB233_129:                            ;   in Loop: Header=BB233_21 Depth=1
	s_or_b64 exec, exec, s[50:51]
	s_and_saveexec_b64 s[50:51], s[24:25]
	s_cbranch_execnz .LBB233_144
.LBB233_130:                            ;   in Loop: Header=BB233_21 Depth=1
	s_or_b64 exec, exec, s[50:51]
	s_and_saveexec_b64 s[50:51], s[26:27]
	s_cbranch_execnz .LBB233_145
.LBB233_131:                            ;   in Loop: Header=BB233_21 Depth=1
	s_or_b64 exec, exec, s[50:51]
	s_and_saveexec_b64 s[50:51], s[28:29]
	s_cbranch_execnz .LBB233_146
.LBB233_132:                            ;   in Loop: Header=BB233_21 Depth=1
	s_or_b64 exec, exec, s[50:51]
	s_and_saveexec_b64 s[50:51], s[30:31]
	s_cbranch_execnz .LBB233_147
.LBB233_133:                            ;   in Loop: Header=BB233_21 Depth=1
	s_or_b64 exec, exec, s[50:51]
	s_and_saveexec_b64 s[50:51], s[18:19]
	s_cbranch_execz .LBB233_20
	s_branch .LBB233_148
.LBB233_134:                            ;   in Loop: Header=BB233_21 Depth=1
	v_add_co_u32_e32 v72, vcc, v51, v62
	v_addc_co_u32_e32 v73, vcc, 0, v71, vcc
	v_add_co_u32_e32 v74, vcc, v60, v34
	v_addc_co_u32_e32 v75, vcc, v61, v35, vcc
	;; [unrolled: 2-line block ×3, first 2 shown]
	v_cndmask_b32_e64 v73, v75, v73, s[0:1]
	v_cndmask_b32_e64 v72, v74, v72, s[0:1]
	global_load_dwordx2 v[72:73], v[72:73], off
	v_add_co_u32_e32 v74, vcc, v50, v0
	v_addc_co_u32_e32 v75, vcc, 0, v17, vcc
	v_lshlrev_b64 v[76:77], 2, v[74:75]
	v_mov_b32_e32 v78, s5
	v_add_co_u32_e32 v76, vcc, s4, v76
	v_addc_co_u32_e32 v77, vcc, v78, v77, vcc
	v_lshlrev_b64 v[74:75], 3, v[74:75]
	global_store_dword v[76:77], v63, off
	v_mov_b32_e32 v76, s47
	v_add_co_u32_e32 v74, vcc, s46, v74
	v_addc_co_u32_e32 v75, vcc, v76, v75, vcc
	s_waitcnt vmcnt(1)
	global_store_dwordx2 v[74:75], v[72:73], off
	s_or_b64 exec, exec, s[50:51]
	s_and_saveexec_b64 s[50:51], s[84:85]
	s_cbranch_execz .LBB233_119
.LBB233_135:                            ;   in Loop: Header=BB233_21 Depth=1
	v_add_co_u32_e32 v72, vcc, v51, v62
	v_addc_co_u32_e32 v73, vcc, 0, v71, vcc
	v_add_co_u32_e32 v72, vcc, s72, v72
	v_addc_co_u32_e32 v73, vcc, 0, v73, vcc
	;; [unrolled: 2-line block ×4, first 2 shown]
	v_cndmask_b32_e64 v73, v75, v73, s[0:1]
	v_cndmask_b32_e64 v72, v74, v72, s[0:1]
	global_load_dwordx2 v[72:73], v[72:73], off
	v_add_co_u32_e32 v74, vcc, v50, v0
	v_addc_co_u32_e32 v75, vcc, 0, v17, vcc
	v_lshlrev_b64 v[76:77], 2, v[74:75]
	v_mov_b32_e32 v78, s33
	v_add_co_u32_e32 v76, vcc, s39, v76
	v_addc_co_u32_e32 v77, vcc, v78, v77, vcc
	v_lshlrev_b64 v[74:75], 3, v[74:75]
	global_store_dword v[76:77], v69, off
	v_mov_b32_e32 v76, s53
	v_add_co_u32_e32 v74, vcc, s52, v74
	v_addc_co_u32_e32 v75, vcc, v76, v75, vcc
	s_waitcnt vmcnt(1)
	global_store_dwordx2 v[74:75], v[72:73], off
	s_or_b64 exec, exec, s[50:51]
	s_and_saveexec_b64 s[50:51], s[86:87]
	s_cbranch_execz .LBB233_120
.LBB233_136:                            ;   in Loop: Header=BB233_21 Depth=1
	v_add_co_u32_e32 v72, vcc, v51, v62
	v_addc_co_u32_e32 v73, vcc, 0, v71, vcc
	v_add_co_u32_e32 v72, vcc, s73, v72
	v_addc_co_u32_e32 v73, vcc, 0, v73, vcc
	;; [unrolled: 2-line block ×4, first 2 shown]
	v_cndmask_b32_e64 v73, v75, v73, s[0:1]
	v_cndmask_b32_e64 v72, v74, v72, s[0:1]
	global_load_dwordx2 v[72:73], v[72:73], off
	v_add_co_u32_e32 v74, vcc, v50, v0
	v_addc_co_u32_e32 v75, vcc, 0, v17, vcc
	v_lshlrev_b64 v[76:77], 2, v[74:75]
	v_mov_b32_e32 v78, s55
	v_add_co_u32_e32 v76, vcc, s54, v76
	v_addc_co_u32_e32 v77, vcc, v78, v77, vcc
	v_lshlrev_b64 v[74:75], 3, v[74:75]
	global_store_dword v[76:77], v68, off
	v_mov_b32_e32 v76, s57
	v_add_co_u32_e32 v74, vcc, s56, v74
	v_addc_co_u32_e32 v75, vcc, v76, v75, vcc
	s_waitcnt vmcnt(1)
	global_store_dwordx2 v[74:75], v[72:73], off
	s_or_b64 exec, exec, s[50:51]
	s_and_saveexec_b64 s[50:51], s[88:89]
	s_cbranch_execz .LBB233_121
.LBB233_137:                            ;   in Loop: Header=BB233_21 Depth=1
	v_add_co_u32_e32 v72, vcc, v51, v62
	v_addc_co_u32_e32 v73, vcc, 0, v71, vcc
	v_add_co_u32_e32 v72, vcc, s74, v72
	v_addc_co_u32_e32 v73, vcc, 0, v73, vcc
	;; [unrolled: 2-line block ×4, first 2 shown]
	v_cndmask_b32_e64 v73, v75, v73, s[0:1]
	v_cndmask_b32_e64 v72, v74, v72, s[0:1]
	global_load_dwordx2 v[72:73], v[72:73], off
	v_add_co_u32_e32 v74, vcc, v50, v0
	v_addc_co_u32_e32 v75, vcc, 0, v17, vcc
	v_lshlrev_b64 v[76:77], 2, v[74:75]
	v_mov_b32_e32 v78, s11
	v_add_co_u32_e32 v76, vcc, s10, v76
	v_addc_co_u32_e32 v77, vcc, v78, v77, vcc
	v_lshlrev_b64 v[74:75], 3, v[74:75]
	global_store_dword v[76:77], v67, off
	v_mov_b32_e32 v76, s59
	v_add_co_u32_e32 v74, vcc, s58, v74
	v_addc_co_u32_e32 v75, vcc, v76, v75, vcc
	s_waitcnt vmcnt(1)
	global_store_dwordx2 v[74:75], v[72:73], off
	s_or_b64 exec, exec, s[50:51]
	s_and_saveexec_b64 s[50:51], s[90:91]
	s_cbranch_execz .LBB233_122
.LBB233_138:                            ;   in Loop: Header=BB233_21 Depth=1
	v_add_co_u32_e32 v72, vcc, v51, v62
	v_addc_co_u32_e32 v73, vcc, 0, v71, vcc
	v_add_co_u32_e32 v72, vcc, s75, v72
	v_addc_co_u32_e32 v73, vcc, 0, v73, vcc
	;; [unrolled: 2-line block ×4, first 2 shown]
	v_cndmask_b32_e64 v73, v75, v73, s[0:1]
	v_cndmask_b32_e64 v72, v74, v72, s[0:1]
	global_load_dwordx2 v[72:73], v[72:73], off
	v_add_co_u32_e32 v74, vcc, v50, v0
	v_addc_co_u32_e32 v75, vcc, 0, v17, vcc
	v_lshlrev_b64 v[76:77], 2, v[74:75]
	v_mov_b32_e32 v78, s61
	v_add_co_u32_e32 v76, vcc, s60, v76
	v_addc_co_u32_e32 v77, vcc, v78, v77, vcc
	v_lshlrev_b64 v[74:75], 3, v[74:75]
	global_store_dword v[76:77], v66, off
	v_mov_b32_e32 v76, s63
	v_add_co_u32_e32 v74, vcc, s62, v74
	v_addc_co_u32_e32 v75, vcc, v76, v75, vcc
	s_waitcnt vmcnt(1)
	global_store_dwordx2 v[74:75], v[72:73], off
	s_or_b64 exec, exec, s[50:51]
	s_and_saveexec_b64 s[50:51], s[8:9]
	s_cbranch_execz .LBB233_123
.LBB233_139:                            ;   in Loop: Header=BB233_21 Depth=1
	v_add_co_u32_e32 v72, vcc, v51, v62
	v_addc_co_u32_e32 v73, vcc, 0, v71, vcc
	v_add_co_u32_e32 v72, vcc, s76, v72
	v_addc_co_u32_e32 v73, vcc, 0, v73, vcc
	;; [unrolled: 2-line block ×4, first 2 shown]
	v_cndmask_b32_e64 v73, v75, v73, s[0:1]
	v_cndmask_b32_e64 v72, v74, v72, s[0:1]
	global_load_dwordx2 v[72:73], v[72:73], off
	v_add_co_u32_e32 v74, vcc, v50, v0
	v_addc_co_u32_e32 v75, vcc, 0, v17, vcc
	v_lshlrev_b64 v[76:77], 2, v[74:75]
	v_mov_b32_e32 v78, s3
	v_add_co_u32_e32 v76, vcc, s2, v76
	v_addc_co_u32_e32 v77, vcc, v78, v77, vcc
	v_lshlrev_b64 v[74:75], 3, v[74:75]
	global_store_dword v[76:77], v65, off
	v_mov_b32_e32 v76, s65
	v_add_co_u32_e32 v74, vcc, s64, v74
	v_addc_co_u32_e32 v75, vcc, v76, v75, vcc
	s_waitcnt vmcnt(1)
	global_store_dwordx2 v[74:75], v[72:73], off
	s_or_b64 exec, exec, s[50:51]
	s_and_saveexec_b64 s[50:51], s[92:93]
	s_cbranch_execz .LBB233_124
.LBB233_140:                            ;   in Loop: Header=BB233_21 Depth=1
	v_add_co_u32_e32 v72, vcc, v51, v62
	v_addc_co_u32_e32 v73, vcc, 0, v71, vcc
	v_add_co_u32_e32 v74, vcc, v60, v46
	v_addc_co_u32_e32 v75, vcc, v61, v47, vcc
	v_cndmask_b32_e64 v73, v75, v73, s[0:1]
	v_cndmask_b32_e64 v72, v74, v72, s[0:1]
	global_load_dwordx2 v[72:73], v[72:73], off offset:1536
	v_add_co_u32_e32 v74, vcc, v50, v0
	v_addc_co_u32_e32 v75, vcc, 0, v17, vcc
	v_lshlrev_b64 v[76:77], 2, v[74:75]
	v_mov_b32_e32 v78, s67
	v_add_co_u32_e32 v76, vcc, s66, v76
	v_addc_co_u32_e32 v77, vcc, v78, v77, vcc
	v_lshlrev_b64 v[74:75], 3, v[74:75]
	global_store_dword v[76:77], v64, off
	v_mov_b32_e32 v76, s69
	v_add_co_u32_e32 v74, vcc, s68, v74
	v_addc_co_u32_e32 v75, vcc, v76, v75, vcc
	s_waitcnt vmcnt(1)
	global_store_dwordx2 v[74:75], v[72:73], off
	s_or_b64 exec, exec, s[50:51]
	s_and_saveexec_b64 s[50:51], s[16:17]
	s_cbranch_execnz .LBB233_125
	s_branch .LBB233_126
.LBB233_141:                            ;   in Loop: Header=BB233_21 Depth=1
	v_add_co_u32_e32 v72, vcc, v51, v62
	v_addc_co_u32_e32 v73, vcc, 0, v71, vcc
	v_add_co_u32_e32 v74, vcc, v60, v34
	v_addc_co_u32_e32 v75, vcc, v61, v35, vcc
	;; [unrolled: 2-line block ×3, first 2 shown]
	v_cndmask_b32_e64 v73, v75, v73, s[0:1]
	v_cndmask_b32_e64 v72, v74, v72, s[0:1]
	global_load_dwordx2 v[72:73], v[72:73], off
	v_add_co_u32_e32 v74, vcc, v50, v0
	v_addc_co_u32_e32 v75, vcc, 0, v17, vcc
	v_lshlrev_b64 v[76:77], 2, v[74:75]
	v_mov_b32_e32 v78, s5
	v_add_co_u32_e32 v76, vcc, s4, v76
	v_addc_co_u32_e32 v77, vcc, v78, v77, vcc
	v_lshlrev_b64 v[74:75], 3, v[74:75]
	global_store_dword v[76:77], v63, off
	v_mov_b32_e32 v63, s47
	v_add_co_u32_e32 v74, vcc, s46, v74
	v_addc_co_u32_e32 v75, vcc, v63, v75, vcc
	s_waitcnt vmcnt(1)
	global_store_dwordx2 v[74:75], v[72:73], off
	s_or_b64 exec, exec, s[50:51]
	s_and_saveexec_b64 s[50:51], s[20:21]
	s_cbranch_execz .LBB233_128
.LBB233_142:                            ;   in Loop: Header=BB233_21 Depth=1
	v_add_co_u32_e32 v63, vcc, v51, v62
	v_addc_co_u32_e32 v72, vcc, 0, v71, vcc
	v_add_co_u32_e32 v63, vcc, s72, v63
	v_addc_co_u32_e32 v72, vcc, 0, v72, vcc
	;; [unrolled: 2-line block ×4, first 2 shown]
	v_cndmask_b32_e64 v73, v73, v72, s[0:1]
	v_cndmask_b32_e64 v72, v75, v63, s[0:1]
	global_load_dwordx2 v[72:73], v[72:73], off
	v_add_co_u32_e32 v74, vcc, v50, v0
	v_addc_co_u32_e32 v75, vcc, 0, v17, vcc
	v_lshlrev_b64 v[76:77], 2, v[74:75]
	v_mov_b32_e32 v63, s33
	v_add_co_u32_e32 v76, vcc, s39, v76
	v_addc_co_u32_e32 v77, vcc, v63, v77, vcc
	v_lshlrev_b64 v[74:75], 3, v[74:75]
	v_mov_b32_e32 v63, s53
	v_add_co_u32_e32 v74, vcc, s52, v74
	v_addc_co_u32_e32 v75, vcc, v63, v75, vcc
	global_store_dword v[76:77], v69, off
	s_waitcnt vmcnt(1)
	global_store_dwordx2 v[74:75], v[72:73], off
	s_or_b64 exec, exec, s[50:51]
	s_and_saveexec_b64 s[50:51], s[22:23]
	s_cbranch_execz .LBB233_129
.LBB233_143:                            ;   in Loop: Header=BB233_21 Depth=1
	v_add_co_u32_e32 v63, vcc, v51, v62
	v_addc_co_u32_e32 v69, vcc, 0, v71, vcc
	v_add_co_u32_e32 v63, vcc, s73, v63
	v_addc_co_u32_e32 v69, vcc, 0, v69, vcc
	;; [unrolled: 2-line block ×4, first 2 shown]
	v_cndmask_b32_e64 v73, v73, v69, s[0:1]
	v_cndmask_b32_e64 v72, v72, v63, s[0:1]
	global_load_dwordx2 v[72:73], v[72:73], off
	v_add_co_u32_e32 v74, vcc, v50, v0
	v_addc_co_u32_e32 v75, vcc, 0, v17, vcc
	v_lshlrev_b64 v[76:77], 2, v[74:75]
	v_mov_b32_e32 v63, s55
	v_add_co_u32_e32 v76, vcc, s54, v76
	v_addc_co_u32_e32 v77, vcc, v63, v77, vcc
	global_store_dword v[76:77], v68, off
	v_lshlrev_b64 v[68:69], 3, v[74:75]
	v_mov_b32_e32 v63, s57
	v_add_co_u32_e32 v68, vcc, s56, v68
	v_addc_co_u32_e32 v69, vcc, v63, v69, vcc
	s_waitcnt vmcnt(1)
	global_store_dwordx2 v[68:69], v[72:73], off
	s_or_b64 exec, exec, s[50:51]
	s_and_saveexec_b64 s[50:51], s[24:25]
	s_cbranch_execz .LBB233_130
.LBB233_144:                            ;   in Loop: Header=BB233_21 Depth=1
	v_add_co_u32_e32 v63, vcc, v51, v62
	v_addc_co_u32_e32 v68, vcc, 0, v71, vcc
	v_add_co_u32_e32 v63, vcc, s74, v63
	v_addc_co_u32_e32 v68, vcc, 0, v68, vcc
	;; [unrolled: 2-line block ×4, first 2 shown]
	v_cndmask_b32_e64 v69, v69, v68, s[0:1]
	v_cndmask_b32_e64 v68, v73, v63, s[0:1]
	global_load_dwordx2 v[68:69], v[68:69], off
	v_add_co_u32_e32 v72, vcc, v50, v0
	v_addc_co_u32_e32 v73, vcc, 0, v17, vcc
	v_lshlrev_b64 v[74:75], 2, v[72:73]
	v_mov_b32_e32 v63, s11
	v_add_co_u32_e32 v74, vcc, s10, v74
	v_addc_co_u32_e32 v75, vcc, v63, v75, vcc
	v_lshlrev_b64 v[72:73], 3, v[72:73]
	v_mov_b32_e32 v63, s59
	v_add_co_u32_e32 v72, vcc, s58, v72
	v_addc_co_u32_e32 v73, vcc, v63, v73, vcc
	global_store_dword v[74:75], v67, off
	s_waitcnt vmcnt(1)
	global_store_dwordx2 v[72:73], v[68:69], off
	s_or_b64 exec, exec, s[50:51]
	s_and_saveexec_b64 s[50:51], s[26:27]
	s_cbranch_execz .LBB233_131
.LBB233_145:                            ;   in Loop: Header=BB233_21 Depth=1
	v_add_co_u32_e32 v63, vcc, v51, v62
	v_addc_co_u32_e32 v67, vcc, 0, v71, vcc
	v_add_co_u32_e32 v63, vcc, s75, v63
	v_addc_co_u32_e32 v67, vcc, 0, v67, vcc
	;; [unrolled: 2-line block ×4, first 2 shown]
	v_cndmask_b32_e64 v69, v69, v67, s[0:1]
	v_cndmask_b32_e64 v68, v68, v63, s[0:1]
	global_load_dwordx2 v[68:69], v[68:69], off
	v_add_co_u32_e32 v72, vcc, v50, v0
	v_addc_co_u32_e32 v73, vcc, 0, v17, vcc
	v_lshlrev_b64 v[74:75], 2, v[72:73]
	v_mov_b32_e32 v63, s61
	v_add_co_u32_e32 v74, vcc, s60, v74
	v_addc_co_u32_e32 v75, vcc, v63, v75, vcc
	global_store_dword v[74:75], v66, off
	v_lshlrev_b64 v[66:67], 3, v[72:73]
	v_mov_b32_e32 v63, s63
	v_add_co_u32_e32 v66, vcc, s62, v66
	v_addc_co_u32_e32 v67, vcc, v63, v67, vcc
	s_waitcnt vmcnt(1)
	global_store_dwordx2 v[66:67], v[68:69], off
	s_or_b64 exec, exec, s[50:51]
	s_and_saveexec_b64 s[50:51], s[28:29]
	s_cbranch_execz .LBB233_132
.LBB233_146:                            ;   in Loop: Header=BB233_21 Depth=1
	v_add_co_u32_e32 v63, vcc, v51, v62
	v_addc_co_u32_e32 v66, vcc, 0, v71, vcc
	v_add_co_u32_e32 v63, vcc, s76, v63
	v_addc_co_u32_e32 v66, vcc, 0, v66, vcc
	;; [unrolled: 2-line block ×4, first 2 shown]
	v_cndmask_b32_e64 v67, v67, v66, s[0:1]
	v_cndmask_b32_e64 v66, v69, v63, s[0:1]
	global_load_dwordx2 v[66:67], v[66:67], off
	v_add_co_u32_e32 v68, vcc, v50, v0
	v_addc_co_u32_e32 v69, vcc, 0, v17, vcc
	v_lshlrev_b64 v[72:73], 2, v[68:69]
	v_mov_b32_e32 v63, s3
	v_add_co_u32_e32 v72, vcc, s2, v72
	v_addc_co_u32_e32 v73, vcc, v63, v73, vcc
	v_lshlrev_b64 v[68:69], 3, v[68:69]
	v_mov_b32_e32 v63, s65
	v_add_co_u32_e32 v68, vcc, s64, v68
	v_addc_co_u32_e32 v69, vcc, v63, v69, vcc
	global_store_dword v[72:73], v65, off
	s_waitcnt vmcnt(1)
	global_store_dwordx2 v[68:69], v[66:67], off
	s_or_b64 exec, exec, s[50:51]
	s_and_saveexec_b64 s[50:51], s[30:31]
	s_cbranch_execz .LBB233_133
.LBB233_147:                            ;   in Loop: Header=BB233_21 Depth=1
	v_add_co_u32_e32 v63, vcc, v51, v62
	v_addc_co_u32_e32 v65, vcc, 0, v71, vcc
	v_add_co_u32_e32 v63, vcc, s77, v63
	v_addc_co_u32_e32 v65, vcc, 0, v65, vcc
	;; [unrolled: 2-line block ×4, first 2 shown]
	v_cndmask_b32_e64 v67, v67, v65, s[0:1]
	v_cndmask_b32_e64 v66, v66, v63, s[0:1]
	global_load_dwordx2 v[66:67], v[66:67], off
	v_add_co_u32_e32 v68, vcc, v50, v0
	v_addc_co_u32_e32 v69, vcc, 0, v17, vcc
	v_lshlrev_b64 v[72:73], 2, v[68:69]
	v_mov_b32_e32 v63, s67
	v_add_co_u32_e32 v72, vcc, s66, v72
	v_addc_co_u32_e32 v73, vcc, v63, v73, vcc
	global_store_dword v[72:73], v64, off
	v_lshlrev_b64 v[64:65], 3, v[68:69]
	v_mov_b32_e32 v63, s69
	v_add_co_u32_e32 v64, vcc, s68, v64
	v_addc_co_u32_e32 v65, vcc, v63, v65, vcc
	s_waitcnt vmcnt(1)
	global_store_dwordx2 v[64:65], v[66:67], off
	s_or_b64 exec, exec, s[50:51]
	s_and_saveexec_b64 s[50:51], s[18:19]
	s_cbranch_execz .LBB233_20
.LBB233_148:                            ;   in Loop: Header=BB233_21 Depth=1
	v_add_co_u32_e32 v51, vcc, v51, v62
	v_addc_co_u32_e32 v62, vcc, 0, v71, vcc
	v_add_co_u32_e32 v60, vcc, v60, v48
	v_addc_co_u32_e32 v61, vcc, v61, v49, vcc
	v_cndmask_b32_e64 v61, v61, v62, s[0:1]
	v_cndmask_b32_e64 v60, v60, v51, s[0:1]
	global_load_dwordx2 v[60:61], v[60:61], off offset:1792
	v_add_co_u32_e32 v50, vcc, v50, v0
	v_addc_co_u32_e32 v51, vcc, 0, v17, vcc
	v_lshlrev_b64 v[62:63], 2, v[50:51]
	v_mov_b32_e32 v17, s13
	v_add_co_u32_e32 v62, vcc, s12, v62
	v_addc_co_u32_e32 v63, vcc, v17, v63, vcc
	v_lshlrev_b64 v[50:51], 3, v[50:51]
	v_mov_b32_e32 v17, s71
	v_add_co_u32_e32 v50, vcc, s70, v50
	v_addc_co_u32_e32 v51, vcc, v17, v51, vcc
	global_store_dword v[62:63], v70, off
	s_waitcnt vmcnt(1)
	global_store_dwordx2 v[50:51], v[60:61], off
	s_branch .LBB233_20
.LBB233_149:
	s_endpgm
	.section	.rodata,"a",@progbits
	.p2align	6, 0x0
	.amdhsa_kernel _ZN9rocsparseL35bsr2csr_block_per_row_33_256_kernelILj1024ELj256ELj32EdliEEv20rocsparse_direction_T4_S2_21rocsparse_index_base_PKT2_PKT3_PKS2_S2_S3_PS4_PS7_PS2_
		.amdhsa_group_segment_fixed_size 0
		.amdhsa_private_segment_fixed_size 0
		.amdhsa_kernarg_size 72
		.amdhsa_user_sgpr_count 6
		.amdhsa_user_sgpr_private_segment_buffer 1
		.amdhsa_user_sgpr_dispatch_ptr 0
		.amdhsa_user_sgpr_queue_ptr 0
		.amdhsa_user_sgpr_kernarg_segment_ptr 1
		.amdhsa_user_sgpr_dispatch_id 0
		.amdhsa_user_sgpr_flat_scratch_init 0
		.amdhsa_user_sgpr_kernarg_preload_length 0
		.amdhsa_user_sgpr_kernarg_preload_offset 0
		.amdhsa_user_sgpr_private_segment_size 0
		.amdhsa_uses_dynamic_stack 0
		.amdhsa_system_sgpr_private_segment_wavefront_offset 0
		.amdhsa_system_sgpr_workgroup_id_x 1
		.amdhsa_system_sgpr_workgroup_id_y 0
		.amdhsa_system_sgpr_workgroup_id_z 0
		.amdhsa_system_sgpr_workgroup_info 0
		.amdhsa_system_vgpr_workitem_id 0
		.amdhsa_next_free_vgpr 81
		.amdhsa_next_free_sgpr 96
		.amdhsa_accum_offset 84
		.amdhsa_reserve_vcc 1
		.amdhsa_reserve_flat_scratch 0
		.amdhsa_float_round_mode_32 0
		.amdhsa_float_round_mode_16_64 0
		.amdhsa_float_denorm_mode_32 3
		.amdhsa_float_denorm_mode_16_64 3
		.amdhsa_dx10_clamp 1
		.amdhsa_ieee_mode 1
		.amdhsa_fp16_overflow 0
		.amdhsa_tg_split 0
		.amdhsa_exception_fp_ieee_invalid_op 0
		.amdhsa_exception_fp_denorm_src 0
		.amdhsa_exception_fp_ieee_div_zero 0
		.amdhsa_exception_fp_ieee_overflow 0
		.amdhsa_exception_fp_ieee_underflow 0
		.amdhsa_exception_fp_ieee_inexact 0
		.amdhsa_exception_int_div_zero 0
	.end_amdhsa_kernel
	.section	.text._ZN9rocsparseL35bsr2csr_block_per_row_33_256_kernelILj1024ELj256ELj32EdliEEv20rocsparse_direction_T4_S2_21rocsparse_index_base_PKT2_PKT3_PKS2_S2_S3_PS4_PS7_PS2_,"axG",@progbits,_ZN9rocsparseL35bsr2csr_block_per_row_33_256_kernelILj1024ELj256ELj32EdliEEv20rocsparse_direction_T4_S2_21rocsparse_index_base_PKT2_PKT3_PKS2_S2_S3_PS4_PS7_PS2_,comdat
.Lfunc_end233:
	.size	_ZN9rocsparseL35bsr2csr_block_per_row_33_256_kernelILj1024ELj256ELj32EdliEEv20rocsparse_direction_T4_S2_21rocsparse_index_base_PKT2_PKT3_PKS2_S2_S3_PS4_PS7_PS2_, .Lfunc_end233-_ZN9rocsparseL35bsr2csr_block_per_row_33_256_kernelILj1024ELj256ELj32EdliEEv20rocsparse_direction_T4_S2_21rocsparse_index_base_PKT2_PKT3_PKS2_S2_S3_PS4_PS7_PS2_
                                        ; -- End function
	.section	.AMDGPU.csdata,"",@progbits
; Kernel info:
; codeLenInByte = 13488
; NumSgprs: 100
; NumVgprs: 81
; NumAgprs: 0
; TotalNumVgprs: 81
; ScratchSize: 0
; MemoryBound: 0
; FloatMode: 240
; IeeeMode: 1
; LDSByteSize: 0 bytes/workgroup (compile time only)
; SGPRBlocks: 12
; VGPRBlocks: 10
; NumSGPRsForWavesPerEU: 100
; NumVGPRsForWavesPerEU: 81
; AccumOffset: 84
; Occupancy: 5
; WaveLimiterHint : 1
; COMPUTE_PGM_RSRC2:SCRATCH_EN: 0
; COMPUTE_PGM_RSRC2:USER_SGPR: 6
; COMPUTE_PGM_RSRC2:TRAP_HANDLER: 0
; COMPUTE_PGM_RSRC2:TGID_X_EN: 1
; COMPUTE_PGM_RSRC2:TGID_Y_EN: 0
; COMPUTE_PGM_RSRC2:TGID_Z_EN: 0
; COMPUTE_PGM_RSRC2:TIDIG_COMP_CNT: 0
; COMPUTE_PGM_RSRC3_GFX90A:ACCUM_OFFSET: 20
; COMPUTE_PGM_RSRC3_GFX90A:TG_SPLIT: 0
	.section	.text._ZN9rocsparseL35bsr2csr_block_dim_equals_one_kernelILj1024EdilEEvT2_S1_21rocsparse_index_base_PKT0_PKT1_PKS1_S2_PS3_PS6_PS1_,"axG",@progbits,_ZN9rocsparseL35bsr2csr_block_dim_equals_one_kernelILj1024EdilEEvT2_S1_21rocsparse_index_base_PKT0_PKT1_PKS1_S2_PS3_PS6_PS1_,comdat
	.globl	_ZN9rocsparseL35bsr2csr_block_dim_equals_one_kernelILj1024EdilEEvT2_S1_21rocsparse_index_base_PKT0_PKT1_PKS1_S2_PS3_PS6_PS1_ ; -- Begin function _ZN9rocsparseL35bsr2csr_block_dim_equals_one_kernelILj1024EdilEEvT2_S1_21rocsparse_index_base_PKT0_PKT1_PKS1_S2_PS3_PS6_PS1_
	.p2align	8
	.type	_ZN9rocsparseL35bsr2csr_block_dim_equals_one_kernelILj1024EdilEEvT2_S1_21rocsparse_index_base_PKT0_PKT1_PKS1_S2_PS3_PS6_PS1_,@function
_ZN9rocsparseL35bsr2csr_block_dim_equals_one_kernelILj1024EdilEEvT2_S1_21rocsparse_index_base_PKT0_PKT1_PKS1_S2_PS3_PS6_PS1_: ; @_ZN9rocsparseL35bsr2csr_block_dim_equals_one_kernelILj1024EdilEEvT2_S1_21rocsparse_index_base_PKT0_PKT1_PKS1_S2_PS3_PS6_PS1_
; %bb.0:
	v_lshl_or_b32 v0, s6, 10, v0
	v_mov_b32_e32 v1, 0
	s_load_dwordx2 s[14:15], s[4:5], 0x0
	s_load_dword s20, s[4:5], 0x10
	s_load_dwordx4 s[0:3], s[4:5], 0x18
	s_load_dwordx2 s[8:9], s[4:5], 0x28
	s_load_dword s21, s[4:5], 0x30
	s_load_dwordx2 s[10:11], s[4:5], 0x48
	s_load_dwordx2 s[12:13], s[4:5], 0x38
	s_waitcnt lgkmcnt(0)
	v_cmp_gt_i64_e32 vcc, s[14:15], v[0:1]
	s_and_saveexec_b64 s[6:7], vcc
	s_cbranch_execz .LBB234_6
; %bb.1:
	s_load_dwordx2 s[16:17], s[4:5], 0x40
	v_cmp_ne_u32_e32 vcc, 0, v0
                                        ; implicit-def: $sgpr22
	s_and_saveexec_b64 s[18:19], vcc
	s_xor_b64 s[18:19], exec, s[18:19]
; %bb.2:
	s_sub_i32 s22, s21, s20
; %bb.3:
	s_or_saveexec_b64 s[18:19], s[18:19]
	v_mov_b32_e32 v2, s22
	s_xor_b64 exec, exec, s[18:19]
	s_cbranch_execz .LBB234_5
; %bb.4:
	s_load_dword s22, s[2:3], 0x0
	s_sub_i32 s23, s21, s20
	v_mov_b32_e32 v2, 0
	s_waitcnt lgkmcnt(0)
	s_add_i32 s22, s23, s22
	v_mov_b32_e32 v3, s22
	global_store_dword v2, v3, s[16:17]
	v_mov_b32_e32 v2, s23
.LBB234_5:
	s_or_b64 exec, exec, s[18:19]
	v_lshlrev_b64 v[4:5], 2, v[0:1]
	v_mov_b32_e32 v3, s3
	v_add_co_u32_e32 v6, vcc, s2, v4
	v_addc_co_u32_e32 v7, vcc, v3, v5, vcc
	global_load_dword v3, v[6:7], off offset:4
	s_waitcnt lgkmcnt(0)
	v_mov_b32_e32 v6, s17
	s_waitcnt vmcnt(0)
	v_add_u32_e32 v7, v2, v3
	v_add_co_u32_e32 v2, vcc, s16, v4
	v_addc_co_u32_e32 v3, vcc, v6, v5, vcc
	global_store_dword v[2:3], v7, off offset:4
.LBB234_6:
	s_or_b64 exec, exec, s[6:7]
	s_lshl_b64 s[6:7], s[14:15], 2
	s_add_u32 s6, s2, s6
	s_addc_u32 s7, s3, s7
	s_load_dword s14, s[6:7], 0x0
	s_load_dword s15, s[2:3], 0x0
	s_waitcnt lgkmcnt(0)
	s_sub_i32 s2, s14, s15
	s_ashr_i32 s3, s2, 31
	v_cmp_gt_i64_e32 vcc, s[2:3], v[0:1]
	s_and_saveexec_b64 s[6:7], vcc
	s_cbranch_execz .LBB234_9
; %bb.7:
	s_load_dword s4, s[4:5], 0x50
	s_sub_u32 s16, s21, s20
	s_mov_b32 s5, 0
	s_subb_u32 s17, 0, 0
	v_lshlrev_b64 v[2:3], 3, v[0:1]
	s_waitcnt lgkmcnt(0)
	s_lshl_b32 s4, s4, 10
	s_lshl_b64 s[6:7], s[4:5], 3
	s_mov_b64 s[14:15], 0
	v_mov_b32_e32 v4, s9
	v_mov_b32_e32 v5, s17
	;; [unrolled: 1-line block ×7, first 2 shown]
.LBB234_8:                              ; =>This Inner Loop Header: Depth=1
	v_add_co_u32_e32 v12, vcc, s8, v2
	v_addc_co_u32_e32 v13, vcc, v4, v3, vcc
	v_add_co_u32_e32 v14, vcc, s0, v2
	v_addc_co_u32_e32 v15, vcc, v7, v3, vcc
	global_load_dwordx2 v[16:17], v[12:13], off
	global_load_dwordx2 v[18:19], v[14:15], off
	v_add_co_u32_e32 v12, vcc, s10, v2
	v_addc_co_u32_e32 v13, vcc, v6, v3, vcc
	v_add_co_u32_e32 v14, vcc, s12, v2
	v_addc_co_u32_e32 v15, vcc, v8, v3, vcc
	;; [unrolled: 2-line block ×4, first 2 shown]
	v_cmp_le_i64_e32 vcc, s[2:3], v[0:1]
	s_or_b64 s[14:15], vcc, s[14:15]
	s_waitcnt vmcnt(1)
	v_add_co_u32_e32 v16, vcc, s16, v16
	v_addc_co_u32_e32 v17, vcc, v5, v17, vcc
	s_waitcnt vmcnt(0)
	global_store_dwordx2 v[14:15], v[18:19], off
	global_store_dwordx2 v[12:13], v[16:17], off
	s_andn2_b64 exec, exec, s[14:15]
	s_cbranch_execnz .LBB234_8
.LBB234_9:
	s_endpgm
	.section	.rodata,"a",@progbits
	.p2align	6, 0x0
	.amdhsa_kernel _ZN9rocsparseL35bsr2csr_block_dim_equals_one_kernelILj1024EdilEEvT2_S1_21rocsparse_index_base_PKT0_PKT1_PKS1_S2_PS3_PS6_PS1_
		.amdhsa_group_segment_fixed_size 0
		.amdhsa_private_segment_fixed_size 0
		.amdhsa_kernarg_size 336
		.amdhsa_user_sgpr_count 6
		.amdhsa_user_sgpr_private_segment_buffer 1
		.amdhsa_user_sgpr_dispatch_ptr 0
		.amdhsa_user_sgpr_queue_ptr 0
		.amdhsa_user_sgpr_kernarg_segment_ptr 1
		.amdhsa_user_sgpr_dispatch_id 0
		.amdhsa_user_sgpr_flat_scratch_init 0
		.amdhsa_user_sgpr_kernarg_preload_length 0
		.amdhsa_user_sgpr_kernarg_preload_offset 0
		.amdhsa_user_sgpr_private_segment_size 0
		.amdhsa_uses_dynamic_stack 0
		.amdhsa_system_sgpr_private_segment_wavefront_offset 0
		.amdhsa_system_sgpr_workgroup_id_x 1
		.amdhsa_system_sgpr_workgroup_id_y 0
		.amdhsa_system_sgpr_workgroup_id_z 0
		.amdhsa_system_sgpr_workgroup_info 0
		.amdhsa_system_vgpr_workitem_id 0
		.amdhsa_next_free_vgpr 20
		.amdhsa_next_free_sgpr 24
		.amdhsa_accum_offset 20
		.amdhsa_reserve_vcc 1
		.amdhsa_reserve_flat_scratch 0
		.amdhsa_float_round_mode_32 0
		.amdhsa_float_round_mode_16_64 0
		.amdhsa_float_denorm_mode_32 3
		.amdhsa_float_denorm_mode_16_64 3
		.amdhsa_dx10_clamp 1
		.amdhsa_ieee_mode 1
		.amdhsa_fp16_overflow 0
		.amdhsa_tg_split 0
		.amdhsa_exception_fp_ieee_invalid_op 0
		.amdhsa_exception_fp_denorm_src 0
		.amdhsa_exception_fp_ieee_div_zero 0
		.amdhsa_exception_fp_ieee_overflow 0
		.amdhsa_exception_fp_ieee_underflow 0
		.amdhsa_exception_fp_ieee_inexact 0
		.amdhsa_exception_int_div_zero 0
	.end_amdhsa_kernel
	.section	.text._ZN9rocsparseL35bsr2csr_block_dim_equals_one_kernelILj1024EdilEEvT2_S1_21rocsparse_index_base_PKT0_PKT1_PKS1_S2_PS3_PS6_PS1_,"axG",@progbits,_ZN9rocsparseL35bsr2csr_block_dim_equals_one_kernelILj1024EdilEEvT2_S1_21rocsparse_index_base_PKT0_PKT1_PKS1_S2_PS3_PS6_PS1_,comdat
.Lfunc_end234:
	.size	_ZN9rocsparseL35bsr2csr_block_dim_equals_one_kernelILj1024EdilEEvT2_S1_21rocsparse_index_base_PKT0_PKT1_PKS1_S2_PS3_PS6_PS1_, .Lfunc_end234-_ZN9rocsparseL35bsr2csr_block_dim_equals_one_kernelILj1024EdilEEvT2_S1_21rocsparse_index_base_PKT0_PKT1_PKS1_S2_PS3_PS6_PS1_
                                        ; -- End function
	.section	.AMDGPU.csdata,"",@progbits
; Kernel info:
; codeLenInByte = 472
; NumSgprs: 28
; NumVgprs: 20
; NumAgprs: 0
; TotalNumVgprs: 20
; ScratchSize: 0
; MemoryBound: 0
; FloatMode: 240
; IeeeMode: 1
; LDSByteSize: 0 bytes/workgroup (compile time only)
; SGPRBlocks: 3
; VGPRBlocks: 2
; NumSGPRsForWavesPerEU: 28
; NumVGPRsForWavesPerEU: 20
; AccumOffset: 20
; Occupancy: 8
; WaveLimiterHint : 0
; COMPUTE_PGM_RSRC2:SCRATCH_EN: 0
; COMPUTE_PGM_RSRC2:USER_SGPR: 6
; COMPUTE_PGM_RSRC2:TRAP_HANDLER: 0
; COMPUTE_PGM_RSRC2:TGID_X_EN: 1
; COMPUTE_PGM_RSRC2:TGID_Y_EN: 0
; COMPUTE_PGM_RSRC2:TGID_Z_EN: 0
; COMPUTE_PGM_RSRC2:TIDIG_COMP_CNT: 0
; COMPUTE_PGM_RSRC3_GFX90A:ACCUM_OFFSET: 4
; COMPUTE_PGM_RSRC3_GFX90A:TG_SPLIT: 0
	.section	.text._ZN9rocsparseL32bsr2csr_block_per_row_2_7_kernelILj256ELj2EdilEEv20rocsparse_direction_T3_S2_21rocsparse_index_base_PKT1_PKT2_PKS2_S2_S3_PS4_PS7_PS2_,"axG",@progbits,_ZN9rocsparseL32bsr2csr_block_per_row_2_7_kernelILj256ELj2EdilEEv20rocsparse_direction_T3_S2_21rocsparse_index_base_PKT1_PKT2_PKS2_S2_S3_PS4_PS7_PS2_,comdat
	.globl	_ZN9rocsparseL32bsr2csr_block_per_row_2_7_kernelILj256ELj2EdilEEv20rocsparse_direction_T3_S2_21rocsparse_index_base_PKT1_PKT2_PKS2_S2_S3_PS4_PS7_PS2_ ; -- Begin function _ZN9rocsparseL32bsr2csr_block_per_row_2_7_kernelILj256ELj2EdilEEv20rocsparse_direction_T3_S2_21rocsparse_index_base_PKT1_PKT2_PKS2_S2_S3_PS4_PS7_PS2_
	.p2align	8
	.type	_ZN9rocsparseL32bsr2csr_block_per_row_2_7_kernelILj256ELj2EdilEEv20rocsparse_direction_T3_S2_21rocsparse_index_base_PKT1_PKT2_PKS2_S2_S3_PS4_PS7_PS2_,@function
_ZN9rocsparseL32bsr2csr_block_per_row_2_7_kernelILj256ELj2EdilEEv20rocsparse_direction_T3_S2_21rocsparse_index_base_PKT1_PKT2_PKS2_S2_S3_PS4_PS7_PS2_: ; @_ZN9rocsparseL32bsr2csr_block_per_row_2_7_kernelILj256ELj2EdilEEv20rocsparse_direction_T3_S2_21rocsparse_index_base_PKT1_PKT2_PKS2_S2_S3_PS4_PS7_PS2_
; %bb.0:
	s_load_dwordx2 s[0:1], s[4:5], 0x28
	s_load_dword s12, s[4:5], 0x40
	s_load_dwordx2 s[2:3], s[4:5], 0x50
	s_mov_b32 s7, 0
	s_lshl_b64 s[8:9], s[6:7], 2
	s_waitcnt lgkmcnt(0)
	s_add_u32 s0, s0, s8
	s_addc_u32 s1, s1, s9
	s_load_dwordx2 s[0:1], s[0:1], 0x0
	v_or_b32_e32 v1, s6, v0
	v_cmp_eq_u32_e32 vcc, 0, v1
	s_and_saveexec_b64 s[8:9], vcc
	s_cbranch_execz .LBB235_2
; %bb.1:
	v_mov_b32_e32 v1, 0
	v_mov_b32_e32 v2, s12
	global_store_dword v1, v2, s[2:3]
.LBB235_2:
	s_or_b64 exec, exec, s[8:9]
	s_load_dword s13, s[4:5], 0x18
	v_and_b32_e32 v10, 1, v0
	s_lshl_b64 s[6:7], s[6:7], 3
	v_lshl_or_b32 v3, v10, 2, s6
	v_mov_b32_e32 v5, s7
	s_waitcnt lgkmcnt(0)
	s_sub_i32 s8, s0, s13
	s_sub_i32 s14, s1, s13
	;; [unrolled: 1-line block ×3, first 2 shown]
	s_lshl_b32 s9, s9, 1
	s_lshl_b32 s1, s8, 2
	v_mul_lo_u32 v2, s9, v10
	s_add_i32 s9, s9, s12
	s_add_i32 s9, s9, s1
	v_mov_b32_e32 v6, s3
	v_add_co_u32_e32 v4, vcc, s2, v3
	v_lshrrev_b32_e32 v1, 1, v0
	v_add_u32_e32 v0, s9, v2
	v_addc_co_u32_e32 v5, vcc, v6, v5, vcc
	global_store_dword v[4:5], v0, off offset:4
	v_add_u32_e32 v0, s8, v1
	v_cmp_gt_i32_e32 vcc, s14, v0
	s_and_saveexec_b64 s[2:3], vcc
	s_cbranch_execz .LBB235_5
; %bb.3:
	s_load_dwordx2 s[2:3], s[4:5], 0x30
	s_load_dwordx2 s[6:7], s[4:5], 0x48
	;; [unrolled: 1-line block ×3, first 2 shown]
	s_load_dword s1, s[4:5], 0x0
	s_load_dwordx2 s[10:11], s[4:5], 0x58
	v_lshlrev_b32_e32 v1, 1, v1
	v_mov_b32_e32 v3, 0
	s_mov_b32 s17, 0
	s_waitcnt lgkmcnt(0)
	s_cmp_eq_u32 s1, 0
	s_cselect_b64 vcc, -1, 0
	s_add_u32 s15, s8, 8
	s_addc_u32 s1, s9, 0
	s_add_u32 s16, s8, 16
	s_addc_u32 s19, s9, 0
	s_lshl_b32 s0, s0, 2
	v_add3_u32 v1, v2, s0, v1
	s_lshl_b32 s0, s13, 2
	v_lshlrev_b32_e32 v4, 1, v10
	v_mov_b32_e32 v5, v3
	v_subrev_u32_e32 v6, s0, v1
	v_lshlrev_b32_e32 v11, 2, v0
	s_mov_b64 s[4:5], 0
	v_mov_b32_e32 v12, s3
	v_mov_b32_e32 v13, s17
	;; [unrolled: 1-line block ×9, first 2 shown]
.LBB235_4:                              ; =>This Inner Loop Header: Depth=1
	v_ashrrev_i32_e32 v1, 31, v0
	v_lshlrev_b64 v[22:23], 3, v[0:1]
	v_add_u32_e32 v2, v10, v11
	v_or_b32_e32 v20, v4, v11
	v_mov_b32_e32 v21, v5
	v_add_co_u32_e64 v22, s[0:1], s2, v22
	v_cndmask_b32_e32 v8, v2, v20, vcc
	v_lshlrev_b64 v[20:21], 3, v[20:21]
	v_addc_co_u32_e64 v23, s[0:1], v12, v23, s[0:1]
	v_add_co_u32_e64 v1, s[0:1], s15, v20
	v_lshlrev_b64 v[24:25], 3, v[2:3]
	v_addc_co_u32_e64 v2, s[0:1], v18, v21, s[0:1]
	v_add_co_u32_e64 v7, s[0:1], s16, v24
	v_lshlrev_b64 v[26:27], 3, v[8:9]
	v_addc_co_u32_e64 v8, s[0:1], v19, v25, s[0:1]
	global_load_dwordx2 v[24:25], v[22:23], off
	v_add_co_u32_e64 v26, s[0:1], s8, v26
	v_addc_co_u32_e64 v27, s[0:1], v16, v27, s[0:1]
	v_cndmask_b32_e32 v29, v8, v2, vcc
	v_cndmask_b32_e32 v28, v7, v1, vcc
	global_load_dwordx2 v[20:21], v[26:27], off
	global_load_dwordx2 v[22:23], v[28:29], off
	v_ashrrev_i32_e32 v7, 31, v6
	v_lshlrev_b64 v[26:27], 3, v[6:7]
	v_add_co_u32_e64 v28, s[0:1], s10, v26
	v_addc_co_u32_e64 v29, s[0:1], v15, v27, s[0:1]
	v_add_co_u32_e64 v26, s[0:1], s6, v26
	v_add_u32_e32 v0, 0x80, v0
	v_addc_co_u32_e64 v27, s[0:1], v17, v27, s[0:1]
	v_cmp_le_i32_e64 s[0:1], s14, v0
	s_or_b64 s[4:5], s[0:1], s[4:5]
	v_add_u32_e32 v11, 0x200, v11
	v_add_u32_e32 v6, 0x100, v6
	s_waitcnt vmcnt(2)
	v_subrev_co_u32_e64 v24, s[0:1], s13, v24
	v_subb_co_u32_e64 v25, s[0:1], v25, v13, s[0:1]
	v_lshlrev_b64 v[24:25], 1, v[24:25]
	s_waitcnt vmcnt(0)
	global_store_dwordx4 v[26:27], v[20:23], off
	s_nop 0
	v_add_co_u32_e64 v20, s[0:1], s12, v24
	v_addc_co_u32_e64 v21, s[0:1], v25, v14, s[0:1]
	v_add_co_u32_e64 v22, s[0:1], 1, v20
	v_addc_co_u32_e64 v23, s[0:1], 0, v21, s[0:1]
	global_store_dwordx4 v[28:29], v[20:23], off
	s_andn2_b64 exec, exec, s[4:5]
	s_cbranch_execnz .LBB235_4
.LBB235_5:
	s_endpgm
	.section	.rodata,"a",@progbits
	.p2align	6, 0x0
	.amdhsa_kernel _ZN9rocsparseL32bsr2csr_block_per_row_2_7_kernelILj256ELj2EdilEEv20rocsparse_direction_T3_S2_21rocsparse_index_base_PKT1_PKT2_PKS2_S2_S3_PS4_PS7_PS2_
		.amdhsa_group_segment_fixed_size 0
		.amdhsa_private_segment_fixed_size 0
		.amdhsa_kernarg_size 96
		.amdhsa_user_sgpr_count 6
		.amdhsa_user_sgpr_private_segment_buffer 1
		.amdhsa_user_sgpr_dispatch_ptr 0
		.amdhsa_user_sgpr_queue_ptr 0
		.amdhsa_user_sgpr_kernarg_segment_ptr 1
		.amdhsa_user_sgpr_dispatch_id 0
		.amdhsa_user_sgpr_flat_scratch_init 0
		.amdhsa_user_sgpr_kernarg_preload_length 0
		.amdhsa_user_sgpr_kernarg_preload_offset 0
		.amdhsa_user_sgpr_private_segment_size 0
		.amdhsa_uses_dynamic_stack 0
		.amdhsa_system_sgpr_private_segment_wavefront_offset 0
		.amdhsa_system_sgpr_workgroup_id_x 1
		.amdhsa_system_sgpr_workgroup_id_y 0
		.amdhsa_system_sgpr_workgroup_id_z 0
		.amdhsa_system_sgpr_workgroup_info 0
		.amdhsa_system_vgpr_workitem_id 0
		.amdhsa_next_free_vgpr 30
		.amdhsa_next_free_sgpr 20
		.amdhsa_accum_offset 32
		.amdhsa_reserve_vcc 1
		.amdhsa_reserve_flat_scratch 0
		.amdhsa_float_round_mode_32 0
		.amdhsa_float_round_mode_16_64 0
		.amdhsa_float_denorm_mode_32 3
		.amdhsa_float_denorm_mode_16_64 3
		.amdhsa_dx10_clamp 1
		.amdhsa_ieee_mode 1
		.amdhsa_fp16_overflow 0
		.amdhsa_tg_split 0
		.amdhsa_exception_fp_ieee_invalid_op 0
		.amdhsa_exception_fp_denorm_src 0
		.amdhsa_exception_fp_ieee_div_zero 0
		.amdhsa_exception_fp_ieee_overflow 0
		.amdhsa_exception_fp_ieee_underflow 0
		.amdhsa_exception_fp_ieee_inexact 0
		.amdhsa_exception_int_div_zero 0
	.end_amdhsa_kernel
	.section	.text._ZN9rocsparseL32bsr2csr_block_per_row_2_7_kernelILj256ELj2EdilEEv20rocsparse_direction_T3_S2_21rocsparse_index_base_PKT1_PKT2_PKS2_S2_S3_PS4_PS7_PS2_,"axG",@progbits,_ZN9rocsparseL32bsr2csr_block_per_row_2_7_kernelILj256ELj2EdilEEv20rocsparse_direction_T3_S2_21rocsparse_index_base_PKT1_PKT2_PKS2_S2_S3_PS4_PS7_PS2_,comdat
.Lfunc_end235:
	.size	_ZN9rocsparseL32bsr2csr_block_per_row_2_7_kernelILj256ELj2EdilEEv20rocsparse_direction_T3_S2_21rocsparse_index_base_PKT1_PKT2_PKS2_S2_S3_PS4_PS7_PS2_, .Lfunc_end235-_ZN9rocsparseL32bsr2csr_block_per_row_2_7_kernelILj256ELj2EdilEEv20rocsparse_direction_T3_S2_21rocsparse_index_base_PKT1_PKT2_PKS2_S2_S3_PS4_PS7_PS2_
                                        ; -- End function
	.section	.AMDGPU.csdata,"",@progbits
; Kernel info:
; codeLenInByte = 676
; NumSgprs: 24
; NumVgprs: 30
; NumAgprs: 0
; TotalNumVgprs: 30
; ScratchSize: 0
; MemoryBound: 0
; FloatMode: 240
; IeeeMode: 1
; LDSByteSize: 0 bytes/workgroup (compile time only)
; SGPRBlocks: 2
; VGPRBlocks: 3
; NumSGPRsForWavesPerEU: 24
; NumVGPRsForWavesPerEU: 30
; AccumOffset: 32
; Occupancy: 8
; WaveLimiterHint : 0
; COMPUTE_PGM_RSRC2:SCRATCH_EN: 0
; COMPUTE_PGM_RSRC2:USER_SGPR: 6
; COMPUTE_PGM_RSRC2:TRAP_HANDLER: 0
; COMPUTE_PGM_RSRC2:TGID_X_EN: 1
; COMPUTE_PGM_RSRC2:TGID_Y_EN: 0
; COMPUTE_PGM_RSRC2:TGID_Z_EN: 0
; COMPUTE_PGM_RSRC2:TIDIG_COMP_CNT: 0
; COMPUTE_PGM_RSRC3_GFX90A:ACCUM_OFFSET: 7
; COMPUTE_PGM_RSRC3_GFX90A:TG_SPLIT: 0
	.section	.text._ZN9rocsparseL32bsr2csr_block_per_row_2_7_kernelILj256ELj3EdilEEv20rocsparse_direction_T3_S2_21rocsparse_index_base_PKT1_PKT2_PKS2_S2_S3_PS4_PS7_PS2_,"axG",@progbits,_ZN9rocsparseL32bsr2csr_block_per_row_2_7_kernelILj256ELj3EdilEEv20rocsparse_direction_T3_S2_21rocsparse_index_base_PKT1_PKT2_PKS2_S2_S3_PS4_PS7_PS2_,comdat
	.globl	_ZN9rocsparseL32bsr2csr_block_per_row_2_7_kernelILj256ELj3EdilEEv20rocsparse_direction_T3_S2_21rocsparse_index_base_PKT1_PKT2_PKS2_S2_S3_PS4_PS7_PS2_ ; -- Begin function _ZN9rocsparseL32bsr2csr_block_per_row_2_7_kernelILj256ELj3EdilEEv20rocsparse_direction_T3_S2_21rocsparse_index_base_PKT1_PKT2_PKS2_S2_S3_PS4_PS7_PS2_
	.p2align	8
	.type	_ZN9rocsparseL32bsr2csr_block_per_row_2_7_kernelILj256ELj3EdilEEv20rocsparse_direction_T3_S2_21rocsparse_index_base_PKT1_PKT2_PKS2_S2_S3_PS4_PS7_PS2_,@function
_ZN9rocsparseL32bsr2csr_block_per_row_2_7_kernelILj256ELj3EdilEEv20rocsparse_direction_T3_S2_21rocsparse_index_base_PKT1_PKT2_PKS2_S2_S3_PS4_PS7_PS2_: ; @_ZN9rocsparseL32bsr2csr_block_per_row_2_7_kernelILj256ELj3EdilEEv20rocsparse_direction_T3_S2_21rocsparse_index_base_PKT1_PKT2_PKS2_S2_S3_PS4_PS7_PS2_
; %bb.0:
	s_load_dwordx2 s[2:3], s[4:5], 0x28
	s_load_dword s8, s[4:5], 0x40
	s_load_dwordx2 s[0:1], s[4:5], 0x50
	s_mov_b32 s7, 0
	s_lshl_b64 s[10:11], s[6:7], 2
	s_waitcnt lgkmcnt(0)
	s_add_u32 s10, s2, s10
	v_or_b32_e32 v1, s6, v0
	s_addc_u32 s11, s3, s11
	v_cmp_eq_u32_e32 vcc, 0, v1
	s_and_saveexec_b64 s[2:3], vcc
	s_cbranch_execz .LBB236_2
; %bb.1:
	v_mov_b32_e32 v1, 0
	v_mov_b32_e32 v2, s8
	global_store_dword v1, v2, s[0:1]
.LBB236_2:
	s_or_b64 exec, exec, s[2:3]
	v_and_b32_e32 v1, 3, v0
	v_cmp_ne_u32_e32 vcc, 3, v1
	s_and_saveexec_b64 s[2:3], vcc
	s_cbranch_execz .LBB236_6
; %bb.3:
	s_load_dwordx2 s[2:3], s[10:11], 0x0
	s_load_dword s14, s[4:5], 0x18
	v_lshrrev_b32_e32 v4, 2, v0
	v_lshlrev_b32_e32 v2, 2, v1
	s_waitcnt lgkmcnt(0)
	s_sub_i32 s7, s2, s14
	s_sub_i32 s15, s3, s14
	;; [unrolled: 1-line block ×3, first 2 shown]
	s_mul_i32 s9, s9, 3
	s_mul_i32 s3, s7, 9
	v_mul_lo_u32 v5, s9, v1
	s_add_i32 s9, s9, s8
	s_add_i32 s9, s9, s3
	s_mul_hi_u32 s3, s6, 12
	s_mul_i32 s6, s6, 12
	s_add_u32 s0, s0, s6
	v_add_u32_e32 v0, s9, v5
	s_addc_u32 s1, s1, s3
	global_store_dword v2, v0, s[0:1] offset:4
	v_add_u32_e32 v0, s7, v4
	v_cmp_gt_i32_e32 vcc, s15, v0
	s_and_b64 exec, exec, vcc
	s_cbranch_execz .LBB236_6
; %bb.4:
	s_load_dwordx2 s[6:7], s[4:5], 0x30
	s_load_dwordx2 s[10:11], s[4:5], 0x48
	;; [unrolled: 1-line block ×3, first 2 shown]
	s_load_dword s3, s[4:5], 0x0
	s_load_dwordx2 s[12:13], s[4:5], 0x58
	v_lshlrev_b32_e32 v2, 3, v1
	v_lshlrev_b32_e32 v1, 4, v1
	s_waitcnt lgkmcnt(0)
	v_mov_b32_e32 v7, s1
	v_add_co_u32_e64 v6, s[0:1], s0, v2
	v_addc_co_u32_e64 v7, s[0:1], 0, v7, s[0:1]
	v_add_co_u32_e64 v8, s[0:1], v6, v1
	v_addc_co_u32_e64 v9, s[0:1], 0, v7, s[0:1]
	s_mul_i32 s0, s2, 9
	v_mul_u32_u24_e32 v1, 3, v4
	s_mov_b32 s16, 0
	s_cmp_eq_u32 s3, 0
	v_add3_u32 v1, v5, s0, v1
	s_mul_i32 s0, s14, 9
	v_mov_b32_e32 v3, 0
	s_mov_b32 s9, s16
	s_cselect_b64 vcc, -1, 0
	v_lshl_add_u32 v2, v0, 3, v0
	v_subrev_u32_e32 v4, s0, v1
	s_mov_b64 s[4:5], 0
	v_mov_b32_e32 v10, s7
	v_mov_b32_e32 v11, s16
	;; [unrolled: 1-line block ×4, first 2 shown]
.LBB236_5:                              ; =>This Inner Loop Header: Depth=1
	v_ashrrev_i32_e32 v1, 31, v0
	v_lshlrev_b64 v[14:15], 3, v[2:3]
	v_lshlrev_b64 v[16:17], 3, v[0:1]
	v_add_co_u32_e64 v1, s[0:1], v6, v14
	v_addc_co_u32_e64 v5, s[0:1], v7, v15, s[0:1]
	v_add_co_u32_e64 v14, s[0:1], v8, v14
	v_addc_co_u32_e64 v15, s[0:1], v9, v15, s[0:1]
	v_add_co_u32_e64 v16, s[0:1], s6, v16
	v_addc_co_u32_e64 v17, s[0:1], v10, v17, s[0:1]
	v_add_co_u32_e64 v22, s[0:1], 8, v14
	v_addc_co_u32_e64 v23, s[0:1], 0, v15, s[0:1]
	v_add_co_u32_e64 v24, s[0:1], 24, v1
	v_addc_co_u32_e64 v25, s[0:1], 0, v5, s[0:1]
	v_add_co_u32_e64 v26, s[0:1], 16, v14
	v_addc_co_u32_e64 v27, s[0:1], 0, v15, s[0:1]
	v_cndmask_b32_e32 v19, v5, v15, vcc
	v_cndmask_b32_e32 v18, v1, v14, vcc
	v_add_co_u32_e64 v1, s[0:1], 48, v1
	v_addc_co_u32_e64 v5, s[0:1], 0, v5, s[0:1]
	global_load_dwordx2 v[20:21], v[16:17], off
	global_load_dwordx2 v[14:15], v[18:19], off
	v_cndmask_b32_e32 v19, v25, v23, vcc
	v_cndmask_b32_e32 v18, v24, v22, vcc
	v_cndmask_b32_e32 v23, v5, v27, vcc
	v_cndmask_b32_e32 v22, v1, v26, vcc
	global_load_dwordx2 v[16:17], v[18:19], off
	global_load_dwordx2 v[24:25], v[22:23], off
	v_ashrrev_i32_e32 v5, 31, v4
	v_lshlrev_b64 v[18:19], 3, v[4:5]
	v_add_co_u32_e64 v22, s[0:1], s12, v18
	v_addc_co_u32_e64 v23, s[0:1], v12, v19, s[0:1]
	v_add_co_u32_e64 v18, s[0:1], s10, v18
	v_add_u32_e32 v0, 64, v0
	v_addc_co_u32_e64 v19, s[0:1], v13, v19, s[0:1]
	v_cmp_le_i32_e64 s[0:1], s15, v0
	s_or_b64 s[4:5], s[0:1], s[4:5]
	v_add_u32_e32 v2, 0x240, v2
	v_add_u32_e32 v4, 0xc0, v4
	s_waitcnt vmcnt(1)
	global_store_dwordx4 v[18:19], v[14:17], off
	s_waitcnt vmcnt(1)
	global_store_dwordx2 v[18:19], v[24:25], off offset:16
	v_subrev_co_u32_e64 v1, s[0:1], s14, v20
	v_subb_co_u32_e64 v5, s[0:1], v21, v11, s[0:1]
	v_mad_u64_u32 v[20:21], s[0:1], v1, 3, s[8:9]
	v_mov_b32_e32 v16, v21
	v_mad_u64_u32 v[16:17], s[0:1], v5, 3, v[16:17]
	v_mov_b32_e32 v1, v16
	v_mov_b32_e32 v15, v16
	v_add_co_u32_e64 v16, s[2:3], 1, v20
	v_mov_b32_e32 v14, v20
	v_add_co_u32_e64 v18, s[0:1], 2, v20
	v_addc_co_u32_e64 v17, s[2:3], 0, v1, s[2:3]
	v_addc_co_u32_e64 v19, s[0:1], 0, v1, s[0:1]
	global_store_dwordx4 v[22:23], v[14:17], off
	global_store_dwordx2 v[22:23], v[18:19], off offset:16
	s_andn2_b64 exec, exec, s[4:5]
	s_cbranch_execnz .LBB236_5
.LBB236_6:
	s_endpgm
	.section	.rodata,"a",@progbits
	.p2align	6, 0x0
	.amdhsa_kernel _ZN9rocsparseL32bsr2csr_block_per_row_2_7_kernelILj256ELj3EdilEEv20rocsparse_direction_T3_S2_21rocsparse_index_base_PKT1_PKT2_PKS2_S2_S3_PS4_PS7_PS2_
		.amdhsa_group_segment_fixed_size 0
		.amdhsa_private_segment_fixed_size 0
		.amdhsa_kernarg_size 96
		.amdhsa_user_sgpr_count 6
		.amdhsa_user_sgpr_private_segment_buffer 1
		.amdhsa_user_sgpr_dispatch_ptr 0
		.amdhsa_user_sgpr_queue_ptr 0
		.amdhsa_user_sgpr_kernarg_segment_ptr 1
		.amdhsa_user_sgpr_dispatch_id 0
		.amdhsa_user_sgpr_flat_scratch_init 0
		.amdhsa_user_sgpr_kernarg_preload_length 0
		.amdhsa_user_sgpr_kernarg_preload_offset 0
		.amdhsa_user_sgpr_private_segment_size 0
		.amdhsa_uses_dynamic_stack 0
		.amdhsa_system_sgpr_private_segment_wavefront_offset 0
		.amdhsa_system_sgpr_workgroup_id_x 1
		.amdhsa_system_sgpr_workgroup_id_y 0
		.amdhsa_system_sgpr_workgroup_id_z 0
		.amdhsa_system_sgpr_workgroup_info 0
		.amdhsa_system_vgpr_workitem_id 0
		.amdhsa_next_free_vgpr 28
		.amdhsa_next_free_sgpr 17
		.amdhsa_accum_offset 28
		.amdhsa_reserve_vcc 1
		.amdhsa_reserve_flat_scratch 0
		.amdhsa_float_round_mode_32 0
		.amdhsa_float_round_mode_16_64 0
		.amdhsa_float_denorm_mode_32 3
		.amdhsa_float_denorm_mode_16_64 3
		.amdhsa_dx10_clamp 1
		.amdhsa_ieee_mode 1
		.amdhsa_fp16_overflow 0
		.amdhsa_tg_split 0
		.amdhsa_exception_fp_ieee_invalid_op 0
		.amdhsa_exception_fp_denorm_src 0
		.amdhsa_exception_fp_ieee_div_zero 0
		.amdhsa_exception_fp_ieee_overflow 0
		.amdhsa_exception_fp_ieee_underflow 0
		.amdhsa_exception_fp_ieee_inexact 0
		.amdhsa_exception_int_div_zero 0
	.end_amdhsa_kernel
	.section	.text._ZN9rocsparseL32bsr2csr_block_per_row_2_7_kernelILj256ELj3EdilEEv20rocsparse_direction_T3_S2_21rocsparse_index_base_PKT1_PKT2_PKS2_S2_S3_PS4_PS7_PS2_,"axG",@progbits,_ZN9rocsparseL32bsr2csr_block_per_row_2_7_kernelILj256ELj3EdilEEv20rocsparse_direction_T3_S2_21rocsparse_index_base_PKT1_PKT2_PKS2_S2_S3_PS4_PS7_PS2_,comdat
.Lfunc_end236:
	.size	_ZN9rocsparseL32bsr2csr_block_per_row_2_7_kernelILj256ELj3EdilEEv20rocsparse_direction_T3_S2_21rocsparse_index_base_PKT1_PKT2_PKS2_S2_S3_PS4_PS7_PS2_, .Lfunc_end236-_ZN9rocsparseL32bsr2csr_block_per_row_2_7_kernelILj256ELj3EdilEEv20rocsparse_direction_T3_S2_21rocsparse_index_base_PKT1_PKT2_PKS2_S2_S3_PS4_PS7_PS2_
                                        ; -- End function
	.section	.AMDGPU.csdata,"",@progbits
; Kernel info:
; codeLenInByte = 760
; NumSgprs: 21
; NumVgprs: 28
; NumAgprs: 0
; TotalNumVgprs: 28
; ScratchSize: 0
; MemoryBound: 0
; FloatMode: 240
; IeeeMode: 1
; LDSByteSize: 0 bytes/workgroup (compile time only)
; SGPRBlocks: 2
; VGPRBlocks: 3
; NumSGPRsForWavesPerEU: 21
; NumVGPRsForWavesPerEU: 28
; AccumOffset: 28
; Occupancy: 8
; WaveLimiterHint : 0
; COMPUTE_PGM_RSRC2:SCRATCH_EN: 0
; COMPUTE_PGM_RSRC2:USER_SGPR: 6
; COMPUTE_PGM_RSRC2:TRAP_HANDLER: 0
; COMPUTE_PGM_RSRC2:TGID_X_EN: 1
; COMPUTE_PGM_RSRC2:TGID_Y_EN: 0
; COMPUTE_PGM_RSRC2:TGID_Z_EN: 0
; COMPUTE_PGM_RSRC2:TIDIG_COMP_CNT: 0
; COMPUTE_PGM_RSRC3_GFX90A:ACCUM_OFFSET: 6
; COMPUTE_PGM_RSRC3_GFX90A:TG_SPLIT: 0
	.section	.text._ZN9rocsparseL32bsr2csr_block_per_row_2_7_kernelILj256ELj4EdilEEv20rocsparse_direction_T3_S2_21rocsparse_index_base_PKT1_PKT2_PKS2_S2_S3_PS4_PS7_PS2_,"axG",@progbits,_ZN9rocsparseL32bsr2csr_block_per_row_2_7_kernelILj256ELj4EdilEEv20rocsparse_direction_T3_S2_21rocsparse_index_base_PKT1_PKT2_PKS2_S2_S3_PS4_PS7_PS2_,comdat
	.globl	_ZN9rocsparseL32bsr2csr_block_per_row_2_7_kernelILj256ELj4EdilEEv20rocsparse_direction_T3_S2_21rocsparse_index_base_PKT1_PKT2_PKS2_S2_S3_PS4_PS7_PS2_ ; -- Begin function _ZN9rocsparseL32bsr2csr_block_per_row_2_7_kernelILj256ELj4EdilEEv20rocsparse_direction_T3_S2_21rocsparse_index_base_PKT1_PKT2_PKS2_S2_S3_PS4_PS7_PS2_
	.p2align	8
	.type	_ZN9rocsparseL32bsr2csr_block_per_row_2_7_kernelILj256ELj4EdilEEv20rocsparse_direction_T3_S2_21rocsparse_index_base_PKT1_PKT2_PKS2_S2_S3_PS4_PS7_PS2_,@function
_ZN9rocsparseL32bsr2csr_block_per_row_2_7_kernelILj256ELj4EdilEEv20rocsparse_direction_T3_S2_21rocsparse_index_base_PKT1_PKT2_PKS2_S2_S3_PS4_PS7_PS2_: ; @_ZN9rocsparseL32bsr2csr_block_per_row_2_7_kernelILj256ELj4EdilEEv20rocsparse_direction_T3_S2_21rocsparse_index_base_PKT1_PKT2_PKS2_S2_S3_PS4_PS7_PS2_
; %bb.0:
	s_load_dwordx2 s[0:1], s[4:5], 0x28
	s_load_dword s12, s[4:5], 0x40
	s_load_dwordx2 s[2:3], s[4:5], 0x50
	s_mov_b32 s7, 0
	s_lshl_b64 s[8:9], s[6:7], 2
	s_waitcnt lgkmcnt(0)
	s_add_u32 s0, s0, s8
	s_addc_u32 s1, s1, s9
	s_load_dwordx2 s[0:1], s[0:1], 0x0
	v_or_b32_e32 v1, s6, v0
	v_cmp_eq_u32_e32 vcc, 0, v1
	s_and_saveexec_b64 s[8:9], vcc
	s_cbranch_execz .LBB237_2
; %bb.1:
	v_mov_b32_e32 v1, 0
	v_mov_b32_e32 v2, s12
	global_store_dword v1, v2, s[2:3]
.LBB237_2:
	s_or_b64 exec, exec, s[8:9]
	s_load_dword s13, s[4:5], 0x18
	v_and_b32_e32 v10, 3, v0
	s_lshl_b64 s[6:7], s[6:7], 4
	v_lshl_or_b32 v3, v10, 2, s6
	v_mov_b32_e32 v5, s7
	s_waitcnt lgkmcnt(0)
	s_sub_i32 s8, s0, s13
	s_sub_i32 s14, s1, s13
	;; [unrolled: 1-line block ×3, first 2 shown]
	s_lshl_b32 s9, s9, 2
	s_lshl_b32 s1, s8, 4
	v_mul_lo_u32 v2, s9, v10
	s_add_i32 s9, s9, s12
	s_add_i32 s9, s9, s1
	v_mov_b32_e32 v6, s3
	v_add_co_u32_e32 v4, vcc, s2, v3
	v_lshrrev_b32_e32 v1, 2, v0
	v_add_u32_e32 v0, s9, v2
	v_addc_co_u32_e32 v5, vcc, v6, v5, vcc
	global_store_dword v[4:5], v0, off offset:4
	v_add_u32_e32 v0, s8, v1
	v_cmp_gt_i32_e32 vcc, s14, v0
	s_and_saveexec_b64 s[2:3], vcc
	s_cbranch_execz .LBB237_5
; %bb.3:
	s_load_dwordx2 s[2:3], s[4:5], 0x30
	s_load_dwordx2 s[6:7], s[4:5], 0x48
	;; [unrolled: 1-line block ×3, first 2 shown]
	s_load_dword s1, s[4:5], 0x0
	s_load_dwordx2 s[10:11], s[4:5], 0x58
	v_lshlrev_b32_e32 v1, 2, v1
	v_mov_b32_e32 v3, 0
	s_mov_b32 s15, 0
	s_waitcnt lgkmcnt(0)
	s_cmp_eq_u32 s1, 0
	s_cselect_b64 vcc, -1, 0
	s_lshl_b32 s0, s0, 4
	v_add3_u32 v1, v2, s0, v1
	s_lshl_b32 s0, s13, 4
	v_lshlrev_b32_e32 v4, 2, v10
	v_mov_b32_e32 v5, v3
	v_subrev_u32_e32 v6, s0, v1
	v_lshlrev_b32_e32 v11, 4, v0
	s_mov_b64 s[4:5], 0
	v_mov_b32_e32 v12, s3
	v_mov_b32_e32 v13, s15
	;; [unrolled: 1-line block ×6, first 2 shown]
	s_movk_i32 s3, 0x60
	v_mov_b32_e32 v9, 0
.LBB237_4:                              ; =>This Inner Loop Header: Depth=1
	v_ashrrev_i32_e32 v1, 31, v0
	v_lshlrev_b64 v[20:21], 3, v[0:1]
	v_add_u32_e32 v2, v10, v11
	v_or_b32_e32 v18, v4, v11
	v_mov_b32_e32 v19, v5
	v_add_co_u32_e64 v20, s[0:1], s2, v20
	v_cndmask_b32_e32 v8, v2, v18, vcc
	v_lshlrev_b64 v[18:19], 3, v[18:19]
	v_addc_co_u32_e64 v21, s[0:1], v12, v21, s[0:1]
	v_add_co_u32_e64 v1, s[0:1], s8, v18
	v_lshlrev_b64 v[22:23], 3, v[2:3]
	v_addc_co_u32_e64 v2, s[0:1], v16, v19, s[0:1]
	v_add_co_u32_e64 v7, s[0:1], s8, v22
	;; [unrolled: 3-line block ×3, first 2 shown]
	v_addc_co_u32_e64 v19, s[0:1], v16, v25, s[0:1]
	global_load_dwordx2 v[26:27], v[20:21], off
	v_add_co_u32_e64 v20, s[0:1], 8, v1
	v_addc_co_u32_e64 v21, s[0:1], 0, v2, s[0:1]
	v_add_co_u32_e64 v22, s[0:1], 32, v7
	v_addc_co_u32_e64 v23, s[0:1], 0, v8, s[0:1]
	;; [unrolled: 2-line block ×6, first 2 shown]
	v_cndmask_b32_e32 v29, v23, v21, vcc
	v_cndmask_b32_e32 v28, v22, v20, vcc
	global_load_dwordx2 v[18:19], v[18:19], off
	v_cndmask_b32_e32 v31, v31, v25, vcc
	v_cndmask_b32_e32 v30, v30, v24, vcc
	;; [unrolled: 1-line block ×4, first 2 shown]
	global_load_dwordx2 v[20:21], v[28:29], off
	global_load_dwordx2 v[22:23], v[30:31], off
	;; [unrolled: 1-line block ×3, first 2 shown]
	v_ashrrev_i32_e32 v7, 31, v6
	v_lshlrev_b64 v[28:29], 3, v[6:7]
	v_add_co_u32_e64 v30, s[0:1], s10, v28
	v_addc_co_u32_e64 v31, s[0:1], v15, v29, s[0:1]
	v_add_co_u32_e64 v28, s[0:1], s6, v28
	v_add_u32_e32 v0, 64, v0
	v_addc_co_u32_e64 v29, s[0:1], v17, v29, s[0:1]
	v_cmp_le_i32_e64 s[0:1], s14, v0
	s_or_b64 s[4:5], s[0:1], s[4:5]
	v_add_u32_e32 v11, 0x400, v11
	v_add_u32_e32 v6, 0x100, v6
	s_waitcnt vmcnt(2)
	global_store_dwordx4 v[28:29], v[18:21], off
	s_waitcnt vmcnt(1)
	global_store_dwordx4 v[28:29], v[22:25], off offset:16
	v_subrev_co_u32_e64 v26, s[0:1], s13, v26
	v_subb_co_u32_e64 v27, s[0:1], v27, v13, s[0:1]
	v_lshlrev_b64 v[26:27], 2, v[26:27]
	v_add_co_u32_e64 v26, s[0:1], s12, v26
	v_addc_co_u32_e64 v27, s[0:1], v27, v14, s[0:1]
	v_add_co_u32_e64 v28, s[0:1], 1, v26
	v_addc_co_u32_e64 v29, s[0:1], 0, v27, s[0:1]
	;; [unrolled: 2-line block ×4, first 2 shown]
	global_store_dwordx4 v[30:31], v[26:29], off
	global_store_dwordx4 v[30:31], v[18:21], off offset:16
	s_andn2_b64 exec, exec, s[4:5]
	s_cbranch_execnz .LBB237_4
.LBB237_5:
	s_endpgm
	.section	.rodata,"a",@progbits
	.p2align	6, 0x0
	.amdhsa_kernel _ZN9rocsparseL32bsr2csr_block_per_row_2_7_kernelILj256ELj4EdilEEv20rocsparse_direction_T3_S2_21rocsparse_index_base_PKT1_PKT2_PKS2_S2_S3_PS4_PS7_PS2_
		.amdhsa_group_segment_fixed_size 0
		.amdhsa_private_segment_fixed_size 0
		.amdhsa_kernarg_size 96
		.amdhsa_user_sgpr_count 6
		.amdhsa_user_sgpr_private_segment_buffer 1
		.amdhsa_user_sgpr_dispatch_ptr 0
		.amdhsa_user_sgpr_queue_ptr 0
		.amdhsa_user_sgpr_kernarg_segment_ptr 1
		.amdhsa_user_sgpr_dispatch_id 0
		.amdhsa_user_sgpr_flat_scratch_init 0
		.amdhsa_user_sgpr_kernarg_preload_length 0
		.amdhsa_user_sgpr_kernarg_preload_offset 0
		.amdhsa_user_sgpr_private_segment_size 0
		.amdhsa_uses_dynamic_stack 0
		.amdhsa_system_sgpr_private_segment_wavefront_offset 0
		.amdhsa_system_sgpr_workgroup_id_x 1
		.amdhsa_system_sgpr_workgroup_id_y 0
		.amdhsa_system_sgpr_workgroup_id_z 0
		.amdhsa_system_sgpr_workgroup_info 0
		.amdhsa_system_vgpr_workitem_id 0
		.amdhsa_next_free_vgpr 34
		.amdhsa_next_free_sgpr 16
		.amdhsa_accum_offset 36
		.amdhsa_reserve_vcc 1
		.amdhsa_reserve_flat_scratch 0
		.amdhsa_float_round_mode_32 0
		.amdhsa_float_round_mode_16_64 0
		.amdhsa_float_denorm_mode_32 3
		.amdhsa_float_denorm_mode_16_64 3
		.amdhsa_dx10_clamp 1
		.amdhsa_ieee_mode 1
		.amdhsa_fp16_overflow 0
		.amdhsa_tg_split 0
		.amdhsa_exception_fp_ieee_invalid_op 0
		.amdhsa_exception_fp_denorm_src 0
		.amdhsa_exception_fp_ieee_div_zero 0
		.amdhsa_exception_fp_ieee_overflow 0
		.amdhsa_exception_fp_ieee_underflow 0
		.amdhsa_exception_fp_ieee_inexact 0
		.amdhsa_exception_int_div_zero 0
	.end_amdhsa_kernel
	.section	.text._ZN9rocsparseL32bsr2csr_block_per_row_2_7_kernelILj256ELj4EdilEEv20rocsparse_direction_T3_S2_21rocsparse_index_base_PKT1_PKT2_PKS2_S2_S3_PS4_PS7_PS2_,"axG",@progbits,_ZN9rocsparseL32bsr2csr_block_per_row_2_7_kernelILj256ELj4EdilEEv20rocsparse_direction_T3_S2_21rocsparse_index_base_PKT1_PKT2_PKS2_S2_S3_PS4_PS7_PS2_,comdat
.Lfunc_end237:
	.size	_ZN9rocsparseL32bsr2csr_block_per_row_2_7_kernelILj256ELj4EdilEEv20rocsparse_direction_T3_S2_21rocsparse_index_base_PKT1_PKT2_PKS2_S2_S3_PS4_PS7_PS2_, .Lfunc_end237-_ZN9rocsparseL32bsr2csr_block_per_row_2_7_kernelILj256ELj4EdilEEv20rocsparse_direction_T3_S2_21rocsparse_index_base_PKT1_PKT2_PKS2_S2_S3_PS4_PS7_PS2_
                                        ; -- End function
	.section	.AMDGPU.csdata,"",@progbits
; Kernel info:
; codeLenInByte = 824
; NumSgprs: 20
; NumVgprs: 34
; NumAgprs: 0
; TotalNumVgprs: 34
; ScratchSize: 0
; MemoryBound: 0
; FloatMode: 240
; IeeeMode: 1
; LDSByteSize: 0 bytes/workgroup (compile time only)
; SGPRBlocks: 2
; VGPRBlocks: 4
; NumSGPRsForWavesPerEU: 20
; NumVGPRsForWavesPerEU: 34
; AccumOffset: 36
; Occupancy: 8
; WaveLimiterHint : 0
; COMPUTE_PGM_RSRC2:SCRATCH_EN: 0
; COMPUTE_PGM_RSRC2:USER_SGPR: 6
; COMPUTE_PGM_RSRC2:TRAP_HANDLER: 0
; COMPUTE_PGM_RSRC2:TGID_X_EN: 1
; COMPUTE_PGM_RSRC2:TGID_Y_EN: 0
; COMPUTE_PGM_RSRC2:TGID_Z_EN: 0
; COMPUTE_PGM_RSRC2:TIDIG_COMP_CNT: 0
; COMPUTE_PGM_RSRC3_GFX90A:ACCUM_OFFSET: 8
; COMPUTE_PGM_RSRC3_GFX90A:TG_SPLIT: 0
	.section	.text._ZN9rocsparseL32bsr2csr_block_per_row_2_7_kernelILj256ELj5EdilEEv20rocsparse_direction_T3_S2_21rocsparse_index_base_PKT1_PKT2_PKS2_S2_S3_PS4_PS7_PS2_,"axG",@progbits,_ZN9rocsparseL32bsr2csr_block_per_row_2_7_kernelILj256ELj5EdilEEv20rocsparse_direction_T3_S2_21rocsparse_index_base_PKT1_PKT2_PKS2_S2_S3_PS4_PS7_PS2_,comdat
	.globl	_ZN9rocsparseL32bsr2csr_block_per_row_2_7_kernelILj256ELj5EdilEEv20rocsparse_direction_T3_S2_21rocsparse_index_base_PKT1_PKT2_PKS2_S2_S3_PS4_PS7_PS2_ ; -- Begin function _ZN9rocsparseL32bsr2csr_block_per_row_2_7_kernelILj256ELj5EdilEEv20rocsparse_direction_T3_S2_21rocsparse_index_base_PKT1_PKT2_PKS2_S2_S3_PS4_PS7_PS2_
	.p2align	8
	.type	_ZN9rocsparseL32bsr2csr_block_per_row_2_7_kernelILj256ELj5EdilEEv20rocsparse_direction_T3_S2_21rocsparse_index_base_PKT1_PKT2_PKS2_S2_S3_PS4_PS7_PS2_,@function
_ZN9rocsparseL32bsr2csr_block_per_row_2_7_kernelILj256ELj5EdilEEv20rocsparse_direction_T3_S2_21rocsparse_index_base_PKT1_PKT2_PKS2_S2_S3_PS4_PS7_PS2_: ; @_ZN9rocsparseL32bsr2csr_block_per_row_2_7_kernelILj256ELj5EdilEEv20rocsparse_direction_T3_S2_21rocsparse_index_base_PKT1_PKT2_PKS2_S2_S3_PS4_PS7_PS2_
; %bb.0:
	s_load_dwordx2 s[2:3], s[4:5], 0x28
	s_load_dword s8, s[4:5], 0x40
	s_load_dwordx2 s[0:1], s[4:5], 0x50
	s_mov_b32 s7, 0
	s_lshl_b64 s[10:11], s[6:7], 2
	s_waitcnt lgkmcnt(0)
	s_add_u32 s10, s2, s10
	v_or_b32_e32 v1, s6, v0
	s_addc_u32 s11, s3, s11
	v_cmp_eq_u32_e32 vcc, 0, v1
	s_and_saveexec_b64 s[2:3], vcc
	s_cbranch_execz .LBB238_2
; %bb.1:
	v_mov_b32_e32 v1, 0
	v_mov_b32_e32 v2, s8
	global_store_dword v1, v2, s[0:1]
.LBB238_2:
	s_or_b64 exec, exec, s[2:3]
	v_and_b32_e32 v1, 7, v0
	v_cmp_gt_u32_e32 vcc, 5, v1
	s_and_saveexec_b64 s[2:3], vcc
	s_cbranch_execz .LBB238_6
; %bb.3:
	s_load_dwordx2 s[2:3], s[10:11], 0x0
	s_load_dword s18, s[4:5], 0x18
	v_lshrrev_b32_e32 v4, 3, v0
	v_lshlrev_b32_e32 v2, 2, v1
	s_waitcnt lgkmcnt(0)
	s_sub_i32 s7, s2, s18
	s_sub_i32 s19, s3, s18
	;; [unrolled: 1-line block ×3, first 2 shown]
	s_mul_i32 s9, s9, 5
	s_mul_i32 s3, s7, 25
	v_mul_lo_u32 v5, s9, v1
	s_add_i32 s9, s9, s8
	s_add_i32 s9, s9, s3
	s_mul_hi_u32 s3, s6, 20
	s_mul_i32 s6, s6, 20
	s_add_u32 s0, s0, s6
	v_add_u32_e32 v0, s9, v5
	s_addc_u32 s1, s1, s3
	global_store_dword v2, v0, s[0:1] offset:4
	v_add_u32_e32 v0, s7, v4
	v_cmp_gt_i32_e32 vcc, s19, v0
	s_and_b64 exec, exec, vcc
	s_cbranch_execz .LBB238_6
; %bb.4:
	s_load_dwordx2 s[10:11], s[4:5], 0x30
	s_load_dwordx2 s[12:13], s[4:5], 0x48
	;; [unrolled: 1-line block ×3, first 2 shown]
	s_load_dword s0, s[4:5], 0x0
	s_load_dwordx2 s[14:15], s[4:5], 0x58
	v_lshlrev_b32_e32 v2, 3, v1
	v_lshlrev_b32_e32 v1, 5, v1
	s_waitcnt lgkmcnt(0)
	v_mov_b32_e32 v7, s7
	v_add_co_u32_e32 v6, vcc, s6, v2
	v_addc_co_u32_e32 v7, vcc, 0, v7, vcc
	v_add_co_u32_e32 v8, vcc, v6, v1
	s_mul_i32 s2, s2, 25
	v_mul_u32_u24_e32 v1, 5, v4
	s_mov_b32 s3, 0
	s_cmp_eq_u32 s0, 0
	v_add3_u32 v1, v5, s2, v1
	s_mul_i32 s2, s18, 25
	v_mov_b32_e32 v3, 0
	s_mov_b32 s9, s3
	s_cselect_b64 s[0:1], -1, 0
	v_addc_co_u32_e32 v9, vcc, 0, v7, vcc
	v_mul_lo_u32 v2, v0, 25
	v_subrev_u32_e32 v4, s2, v1
	s_mov_b64 s[16:17], 0
	v_mov_b32_e32 v10, s11
	v_mov_b32_e32 v11, s3
	;; [unrolled: 1-line block ×4, first 2 shown]
	s_movk_i32 s11, 0x50
	s_movk_i32 s13, 0x78
	s_movk_i32 s15, 0xa0
.LBB238_5:                              ; =>This Inner Loop Header: Depth=1
	v_ashrrev_i32_e32 v1, 31, v0
	v_lshlrev_b64 v[14:15], 3, v[2:3]
	v_lshlrev_b64 v[16:17], 3, v[0:1]
	v_add_co_u32_e32 v1, vcc, v6, v14
	v_addc_co_u32_e32 v5, vcc, v7, v15, vcc
	v_add_co_u32_e32 v14, vcc, v8, v14
	v_addc_co_u32_e32 v15, vcc, v9, v15, vcc
	;; [unrolled: 2-line block ×9, first 2 shown]
	v_add_co_u32_e32 v34, vcc, 32, v14
	v_cndmask_b32_e64 v19, v5, v15, s[0:1]
	v_cndmask_b32_e64 v18, v1, v14, s[0:1]
	v_addc_co_u32_e32 v35, vcc, 0, v15, vcc
	global_load_dwordx2 v[22:23], v[16:17], off
	global_load_dwordx2 v[14:15], v[18:19], off
	v_cndmask_b32_e64 v25, v25, v21, s[0:1]
	v_cndmask_b32_e64 v24, v24, v20, s[0:1]
	v_add_co_u32_e32 v1, vcc, s15, v1
	v_cndmask_b32_e64 v27, v29, v27, s[0:1]
	v_cndmask_b32_e64 v26, v28, v26, s[0:1]
	;; [unrolled: 1-line block ×4, first 2 shown]
	global_load_dwordx2 v[16:17], v[24:25], off
	global_load_dwordx2 v[18:19], v[26:27], off
	;; [unrolled: 1-line block ×3, first 2 shown]
	v_addc_co_u32_e32 v5, vcc, 0, v5, vcc
	v_cndmask_b32_e64 v30, v1, v34, s[0:1]
	v_cndmask_b32_e64 v31, v5, v35, s[0:1]
	global_load_dwordx2 v[24:25], v[30:31], off
	v_ashrrev_i32_e32 v5, 31, v4
	v_lshlrev_b64 v[26:27], 3, v[4:5]
	v_add_co_u32_e32 v28, vcc, s14, v26
	v_addc_co_u32_e32 v29, vcc, v12, v27, vcc
	v_add_co_u32_e32 v26, vcc, s12, v26
	v_add_u32_e32 v0, 32, v0
	v_addc_co_u32_e32 v27, vcc, v13, v27, vcc
	v_cmp_le_i32_e32 vcc, s19, v0
	s_or_b64 s[16:17], vcc, s[16:17]
	v_add_u32_e32 v2, 0x320, v2
	v_add_u32_e32 v4, 0xa0, v4
	s_waitcnt vmcnt(3)
	global_store_dwordx4 v[26:27], v[14:17], off
	s_waitcnt vmcnt(2)
	global_store_dwordx4 v[26:27], v[18:21], off offset:16
	v_subrev_co_u32_e32 v1, vcc, s18, v22
	v_subb_co_u32_e32 v5, vcc, v23, v11, vcc
	v_mad_u64_u32 v[22:23], s[2:3], v1, 5, s[8:9]
	v_mov_b32_e32 v16, v23
	v_mad_u64_u32 v[16:17], s[2:3], v5, 5, v[16:17]
	v_mov_b32_e32 v1, v16
	v_mov_b32_e32 v15, v16
	v_add_co_u32_e64 v16, s[6:7], 1, v22
	v_mov_b32_e32 v14, v22
	s_waitcnt vmcnt(2)
	global_store_dwordx2 v[26:27], v[24:25], off offset:32
	v_add_co_u32_e32 v18, vcc, 2, v22
	v_add_co_u32_e64 v20, s[2:3], 3, v22
	v_add_co_u32_e64 v24, s[4:5], 4, v22
	v_addc_co_u32_e64 v17, s[6:7], 0, v1, s[6:7]
	v_addc_co_u32_e32 v19, vcc, 0, v1, vcc
	v_addc_co_u32_e64 v21, vcc, 0, v1, s[2:3]
	v_addc_co_u32_e64 v25, vcc, 0, v1, s[4:5]
	global_store_dwordx4 v[28:29], v[14:17], off
	global_store_dwordx4 v[28:29], v[18:21], off offset:16
	global_store_dwordx2 v[28:29], v[24:25], off offset:32
	s_andn2_b64 exec, exec, s[16:17]
	s_cbranch_execnz .LBB238_5
.LBB238_6:
	s_endpgm
	.section	.rodata,"a",@progbits
	.p2align	6, 0x0
	.amdhsa_kernel _ZN9rocsparseL32bsr2csr_block_per_row_2_7_kernelILj256ELj5EdilEEv20rocsparse_direction_T3_S2_21rocsparse_index_base_PKT1_PKT2_PKS2_S2_S3_PS4_PS7_PS2_
		.amdhsa_group_segment_fixed_size 0
		.amdhsa_private_segment_fixed_size 0
		.amdhsa_kernarg_size 96
		.amdhsa_user_sgpr_count 6
		.amdhsa_user_sgpr_private_segment_buffer 1
		.amdhsa_user_sgpr_dispatch_ptr 0
		.amdhsa_user_sgpr_queue_ptr 0
		.amdhsa_user_sgpr_kernarg_segment_ptr 1
		.amdhsa_user_sgpr_dispatch_id 0
		.amdhsa_user_sgpr_flat_scratch_init 0
		.amdhsa_user_sgpr_kernarg_preload_length 0
		.amdhsa_user_sgpr_kernarg_preload_offset 0
		.amdhsa_user_sgpr_private_segment_size 0
		.amdhsa_uses_dynamic_stack 0
		.amdhsa_system_sgpr_private_segment_wavefront_offset 0
		.amdhsa_system_sgpr_workgroup_id_x 1
		.amdhsa_system_sgpr_workgroup_id_y 0
		.amdhsa_system_sgpr_workgroup_id_z 0
		.amdhsa_system_sgpr_workgroup_info 0
		.amdhsa_system_vgpr_workitem_id 0
		.amdhsa_next_free_vgpr 36
		.amdhsa_next_free_sgpr 20
		.amdhsa_accum_offset 36
		.amdhsa_reserve_vcc 1
		.amdhsa_reserve_flat_scratch 0
		.amdhsa_float_round_mode_32 0
		.amdhsa_float_round_mode_16_64 0
		.amdhsa_float_denorm_mode_32 3
		.amdhsa_float_denorm_mode_16_64 3
		.amdhsa_dx10_clamp 1
		.amdhsa_ieee_mode 1
		.amdhsa_fp16_overflow 0
		.amdhsa_tg_split 0
		.amdhsa_exception_fp_ieee_invalid_op 0
		.amdhsa_exception_fp_denorm_src 0
		.amdhsa_exception_fp_ieee_div_zero 0
		.amdhsa_exception_fp_ieee_overflow 0
		.amdhsa_exception_fp_ieee_underflow 0
		.amdhsa_exception_fp_ieee_inexact 0
		.amdhsa_exception_int_div_zero 0
	.end_amdhsa_kernel
	.section	.text._ZN9rocsparseL32bsr2csr_block_per_row_2_7_kernelILj256ELj5EdilEEv20rocsparse_direction_T3_S2_21rocsparse_index_base_PKT1_PKT2_PKS2_S2_S3_PS4_PS7_PS2_,"axG",@progbits,_ZN9rocsparseL32bsr2csr_block_per_row_2_7_kernelILj256ELj5EdilEEv20rocsparse_direction_T3_S2_21rocsparse_index_base_PKT1_PKT2_PKS2_S2_S3_PS4_PS7_PS2_,comdat
.Lfunc_end238:
	.size	_ZN9rocsparseL32bsr2csr_block_per_row_2_7_kernelILj256ELj5EdilEEv20rocsparse_direction_T3_S2_21rocsparse_index_base_PKT1_PKT2_PKS2_S2_S3_PS4_PS7_PS2_, .Lfunc_end238-_ZN9rocsparseL32bsr2csr_block_per_row_2_7_kernelILj256ELj5EdilEEv20rocsparse_direction_T3_S2_21rocsparse_index_base_PKT1_PKT2_PKS2_S2_S3_PS4_PS7_PS2_
                                        ; -- End function
	.section	.AMDGPU.csdata,"",@progbits
; Kernel info:
; codeLenInByte = 820
; NumSgprs: 24
; NumVgprs: 36
; NumAgprs: 0
; TotalNumVgprs: 36
; ScratchSize: 0
; MemoryBound: 0
; FloatMode: 240
; IeeeMode: 1
; LDSByteSize: 0 bytes/workgroup (compile time only)
; SGPRBlocks: 2
; VGPRBlocks: 4
; NumSGPRsForWavesPerEU: 24
; NumVGPRsForWavesPerEU: 36
; AccumOffset: 36
; Occupancy: 8
; WaveLimiterHint : 0
; COMPUTE_PGM_RSRC2:SCRATCH_EN: 0
; COMPUTE_PGM_RSRC2:USER_SGPR: 6
; COMPUTE_PGM_RSRC2:TRAP_HANDLER: 0
; COMPUTE_PGM_RSRC2:TGID_X_EN: 1
; COMPUTE_PGM_RSRC2:TGID_Y_EN: 0
; COMPUTE_PGM_RSRC2:TGID_Z_EN: 0
; COMPUTE_PGM_RSRC2:TIDIG_COMP_CNT: 0
; COMPUTE_PGM_RSRC3_GFX90A:ACCUM_OFFSET: 8
; COMPUTE_PGM_RSRC3_GFX90A:TG_SPLIT: 0
	.section	.text._ZN9rocsparseL32bsr2csr_block_per_row_2_7_kernelILj256ELj6EdilEEv20rocsparse_direction_T3_S2_21rocsparse_index_base_PKT1_PKT2_PKS2_S2_S3_PS4_PS7_PS2_,"axG",@progbits,_ZN9rocsparseL32bsr2csr_block_per_row_2_7_kernelILj256ELj6EdilEEv20rocsparse_direction_T3_S2_21rocsparse_index_base_PKT1_PKT2_PKS2_S2_S3_PS4_PS7_PS2_,comdat
	.globl	_ZN9rocsparseL32bsr2csr_block_per_row_2_7_kernelILj256ELj6EdilEEv20rocsparse_direction_T3_S2_21rocsparse_index_base_PKT1_PKT2_PKS2_S2_S3_PS4_PS7_PS2_ ; -- Begin function _ZN9rocsparseL32bsr2csr_block_per_row_2_7_kernelILj256ELj6EdilEEv20rocsparse_direction_T3_S2_21rocsparse_index_base_PKT1_PKT2_PKS2_S2_S3_PS4_PS7_PS2_
	.p2align	8
	.type	_ZN9rocsparseL32bsr2csr_block_per_row_2_7_kernelILj256ELj6EdilEEv20rocsparse_direction_T3_S2_21rocsparse_index_base_PKT1_PKT2_PKS2_S2_S3_PS4_PS7_PS2_,@function
_ZN9rocsparseL32bsr2csr_block_per_row_2_7_kernelILj256ELj6EdilEEv20rocsparse_direction_T3_S2_21rocsparse_index_base_PKT1_PKT2_PKS2_S2_S3_PS4_PS7_PS2_: ; @_ZN9rocsparseL32bsr2csr_block_per_row_2_7_kernelILj256ELj6EdilEEv20rocsparse_direction_T3_S2_21rocsparse_index_base_PKT1_PKT2_PKS2_S2_S3_PS4_PS7_PS2_
; %bb.0:
	s_load_dwordx2 s[2:3], s[4:5], 0x28
	s_load_dword s10, s[4:5], 0x40
	s_load_dwordx2 s[0:1], s[4:5], 0x50
	s_mov_b32 s7, 0
	s_lshl_b64 s[8:9], s[6:7], 2
	s_waitcnt lgkmcnt(0)
	s_add_u32 s8, s2, s8
	v_or_b32_e32 v1, s6, v0
	s_addc_u32 s9, s3, s9
	v_cmp_eq_u32_e32 vcc, 0, v1
	s_and_saveexec_b64 s[2:3], vcc
	s_cbranch_execz .LBB239_2
; %bb.1:
	v_mov_b32_e32 v1, 0
	v_mov_b32_e32 v2, s10
	global_store_dword v1, v2, s[0:1]
.LBB239_2:
	s_or_b64 exec, exec, s[2:3]
	v_and_b32_e32 v1, 7, v0
	v_cmp_gt_u32_e32 vcc, 6, v1
	s_and_saveexec_b64 s[2:3], vcc
	s_cbranch_execz .LBB239_6
; %bb.3:
	s_load_dwordx2 s[2:3], s[8:9], 0x0
	s_load_dword s20, s[4:5], 0x18
	v_lshrrev_b32_e32 v8, 3, v0
	v_lshlrev_b32_e32 v2, 2, v1
	s_waitcnt lgkmcnt(0)
	s_sub_i32 s7, s2, s20
	s_sub_i32 s21, s3, s20
	s_sub_i32 s8, s21, s7
	s_mul_i32 s8, s8, 6
	s_mul_i32 s3, s7, 36
	v_mul_lo_u32 v9, s8, v1
	s_add_i32 s8, s8, s10
	s_add_i32 s8, s8, s3
	s_mul_hi_u32 s3, s6, 24
	s_mul_i32 s6, s6, 24
	s_add_u32 s0, s0, s6
	v_add_u32_e32 v0, s8, v9
	s_addc_u32 s1, s1, s3
	global_store_dword v2, v0, s[0:1] offset:4
	v_add_u32_e32 v0, s7, v8
	v_cmp_gt_i32_e32 vcc, s21, v0
	s_and_b64 exec, exec, vcc
	s_cbranch_execz .LBB239_6
; %bb.4:
	s_load_dwordx2 s[12:13], s[4:5], 0x30
	s_load_dwordx2 s[14:15], s[4:5], 0x48
	;; [unrolled: 1-line block ×3, first 2 shown]
	s_load_dword s3, s[4:5], 0x0
	s_load_dwordx2 s[16:17], s[4:5], 0x58
	v_lshlrev_b32_e32 v2, 3, v1
	s_mov_b32 s4, 0
	s_waitcnt lgkmcnt(0)
	v_mov_b32_e32 v5, s1
	v_add_co_u32_e64 v4, s[0:1], s0, v2
	v_addc_co_u32_e64 v5, s[0:1], 0, v5, s[0:1]
	v_mad_u64_u32 v[6:7], s[0:1], v1, 40, v[4:5]
	s_mul_i32 s0, s2, 36
	v_mul_u32_u24_e32 v1, 6, v8
	s_cmp_eq_u32 s3, 0
	v_add3_u32 v1, v9, s0, v1
	s_mul_i32 s0, s20, 36
	v_mov_b32_e32 v3, 0
	s_mov_b32 s11, s4
	s_cselect_b64 vcc, -1, 0
	v_mul_lo_u32 v2, v0, 36
	v_subrev_u32_e32 v8, s0, v1
	s_mov_b64 s[18:19], 0
	v_mov_b32_e32 v10, s13
	v_mov_b32_e32 v11, s4
	v_mov_b32_e32 v12, s17
	v_mov_b32_e32 v13, s15
	s_movk_i32 s13, 0x60
	s_movk_i32 s15, 0x90
	s_movk_i32 s17, 0xc0
	s_movk_i32 s22, 0xf0
.LBB239_5:                              ; =>This Inner Loop Header: Depth=1
	v_ashrrev_i32_e32 v1, 31, v0
	v_lshlrev_b64 v[14:15], 3, v[2:3]
	v_lshlrev_b64 v[16:17], 3, v[0:1]
	v_add_co_u32_e64 v1, s[0:1], v4, v14
	v_addc_co_u32_e64 v9, s[0:1], v5, v15, s[0:1]
	v_add_co_u32_e64 v14, s[0:1], v6, v14
	v_addc_co_u32_e64 v15, s[0:1], v7, v15, s[0:1]
	;; [unrolled: 2-line block ×12, first 2 shown]
	v_cndmask_b32_e32 v18, v1, v14, vcc
	v_add_co_u32_e64 v1, s[0:1], s22, v1
	v_cndmask_b32_e32 v19, v9, v15, vcc
	v_addc_co_u32_e64 v9, s[0:1], 0, v9, s[0:1]
	global_load_dwordx2 v[26:27], v[16:17], off
	global_load_dwordx2 v[14:15], v[18:19], off
	v_cndmask_b32_e32 v29, v23, v21, vcc
	v_cndmask_b32_e32 v28, v22, v20, vcc
	;; [unrolled: 1-line block ×10, first 2 shown]
	global_load_dwordx2 v[16:17], v[28:29], off
	global_load_dwordx2 v[18:19], v[30:31], off
	;; [unrolled: 1-line block ×5, first 2 shown]
	v_ashrrev_i32_e32 v9, 31, v8
	v_lshlrev_b64 v[28:29], 3, v[8:9]
	v_add_co_u32_e64 v30, s[0:1], s16, v28
	v_addc_co_u32_e64 v31, s[0:1], v12, v29, s[0:1]
	v_add_co_u32_e64 v28, s[0:1], s14, v28
	v_add_u32_e32 v0, 32, v0
	v_addc_co_u32_e64 v29, s[0:1], v13, v29, s[0:1]
	v_cmp_le_i32_e64 s[0:1], s21, v0
	s_or_b64 s[18:19], s[0:1], s[18:19]
	v_add_u32_e32 v2, 0x480, v2
	v_add_u32_e32 v8, 0xc0, v8
	s_waitcnt vmcnt(4)
	global_store_dwordx4 v[28:29], v[14:17], off
	s_waitcnt vmcnt(3)
	global_store_dwordx4 v[28:29], v[18:21], off offset:16
	s_waitcnt vmcnt(2)
	global_store_dwordx4 v[28:29], v[22:25], off offset:32
	v_subrev_co_u32_e64 v1, s[0:1], s20, v26
	v_subb_co_u32_e64 v9, s[0:1], v27, v11, s[0:1]
	v_mad_u64_u32 v[26:27], s[0:1], v1, 6, s[10:11]
	v_mov_b32_e32 v16, v27
	v_mad_u64_u32 v[16:17], s[0:1], v9, 6, v[16:17]
	v_mov_b32_e32 v1, v16
	v_mov_b32_e32 v15, v16
	v_add_co_u32_e64 v16, s[8:9], 1, v26
	v_mov_b32_e32 v14, v26
	v_add_co_u32_e64 v18, s[0:1], 2, v26
	v_add_co_u32_e64 v20, s[2:3], 3, v26
	;; [unrolled: 1-line block ×4, first 2 shown]
	v_addc_co_u32_e64 v17, s[8:9], 0, v1, s[8:9]
	v_addc_co_u32_e64 v19, s[0:1], 0, v1, s[0:1]
	;; [unrolled: 1-line block ×5, first 2 shown]
	global_store_dwordx4 v[30:31], v[14:17], off
	global_store_dwordx4 v[30:31], v[18:21], off offset:16
	global_store_dwordx4 v[30:31], v[22:25], off offset:32
	s_andn2_b64 exec, exec, s[18:19]
	s_cbranch_execnz .LBB239_5
.LBB239_6:
	s_endpgm
	.section	.rodata,"a",@progbits
	.p2align	6, 0x0
	.amdhsa_kernel _ZN9rocsparseL32bsr2csr_block_per_row_2_7_kernelILj256ELj6EdilEEv20rocsparse_direction_T3_S2_21rocsparse_index_base_PKT1_PKT2_PKS2_S2_S3_PS4_PS7_PS2_
		.amdhsa_group_segment_fixed_size 0
		.amdhsa_private_segment_fixed_size 0
		.amdhsa_kernarg_size 96
		.amdhsa_user_sgpr_count 6
		.amdhsa_user_sgpr_private_segment_buffer 1
		.amdhsa_user_sgpr_dispatch_ptr 0
		.amdhsa_user_sgpr_queue_ptr 0
		.amdhsa_user_sgpr_kernarg_segment_ptr 1
		.amdhsa_user_sgpr_dispatch_id 0
		.amdhsa_user_sgpr_flat_scratch_init 0
		.amdhsa_user_sgpr_kernarg_preload_length 0
		.amdhsa_user_sgpr_kernarg_preload_offset 0
		.amdhsa_user_sgpr_private_segment_size 0
		.amdhsa_uses_dynamic_stack 0
		.amdhsa_system_sgpr_private_segment_wavefront_offset 0
		.amdhsa_system_sgpr_workgroup_id_x 1
		.amdhsa_system_sgpr_workgroup_id_y 0
		.amdhsa_system_sgpr_workgroup_id_z 0
		.amdhsa_system_sgpr_workgroup_info 0
		.amdhsa_system_vgpr_workitem_id 0
		.amdhsa_next_free_vgpr 42
		.amdhsa_next_free_sgpr 23
		.amdhsa_accum_offset 44
		.amdhsa_reserve_vcc 1
		.amdhsa_reserve_flat_scratch 0
		.amdhsa_float_round_mode_32 0
		.amdhsa_float_round_mode_16_64 0
		.amdhsa_float_denorm_mode_32 3
		.amdhsa_float_denorm_mode_16_64 3
		.amdhsa_dx10_clamp 1
		.amdhsa_ieee_mode 1
		.amdhsa_fp16_overflow 0
		.amdhsa_tg_split 0
		.amdhsa_exception_fp_ieee_invalid_op 0
		.amdhsa_exception_fp_denorm_src 0
		.amdhsa_exception_fp_ieee_div_zero 0
		.amdhsa_exception_fp_ieee_overflow 0
		.amdhsa_exception_fp_ieee_underflow 0
		.amdhsa_exception_fp_ieee_inexact 0
		.amdhsa_exception_int_div_zero 0
	.end_amdhsa_kernel
	.section	.text._ZN9rocsparseL32bsr2csr_block_per_row_2_7_kernelILj256ELj6EdilEEv20rocsparse_direction_T3_S2_21rocsparse_index_base_PKT1_PKT2_PKS2_S2_S3_PS4_PS7_PS2_,"axG",@progbits,_ZN9rocsparseL32bsr2csr_block_per_row_2_7_kernelILj256ELj6EdilEEv20rocsparse_direction_T3_S2_21rocsparse_index_base_PKT1_PKT2_PKS2_S2_S3_PS4_PS7_PS2_,comdat
.Lfunc_end239:
	.size	_ZN9rocsparseL32bsr2csr_block_per_row_2_7_kernelILj256ELj6EdilEEv20rocsparse_direction_T3_S2_21rocsparse_index_base_PKT1_PKT2_PKS2_S2_S3_PS4_PS7_PS2_, .Lfunc_end239-_ZN9rocsparseL32bsr2csr_block_per_row_2_7_kernelILj256ELj6EdilEEv20rocsparse_direction_T3_S2_21rocsparse_index_base_PKT1_PKT2_PKS2_S2_S3_PS4_PS7_PS2_
                                        ; -- End function
	.section	.AMDGPU.csdata,"",@progbits
; Kernel info:
; codeLenInByte = 976
; NumSgprs: 27
; NumVgprs: 42
; NumAgprs: 0
; TotalNumVgprs: 42
; ScratchSize: 0
; MemoryBound: 0
; FloatMode: 240
; IeeeMode: 1
; LDSByteSize: 0 bytes/workgroup (compile time only)
; SGPRBlocks: 3
; VGPRBlocks: 5
; NumSGPRsForWavesPerEU: 27
; NumVGPRsForWavesPerEU: 42
; AccumOffset: 44
; Occupancy: 8
; WaveLimiterHint : 0
; COMPUTE_PGM_RSRC2:SCRATCH_EN: 0
; COMPUTE_PGM_RSRC2:USER_SGPR: 6
; COMPUTE_PGM_RSRC2:TRAP_HANDLER: 0
; COMPUTE_PGM_RSRC2:TGID_X_EN: 1
; COMPUTE_PGM_RSRC2:TGID_Y_EN: 0
; COMPUTE_PGM_RSRC2:TGID_Z_EN: 0
; COMPUTE_PGM_RSRC2:TIDIG_COMP_CNT: 0
; COMPUTE_PGM_RSRC3_GFX90A:ACCUM_OFFSET: 10
; COMPUTE_PGM_RSRC3_GFX90A:TG_SPLIT: 0
	.section	.text._ZN9rocsparseL32bsr2csr_block_per_row_2_7_kernelILj256ELj7EdilEEv20rocsparse_direction_T3_S2_21rocsparse_index_base_PKT1_PKT2_PKS2_S2_S3_PS4_PS7_PS2_,"axG",@progbits,_ZN9rocsparseL32bsr2csr_block_per_row_2_7_kernelILj256ELj7EdilEEv20rocsparse_direction_T3_S2_21rocsparse_index_base_PKT1_PKT2_PKS2_S2_S3_PS4_PS7_PS2_,comdat
	.globl	_ZN9rocsparseL32bsr2csr_block_per_row_2_7_kernelILj256ELj7EdilEEv20rocsparse_direction_T3_S2_21rocsparse_index_base_PKT1_PKT2_PKS2_S2_S3_PS4_PS7_PS2_ ; -- Begin function _ZN9rocsparseL32bsr2csr_block_per_row_2_7_kernelILj256ELj7EdilEEv20rocsparse_direction_T3_S2_21rocsparse_index_base_PKT1_PKT2_PKS2_S2_S3_PS4_PS7_PS2_
	.p2align	8
	.type	_ZN9rocsparseL32bsr2csr_block_per_row_2_7_kernelILj256ELj7EdilEEv20rocsparse_direction_T3_S2_21rocsparse_index_base_PKT1_PKT2_PKS2_S2_S3_PS4_PS7_PS2_,@function
_ZN9rocsparseL32bsr2csr_block_per_row_2_7_kernelILj256ELj7EdilEEv20rocsparse_direction_T3_S2_21rocsparse_index_base_PKT1_PKT2_PKS2_S2_S3_PS4_PS7_PS2_: ; @_ZN9rocsparseL32bsr2csr_block_per_row_2_7_kernelILj256ELj7EdilEEv20rocsparse_direction_T3_S2_21rocsparse_index_base_PKT1_PKT2_PKS2_S2_S3_PS4_PS7_PS2_
; %bb.0:
	s_load_dwordx2 s[2:3], s[4:5], 0x28
	s_load_dword s12, s[4:5], 0x40
	s_load_dwordx2 s[0:1], s[4:5], 0x50
	s_mov_b32 s7, 0
	s_lshl_b64 s[8:9], s[6:7], 2
	s_waitcnt lgkmcnt(0)
	s_add_u32 s8, s2, s8
	v_or_b32_e32 v1, s6, v0
	s_addc_u32 s9, s3, s9
	v_cmp_eq_u32_e32 vcc, 0, v1
	s_and_saveexec_b64 s[2:3], vcc
	s_cbranch_execz .LBB240_2
; %bb.1:
	v_mov_b32_e32 v1, 0
	v_mov_b32_e32 v2, s12
	global_store_dword v1, v2, s[0:1]
.LBB240_2:
	s_or_b64 exec, exec, s[2:3]
	v_and_b32_e32 v1, 7, v0
	v_cmp_ne_u32_e32 vcc, 7, v1
	s_and_saveexec_b64 s[2:3], vcc
	s_cbranch_execz .LBB240_6
; %bb.3:
	s_load_dwordx2 s[2:3], s[8:9], 0x0
	s_load_dword s22, s[4:5], 0x18
	v_lshrrev_b32_e32 v8, 3, v0
	v_lshlrev_b32_e32 v2, 2, v1
	s_waitcnt lgkmcnt(0)
	s_sub_i32 s7, s2, s22
	s_sub_i32 s23, s3, s22
	;; [unrolled: 1-line block ×3, first 2 shown]
	s_mul_i32 s8, s8, 7
	s_mul_i32 s3, s7, 49
	v_mul_lo_u32 v9, s8, v1
	s_add_i32 s8, s8, s12
	s_add_i32 s8, s8, s3
	s_mul_hi_u32 s3, s6, 28
	s_mul_i32 s6, s6, 28
	s_add_u32 s0, s0, s6
	v_add_u32_e32 v0, s8, v9
	s_addc_u32 s1, s1, s3
	global_store_dword v2, v0, s[0:1] offset:4
	v_add_u32_e32 v0, s7, v8
	v_cmp_gt_i32_e32 vcc, s23, v0
	s_and_b64 exec, exec, vcc
	s_cbranch_execz .LBB240_6
; %bb.4:
	s_load_dwordx2 s[14:15], s[4:5], 0x30
	s_load_dwordx2 s[16:17], s[4:5], 0x48
	;; [unrolled: 1-line block ×3, first 2 shown]
	s_load_dword s0, s[4:5], 0x0
	s_load_dwordx2 s[18:19], s[4:5], 0x58
	v_lshlrev_b32_e32 v2, 3, v1
	s_mul_i32 s2, s2, 49
	s_waitcnt lgkmcnt(0)
	v_mov_b32_e32 v5, s7
	v_add_co_u32_e32 v4, vcc, s6, v2
	v_addc_co_u32_e32 v5, vcc, 0, v5, vcc
	v_mad_u64_u32 v[6:7], s[4:5], v1, 48, v[4:5]
	v_mul_u32_u24_e32 v1, 7, v8
	s_mov_b32 s3, 0
	s_cmp_eq_u32 s0, 0
	v_add3_u32 v1, v9, s2, v1
	s_mul_i32 s2, s22, 49
	v_mov_b32_e32 v3, 0
	s_mov_b32 s13, s3
	s_cselect_b64 s[0:1], -1, 0
	v_mul_lo_u32 v2, v0, 49
	v_subrev_u32_e32 v8, s2, v1
	s_mov_b64 s[20:21], 0
	v_mov_b32_e32 v10, s15
	v_mov_b32_e32 v11, s3
	;; [unrolled: 1-line block ×4, first 2 shown]
	s_movk_i32 s15, 0x70
	s_movk_i32 s17, 0xa8
	;; [unrolled: 1-line block ×5, first 2 shown]
.LBB240_5:                              ; =>This Inner Loop Header: Depth=1
	v_ashrrev_i32_e32 v1, 31, v0
	v_lshlrev_b64 v[14:15], 3, v[2:3]
	v_lshlrev_b64 v[16:17], 3, v[0:1]
	v_add_co_u32_e32 v1, vcc, v4, v14
	v_addc_co_u32_e32 v9, vcc, v5, v15, vcc
	v_add_co_u32_e32 v14, vcc, v6, v14
	v_addc_co_u32_e32 v15, vcc, v7, v15, vcc
	v_add_co_u32_e32 v16, vcc, s14, v16
	v_addc_co_u32_e32 v17, vcc, v10, v17, vcc
	v_add_co_u32_e32 v20, vcc, 8, v14
	v_addc_co_u32_e32 v21, vcc, 0, v15, vcc
	v_add_co_u32_e32 v22, vcc, 56, v1
	v_addc_co_u32_e32 v23, vcc, 0, v9, vcc
	v_add_co_u32_e32 v24, vcc, 16, v14
	v_addc_co_u32_e32 v25, vcc, 0, v15, vcc
	v_add_co_u32_e32 v30, vcc, s15, v1
	v_addc_co_u32_e32 v31, vcc, 0, v9, vcc
	v_add_co_u32_e32 v32, vcc, 24, v14
	v_addc_co_u32_e32 v33, vcc, 0, v15, vcc
	v_add_co_u32_e32 v34, vcc, s17, v1
	v_addc_co_u32_e32 v35, vcc, 0, v9, vcc
	v_add_co_u32_e32 v36, vcc, 32, v14
	v_addc_co_u32_e32 v37, vcc, 0, v15, vcc
	v_add_co_u32_e32 v38, vcc, s19, v1
	v_addc_co_u32_e32 v39, vcc, 0, v9, vcc
	v_add_co_u32_e32 v40, vcc, 40, v14
	v_addc_co_u32_e32 v41, vcc, 0, v15, vcc
	v_add_co_u32_e32 v42, vcc, s24, v1
	v_addc_co_u32_e32 v43, vcc, 0, v9, vcc
	v_add_co_u32_e32 v44, vcc, 48, v14
	v_cndmask_b32_e64 v19, v9, v15, s[0:1]
	v_cndmask_b32_e64 v18, v1, v14, s[0:1]
	v_addc_co_u32_e32 v45, vcc, 0, v15, vcc
	global_load_dwordx2 v[26:27], v[16:17], off
	global_load_dwordx2 v[14:15], v[18:19], off
	v_cndmask_b32_e64 v29, v23, v21, s[0:1]
	v_cndmask_b32_e64 v28, v22, v20, s[0:1]
	v_add_co_u32_e32 v1, vcc, s25, v1
	v_cndmask_b32_e64 v31, v31, v25, s[0:1]
	v_cndmask_b32_e64 v30, v30, v24, s[0:1]
	;; [unrolled: 1-line block ×8, first 2 shown]
	global_load_dwordx2 v[16:17], v[28:29], off
	global_load_dwordx2 v[18:19], v[30:31], off
	;; [unrolled: 1-line block ×5, first 2 shown]
	v_addc_co_u32_e32 v9, vcc, 0, v9, vcc
	v_cndmask_b32_e64 v38, v1, v44, s[0:1]
	v_cndmask_b32_e64 v39, v9, v45, s[0:1]
	global_load_dwordx2 v[28:29], v[38:39], off
	v_ashrrev_i32_e32 v9, 31, v8
	v_lshlrev_b64 v[30:31], 3, v[8:9]
	v_add_co_u32_e32 v32, vcc, s18, v30
	v_addc_co_u32_e32 v33, vcc, v12, v31, vcc
	v_add_co_u32_e32 v30, vcc, s16, v30
	v_add_u32_e32 v0, 32, v0
	v_addc_co_u32_e32 v31, vcc, v13, v31, vcc
	v_cmp_le_i32_e32 vcc, s23, v0
	s_or_b64 s[20:21], vcc, s[20:21]
	v_add_u32_e32 v2, 0x620, v2
	v_add_u32_e32 v8, 0xe0, v8
	s_waitcnt vmcnt(5)
	global_store_dwordx4 v[30:31], v[14:17], off
	s_waitcnt vmcnt(4)
	global_store_dwordx4 v[30:31], v[18:21], off offset:16
	s_waitcnt vmcnt(3)
	global_store_dwordx4 v[30:31], v[22:25], off offset:32
	v_subrev_co_u32_e32 v1, vcc, s22, v26
	v_subb_co_u32_e32 v9, vcc, v27, v11, vcc
	v_mad_u64_u32 v[26:27], s[2:3], v1, 7, s[12:13]
	v_mov_b32_e32 v16, v27
	v_mad_u64_u32 v[16:17], s[2:3], v9, 7, v[16:17]
	v_mov_b32_e32 v1, v16
	v_mov_b32_e32 v15, v16
	v_add_co_u32_e64 v16, s[10:11], 1, v26
	v_mov_b32_e32 v14, v26
	s_waitcnt vmcnt(3)
	global_store_dwordx2 v[30:31], v[28:29], off offset:48
	v_add_co_u32_e32 v18, vcc, 2, v26
	v_add_co_u32_e64 v20, s[2:3], 3, v26
	v_add_co_u32_e64 v22, s[4:5], 4, v26
	;; [unrolled: 1-line block ×4, first 2 shown]
	v_addc_co_u32_e64 v17, s[10:11], 0, v1, s[10:11]
	v_addc_co_u32_e32 v19, vcc, 0, v1, vcc
	v_addc_co_u32_e64 v21, vcc, 0, v1, s[2:3]
	v_addc_co_u32_e64 v23, vcc, 0, v1, s[4:5]
	;; [unrolled: 1-line block ×4, first 2 shown]
	global_store_dwordx4 v[32:33], v[14:17], off
	global_store_dwordx4 v[32:33], v[18:21], off offset:16
	global_store_dwordx4 v[32:33], v[22:25], off offset:32
	global_store_dwordx2 v[32:33], v[28:29], off offset:48
	s_andn2_b64 exec, exec, s[20:21]
	s_cbranch_execnz .LBB240_5
.LBB240_6:
	s_endpgm
	.section	.rodata,"a",@progbits
	.p2align	6, 0x0
	.amdhsa_kernel _ZN9rocsparseL32bsr2csr_block_per_row_2_7_kernelILj256ELj7EdilEEv20rocsparse_direction_T3_S2_21rocsparse_index_base_PKT1_PKT2_PKS2_S2_S3_PS4_PS7_PS2_
		.amdhsa_group_segment_fixed_size 0
		.amdhsa_private_segment_fixed_size 0
		.amdhsa_kernarg_size 96
		.amdhsa_user_sgpr_count 6
		.amdhsa_user_sgpr_private_segment_buffer 1
		.amdhsa_user_sgpr_dispatch_ptr 0
		.amdhsa_user_sgpr_queue_ptr 0
		.amdhsa_user_sgpr_kernarg_segment_ptr 1
		.amdhsa_user_sgpr_dispatch_id 0
		.amdhsa_user_sgpr_flat_scratch_init 0
		.amdhsa_user_sgpr_kernarg_preload_length 0
		.amdhsa_user_sgpr_kernarg_preload_offset 0
		.amdhsa_user_sgpr_private_segment_size 0
		.amdhsa_uses_dynamic_stack 0
		.amdhsa_system_sgpr_private_segment_wavefront_offset 0
		.amdhsa_system_sgpr_workgroup_id_x 1
		.amdhsa_system_sgpr_workgroup_id_y 0
		.amdhsa_system_sgpr_workgroup_id_z 0
		.amdhsa_system_sgpr_workgroup_info 0
		.amdhsa_system_vgpr_workitem_id 0
		.amdhsa_next_free_vgpr 46
		.amdhsa_next_free_sgpr 26
		.amdhsa_accum_offset 48
		.amdhsa_reserve_vcc 1
		.amdhsa_reserve_flat_scratch 0
		.amdhsa_float_round_mode_32 0
		.amdhsa_float_round_mode_16_64 0
		.amdhsa_float_denorm_mode_32 3
		.amdhsa_float_denorm_mode_16_64 3
		.amdhsa_dx10_clamp 1
		.amdhsa_ieee_mode 1
		.amdhsa_fp16_overflow 0
		.amdhsa_tg_split 0
		.amdhsa_exception_fp_ieee_invalid_op 0
		.amdhsa_exception_fp_denorm_src 0
		.amdhsa_exception_fp_ieee_div_zero 0
		.amdhsa_exception_fp_ieee_overflow 0
		.amdhsa_exception_fp_ieee_underflow 0
		.amdhsa_exception_fp_ieee_inexact 0
		.amdhsa_exception_int_div_zero 0
	.end_amdhsa_kernel
	.section	.text._ZN9rocsparseL32bsr2csr_block_per_row_2_7_kernelILj256ELj7EdilEEv20rocsparse_direction_T3_S2_21rocsparse_index_base_PKT1_PKT2_PKS2_S2_S3_PS4_PS7_PS2_,"axG",@progbits,_ZN9rocsparseL32bsr2csr_block_per_row_2_7_kernelILj256ELj7EdilEEv20rocsparse_direction_T3_S2_21rocsparse_index_base_PKT1_PKT2_PKS2_S2_S3_PS4_PS7_PS2_,comdat
.Lfunc_end240:
	.size	_ZN9rocsparseL32bsr2csr_block_per_row_2_7_kernelILj256ELj7EdilEEv20rocsparse_direction_T3_S2_21rocsparse_index_base_PKT1_PKT2_PKS2_S2_S3_PS4_PS7_PS2_, .Lfunc_end240-_ZN9rocsparseL32bsr2csr_block_per_row_2_7_kernelILj256ELj7EdilEEv20rocsparse_direction_T3_S2_21rocsparse_index_base_PKT1_PKT2_PKS2_S2_S3_PS4_PS7_PS2_
                                        ; -- End function
	.section	.AMDGPU.csdata,"",@progbits
; Kernel info:
; codeLenInByte = 956
; NumSgprs: 30
; NumVgprs: 46
; NumAgprs: 0
; TotalNumVgprs: 46
; ScratchSize: 0
; MemoryBound: 0
; FloatMode: 240
; IeeeMode: 1
; LDSByteSize: 0 bytes/workgroup (compile time only)
; SGPRBlocks: 3
; VGPRBlocks: 5
; NumSGPRsForWavesPerEU: 30
; NumVGPRsForWavesPerEU: 46
; AccumOffset: 48
; Occupancy: 8
; WaveLimiterHint : 0
; COMPUTE_PGM_RSRC2:SCRATCH_EN: 0
; COMPUTE_PGM_RSRC2:USER_SGPR: 6
; COMPUTE_PGM_RSRC2:TRAP_HANDLER: 0
; COMPUTE_PGM_RSRC2:TGID_X_EN: 1
; COMPUTE_PGM_RSRC2:TGID_Y_EN: 0
; COMPUTE_PGM_RSRC2:TGID_Z_EN: 0
; COMPUTE_PGM_RSRC2:TIDIG_COMP_CNT: 0
; COMPUTE_PGM_RSRC3_GFX90A:ACCUM_OFFSET: 11
; COMPUTE_PGM_RSRC3_GFX90A:TG_SPLIT: 0
	.section	.text._ZN9rocsparseL33bsr2csr_block_per_row_8_32_kernelILj1024ELj8EdilEEv20rocsparse_direction_T3_S2_21rocsparse_index_base_PKT1_PKT2_PKS2_S2_S3_PS4_PS7_PS2_,"axG",@progbits,_ZN9rocsparseL33bsr2csr_block_per_row_8_32_kernelILj1024ELj8EdilEEv20rocsparse_direction_T3_S2_21rocsparse_index_base_PKT1_PKT2_PKS2_S2_S3_PS4_PS7_PS2_,comdat
	.globl	_ZN9rocsparseL33bsr2csr_block_per_row_8_32_kernelILj1024ELj8EdilEEv20rocsparse_direction_T3_S2_21rocsparse_index_base_PKT1_PKT2_PKS2_S2_S3_PS4_PS7_PS2_ ; -- Begin function _ZN9rocsparseL33bsr2csr_block_per_row_8_32_kernelILj1024ELj8EdilEEv20rocsparse_direction_T3_S2_21rocsparse_index_base_PKT1_PKT2_PKS2_S2_S3_PS4_PS7_PS2_
	.p2align	8
	.type	_ZN9rocsparseL33bsr2csr_block_per_row_8_32_kernelILj1024ELj8EdilEEv20rocsparse_direction_T3_S2_21rocsparse_index_base_PKT1_PKT2_PKS2_S2_S3_PS4_PS7_PS2_,@function
_ZN9rocsparseL33bsr2csr_block_per_row_8_32_kernelILj1024ELj8EdilEEv20rocsparse_direction_T3_S2_21rocsparse_index_base_PKT1_PKT2_PKS2_S2_S3_PS4_PS7_PS2_: ; @_ZN9rocsparseL33bsr2csr_block_per_row_8_32_kernelILj1024ELj8EdilEEv20rocsparse_direction_T3_S2_21rocsparse_index_base_PKT1_PKT2_PKS2_S2_S3_PS4_PS7_PS2_
; %bb.0:
	s_load_dwordx2 s[0:1], s[4:5], 0x28
	s_load_dword s14, s[4:5], 0x40
	s_load_dwordx2 s[8:9], s[4:5], 0x50
	s_mov_b32 s7, 0
	s_lshl_b64 s[2:3], s[6:7], 2
	s_waitcnt lgkmcnt(0)
	s_add_u32 s10, s0, s2
	v_or_b32_e32 v1, s6, v0
	s_addc_u32 s11, s1, s3
	v_cmp_eq_u32_e32 vcc, 0, v1
	s_and_saveexec_b64 s[0:1], vcc
	s_cbranch_execz .LBB241_2
; %bb.1:
	v_mov_b32_e32 v1, 0
	v_mov_b32_e32 v2, s14
	global_store_dword v1, v2, s[8:9]
.LBB241_2:
	s_or_b64 exec, exec, s[0:1]
	s_load_dwordx2 s[2:3], s[4:5], 0x38
	v_mov_b32_e32 v7, 0
	v_and_b32_e32 v6, 7, v0
	v_bfe_u32 v8, v0, 3, 3
	v_mov_b32_e32 v9, v7
	s_waitcnt lgkmcnt(0)
	v_cmp_gt_i64_e32 vcc, s[2:3], v[8:9]
	v_cmp_gt_i64_e64 s[0:1], s[2:3], v[6:7]
	s_and_b64 s[0:1], vcc, s[0:1]
	s_and_saveexec_b64 s[12:13], s[0:1]
	s_cbranch_execz .LBB241_6
; %bb.3:
	s_load_dwordx2 s[0:1], s[10:11], 0x0
	s_load_dword s12, s[4:5], 0x18
	s_mul_i32 s10, s2, s2
	v_lshrrev_b32_e32 v1, 6, v0
	v_lshlrev_b32_e32 v2, 2, v8
	s_waitcnt lgkmcnt(0)
	s_sub_i32 s15, s0, s12
	s_sub_i32 s11, s1, s12
	;; [unrolled: 1-line block ×3, first 2 shown]
	s_mul_i32 s1, s16, s2
	s_mul_i32 s0, s10, s15
	v_mul_lo_u32 v0, s1, v8
	s_add_i32 s1, s1, s14
	s_add_i32 s1, s1, s0
	v_add_u32_e32 v0, s1, v0
	s_mul_i32 s0, s6, s3
	s_mul_hi_u32 s1, s6, s2
	s_add_i32 s1, s1, s0
	s_mul_i32 s0, s6, s2
	s_lshl_b64 s[0:1], s[0:1], 2
	s_add_u32 s0, s8, s0
	s_addc_u32 s1, s9, s1
	global_store_dword v2, v0, s[0:1] offset:4
	v_add_u32_e32 v0, s15, v1
	v_cmp_gt_i32_e32 vcc, s11, v0
	s_and_b64 exec, exec, vcc
	s_cbranch_execz .LBB241_6
; %bb.4:
	s_mul_i32 s13, s2, s3
	s_mul_hi_u32 s17, s2, s2
	s_add_i32 s17, s17, s13
	s_load_dwordx2 s[0:1], s[4:5], 0x30
	s_load_dwordx2 s[6:7], s[4:5], 0x48
	;; [unrolled: 1-line block ×3, first 2 shown]
	s_add_i32 s13, s17, s13
	s_load_dwordx2 s[18:19], s[4:5], 0x20
	s_load_dword s17, s[4:5], 0x0
	v_mad_u64_u32 v[4:5], s[4:5], v6, s2, 0
	v_mov_b32_e32 v10, v5
	v_mad_u64_u32 v[10:11], s[4:5], v6, s3, v[10:11]
	v_mov_b32_e32 v5, v10
	v_add_co_u32_e32 v2, vcc, s14, v6
	v_lshlrev_b64 v[4:5], 3, v[4:5]
	v_addc_co_u32_e64 v3, s[4:5], 0, 0, vcc
	s_waitcnt lgkmcnt(0)
	v_mov_b32_e32 v7, s19
	v_add_co_u32_e32 v9, vcc, s18, v4
	v_addc_co_u32_e32 v5, vcc, v7, v5, vcc
	v_lshlrev_b32_e32 v10, 3, v8
	v_add_co_u32_e32 v9, vcc, v9, v10
	v_mad_u64_u32 v[10:11], s[4:5], v8, s2, 0
	v_mov_b32_e32 v12, v11
	v_mad_u64_u32 v[12:13], s[4:5], v8, s3, v[12:13]
	v_mov_b32_e32 v11, v12
	v_addc_co_u32_e32 v5, vcc, 0, v5, vcc
	v_lshlrev_b64 v[10:11], 3, v[10:11]
	v_add_co_u32_e32 v10, vcc, s18, v10
	v_addc_co_u32_e32 v7, vcc, v7, v11, vcc
	v_lshlrev_b32_e32 v11, 3, v6
	v_add_co_u32_e32 v10, vcc, v10, v11
	s_cmp_eq_u32 s17, 0
	v_addc_co_u32_e32 v7, vcc, 0, v7, vcc
	s_cselect_b64 vcc, -1, 0
	v_cndmask_b32_e32 v7, v5, v7, vcc
	s_mul_i32 s4, s2, s15
	v_mul_lo_u32 v5, s16, v8
	v_add3_u32 v1, v1, s4, v5
	s_mov_b32 s20, 0
	v_cndmask_b32_e32 v10, v9, v10, vcc
	v_mad_u64_u32 v[8:9], s[4:5], s2, v1, v[6:7]
	s_lshl_b32 s14, s2, 4
	v_mov_b32_e32 v4, 0
	v_mov_b32_e32 v5, v8
	s_mov_b64 s[4:5], 0
	v_mov_b32_e32 v6, s1
	v_mov_b32_e32 v8, s20
	;; [unrolled: 1-line block ×5, first 2 shown]
.LBB241_5:                              ; =>This Inner Loop Header: Depth=1
	v_ashrrev_i32_e32 v1, 31, v0
	v_lshlrev_b64 v[16:17], 3, v[0:1]
	v_mul_lo_u32 v13, s13, v0
	v_mad_u64_u32 v[14:15], s[14:15], s10, v0, 0
	v_mul_lo_u32 v1, s10, v1
	v_add_co_u32_e32 v16, vcc, s0, v16
	v_addc_co_u32_e32 v17, vcc, v6, v17, vcc
	v_add3_u32 v15, v15, v1, v13
	global_load_dwordx2 v[16:17], v[16:17], off
	v_lshlrev_b64 v[14:15], 3, v[14:15]
	v_add_co_u32_e32 v14, vcc, v10, v14
	v_addc_co_u32_e32 v15, vcc, v7, v15, vcc
	global_load_dwordx2 v[14:15], v[14:15], off
	v_ashrrev_i64 v[18:19], 29, v[4:5]
	v_add_co_u32_e32 v4, vcc, 0, v4
	v_addc_co_u32_e32 v5, vcc, v5, v12, vcc
	v_add_co_u32_e32 v20, vcc, s8, v18
	v_addc_co_u32_e32 v21, vcc, v9, v19, vcc
	;; [unrolled: 2-line block ×3, first 2 shown]
	v_add_u32_e32 v0, 16, v0
	v_cmp_le_i32_e32 vcc, s11, v0
	s_or_b64 s[4:5], vcc, s[4:5]
	s_waitcnt vmcnt(1)
	v_subrev_co_u32_e32 v1, vcc, s12, v16
	v_subb_co_u32_e32 v13, vcc, v17, v8, vcc
	v_mul_lo_u32 v22, v1, s3
	v_mul_lo_u32 v13, v13, s2
	v_mad_u64_u32 v[16:17], s[14:15], v1, s2, v[2:3]
	v_add3_u32 v17, v13, v17, v22
	s_waitcnt vmcnt(0)
	global_store_dwordx2 v[18:19], v[14:15], off
	global_store_dwordx2 v[20:21], v[16:17], off
	s_andn2_b64 exec, exec, s[4:5]
	s_cbranch_execnz .LBB241_5
.LBB241_6:
	s_endpgm
	.section	.rodata,"a",@progbits
	.p2align	6, 0x0
	.amdhsa_kernel _ZN9rocsparseL33bsr2csr_block_per_row_8_32_kernelILj1024ELj8EdilEEv20rocsparse_direction_T3_S2_21rocsparse_index_base_PKT1_PKT2_PKS2_S2_S3_PS4_PS7_PS2_
		.amdhsa_group_segment_fixed_size 0
		.amdhsa_private_segment_fixed_size 0
		.amdhsa_kernarg_size 96
		.amdhsa_user_sgpr_count 6
		.amdhsa_user_sgpr_private_segment_buffer 1
		.amdhsa_user_sgpr_dispatch_ptr 0
		.amdhsa_user_sgpr_queue_ptr 0
		.amdhsa_user_sgpr_kernarg_segment_ptr 1
		.amdhsa_user_sgpr_dispatch_id 0
		.amdhsa_user_sgpr_flat_scratch_init 0
		.amdhsa_user_sgpr_kernarg_preload_length 0
		.amdhsa_user_sgpr_kernarg_preload_offset 0
		.amdhsa_user_sgpr_private_segment_size 0
		.amdhsa_uses_dynamic_stack 0
		.amdhsa_system_sgpr_private_segment_wavefront_offset 0
		.amdhsa_system_sgpr_workgroup_id_x 1
		.amdhsa_system_sgpr_workgroup_id_y 0
		.amdhsa_system_sgpr_workgroup_id_z 0
		.amdhsa_system_sgpr_workgroup_info 0
		.amdhsa_system_vgpr_workitem_id 0
		.amdhsa_next_free_vgpr 23
		.amdhsa_next_free_sgpr 21
		.amdhsa_accum_offset 24
		.amdhsa_reserve_vcc 1
		.amdhsa_reserve_flat_scratch 0
		.amdhsa_float_round_mode_32 0
		.amdhsa_float_round_mode_16_64 0
		.amdhsa_float_denorm_mode_32 3
		.amdhsa_float_denorm_mode_16_64 3
		.amdhsa_dx10_clamp 1
		.amdhsa_ieee_mode 1
		.amdhsa_fp16_overflow 0
		.amdhsa_tg_split 0
		.amdhsa_exception_fp_ieee_invalid_op 0
		.amdhsa_exception_fp_denorm_src 0
		.amdhsa_exception_fp_ieee_div_zero 0
		.amdhsa_exception_fp_ieee_overflow 0
		.amdhsa_exception_fp_ieee_underflow 0
		.amdhsa_exception_fp_ieee_inexact 0
		.amdhsa_exception_int_div_zero 0
	.end_amdhsa_kernel
	.section	.text._ZN9rocsparseL33bsr2csr_block_per_row_8_32_kernelILj1024ELj8EdilEEv20rocsparse_direction_T3_S2_21rocsparse_index_base_PKT1_PKT2_PKS2_S2_S3_PS4_PS7_PS2_,"axG",@progbits,_ZN9rocsparseL33bsr2csr_block_per_row_8_32_kernelILj1024ELj8EdilEEv20rocsparse_direction_T3_S2_21rocsparse_index_base_PKT1_PKT2_PKS2_S2_S3_PS4_PS7_PS2_,comdat
.Lfunc_end241:
	.size	_ZN9rocsparseL33bsr2csr_block_per_row_8_32_kernelILj1024ELj8EdilEEv20rocsparse_direction_T3_S2_21rocsparse_index_base_PKT1_PKT2_PKS2_S2_S3_PS4_PS7_PS2_, .Lfunc_end241-_ZN9rocsparseL33bsr2csr_block_per_row_8_32_kernelILj1024ELj8EdilEEv20rocsparse_direction_T3_S2_21rocsparse_index_base_PKT1_PKT2_PKS2_S2_S3_PS4_PS7_PS2_
                                        ; -- End function
	.section	.AMDGPU.csdata,"",@progbits
; Kernel info:
; codeLenInByte = 728
; NumSgprs: 25
; NumVgprs: 23
; NumAgprs: 0
; TotalNumVgprs: 23
; ScratchSize: 0
; MemoryBound: 0
; FloatMode: 240
; IeeeMode: 1
; LDSByteSize: 0 bytes/workgroup (compile time only)
; SGPRBlocks: 3
; VGPRBlocks: 2
; NumSGPRsForWavesPerEU: 25
; NumVGPRsForWavesPerEU: 23
; AccumOffset: 24
; Occupancy: 8
; WaveLimiterHint : 0
; COMPUTE_PGM_RSRC2:SCRATCH_EN: 0
; COMPUTE_PGM_RSRC2:USER_SGPR: 6
; COMPUTE_PGM_RSRC2:TRAP_HANDLER: 0
; COMPUTE_PGM_RSRC2:TGID_X_EN: 1
; COMPUTE_PGM_RSRC2:TGID_Y_EN: 0
; COMPUTE_PGM_RSRC2:TGID_Z_EN: 0
; COMPUTE_PGM_RSRC2:TIDIG_COMP_CNT: 0
; COMPUTE_PGM_RSRC3_GFX90A:ACCUM_OFFSET: 5
; COMPUTE_PGM_RSRC3_GFX90A:TG_SPLIT: 0
	.section	.text._ZN9rocsparseL33bsr2csr_block_per_row_8_32_kernelILj1024ELj16EdilEEv20rocsparse_direction_T3_S2_21rocsparse_index_base_PKT1_PKT2_PKS2_S2_S3_PS4_PS7_PS2_,"axG",@progbits,_ZN9rocsparseL33bsr2csr_block_per_row_8_32_kernelILj1024ELj16EdilEEv20rocsparse_direction_T3_S2_21rocsparse_index_base_PKT1_PKT2_PKS2_S2_S3_PS4_PS7_PS2_,comdat
	.globl	_ZN9rocsparseL33bsr2csr_block_per_row_8_32_kernelILj1024ELj16EdilEEv20rocsparse_direction_T3_S2_21rocsparse_index_base_PKT1_PKT2_PKS2_S2_S3_PS4_PS7_PS2_ ; -- Begin function _ZN9rocsparseL33bsr2csr_block_per_row_8_32_kernelILj1024ELj16EdilEEv20rocsparse_direction_T3_S2_21rocsparse_index_base_PKT1_PKT2_PKS2_S2_S3_PS4_PS7_PS2_
	.p2align	8
	.type	_ZN9rocsparseL33bsr2csr_block_per_row_8_32_kernelILj1024ELj16EdilEEv20rocsparse_direction_T3_S2_21rocsparse_index_base_PKT1_PKT2_PKS2_S2_S3_PS4_PS7_PS2_,@function
_ZN9rocsparseL33bsr2csr_block_per_row_8_32_kernelILj1024ELj16EdilEEv20rocsparse_direction_T3_S2_21rocsparse_index_base_PKT1_PKT2_PKS2_S2_S3_PS4_PS7_PS2_: ; @_ZN9rocsparseL33bsr2csr_block_per_row_8_32_kernelILj1024ELj16EdilEEv20rocsparse_direction_T3_S2_21rocsparse_index_base_PKT1_PKT2_PKS2_S2_S3_PS4_PS7_PS2_
; %bb.0:
	s_load_dwordx2 s[0:1], s[4:5], 0x28
	s_load_dword s14, s[4:5], 0x40
	s_load_dwordx2 s[8:9], s[4:5], 0x50
	s_mov_b32 s7, 0
	s_lshl_b64 s[2:3], s[6:7], 2
	s_waitcnt lgkmcnt(0)
	s_add_u32 s10, s0, s2
	v_or_b32_e32 v1, s6, v0
	s_addc_u32 s11, s1, s3
	v_cmp_eq_u32_e32 vcc, 0, v1
	s_and_saveexec_b64 s[0:1], vcc
	s_cbranch_execz .LBB242_2
; %bb.1:
	v_mov_b32_e32 v1, 0
	v_mov_b32_e32 v2, s14
	global_store_dword v1, v2, s[8:9]
.LBB242_2:
	s_or_b64 exec, exec, s[0:1]
	s_load_dwordx2 s[2:3], s[4:5], 0x38
	v_mov_b32_e32 v7, 0
	v_and_b32_e32 v6, 15, v0
	v_bfe_u32 v8, v0, 4, 4
	v_mov_b32_e32 v9, v7
	s_waitcnt lgkmcnt(0)
	v_cmp_gt_i64_e32 vcc, s[2:3], v[8:9]
	v_cmp_gt_i64_e64 s[0:1], s[2:3], v[6:7]
	s_and_b64 s[0:1], vcc, s[0:1]
	s_and_saveexec_b64 s[12:13], s[0:1]
	s_cbranch_execz .LBB242_6
; %bb.3:
	s_load_dwordx2 s[0:1], s[10:11], 0x0
	s_load_dword s12, s[4:5], 0x18
	s_mul_i32 s10, s2, s2
	v_lshrrev_b32_e32 v1, 8, v0
	v_lshlrev_b32_e32 v2, 2, v8
	s_waitcnt lgkmcnt(0)
	s_sub_i32 s15, s0, s12
	s_sub_i32 s11, s1, s12
	;; [unrolled: 1-line block ×3, first 2 shown]
	s_mul_i32 s1, s16, s2
	s_mul_i32 s0, s10, s15
	v_mul_lo_u32 v0, s1, v8
	s_add_i32 s1, s1, s14
	s_add_i32 s1, s1, s0
	v_add_u32_e32 v0, s1, v0
	s_mul_i32 s0, s6, s3
	s_mul_hi_u32 s1, s6, s2
	s_add_i32 s1, s1, s0
	s_mul_i32 s0, s6, s2
	s_lshl_b64 s[0:1], s[0:1], 2
	s_add_u32 s0, s8, s0
	s_addc_u32 s1, s9, s1
	global_store_dword v2, v0, s[0:1] offset:4
	v_add_u32_e32 v0, s15, v1
	v_cmp_gt_i32_e32 vcc, s11, v0
	s_and_b64 exec, exec, vcc
	s_cbranch_execz .LBB242_6
; %bb.4:
	s_mul_i32 s13, s2, s3
	s_mul_hi_u32 s17, s2, s2
	s_add_i32 s17, s17, s13
	s_load_dwordx2 s[0:1], s[4:5], 0x30
	s_load_dwordx2 s[6:7], s[4:5], 0x48
	;; [unrolled: 1-line block ×3, first 2 shown]
	s_add_i32 s13, s17, s13
	s_load_dwordx2 s[18:19], s[4:5], 0x20
	s_load_dword s17, s[4:5], 0x0
	v_mad_u64_u32 v[4:5], s[4:5], v6, s2, 0
	v_mov_b32_e32 v10, v5
	v_mad_u64_u32 v[10:11], s[4:5], v6, s3, v[10:11]
	v_mov_b32_e32 v5, v10
	v_add_co_u32_e32 v2, vcc, s14, v6
	v_lshlrev_b64 v[4:5], 3, v[4:5]
	v_addc_co_u32_e64 v3, s[4:5], 0, 0, vcc
	s_waitcnt lgkmcnt(0)
	v_mov_b32_e32 v7, s19
	v_add_co_u32_e32 v9, vcc, s18, v4
	v_addc_co_u32_e32 v5, vcc, v7, v5, vcc
	v_lshlrev_b32_e32 v10, 3, v8
	v_add_co_u32_e32 v9, vcc, v9, v10
	v_mad_u64_u32 v[10:11], s[4:5], v8, s2, 0
	v_mov_b32_e32 v12, v11
	v_mad_u64_u32 v[12:13], s[4:5], v8, s3, v[12:13]
	v_mov_b32_e32 v11, v12
	v_addc_co_u32_e32 v5, vcc, 0, v5, vcc
	v_lshlrev_b64 v[10:11], 3, v[10:11]
	v_add_co_u32_e32 v10, vcc, s18, v10
	v_addc_co_u32_e32 v7, vcc, v7, v11, vcc
	v_lshlrev_b32_e32 v11, 3, v6
	v_add_co_u32_e32 v10, vcc, v10, v11
	s_cmp_eq_u32 s17, 0
	v_addc_co_u32_e32 v7, vcc, 0, v7, vcc
	s_cselect_b64 vcc, -1, 0
	v_cndmask_b32_e32 v7, v5, v7, vcc
	s_mul_i32 s4, s2, s15
	v_mul_lo_u32 v5, s16, v8
	v_add3_u32 v1, v1, s4, v5
	s_mov_b32 s20, 0
	v_cndmask_b32_e32 v10, v9, v10, vcc
	v_mad_u64_u32 v[8:9], s[4:5], s2, v1, v[6:7]
	s_lshl_b32 s14, s2, 2
	v_mov_b32_e32 v4, 0
	v_mov_b32_e32 v5, v8
	s_mov_b64 s[4:5], 0
	v_mov_b32_e32 v6, s1
	v_mov_b32_e32 v8, s20
	;; [unrolled: 1-line block ×5, first 2 shown]
.LBB242_5:                              ; =>This Inner Loop Header: Depth=1
	v_ashrrev_i32_e32 v1, 31, v0
	v_lshlrev_b64 v[16:17], 3, v[0:1]
	v_mul_lo_u32 v13, s13, v0
	v_mad_u64_u32 v[14:15], s[14:15], s10, v0, 0
	v_mul_lo_u32 v1, s10, v1
	v_add_co_u32_e32 v16, vcc, s0, v16
	v_addc_co_u32_e32 v17, vcc, v6, v17, vcc
	v_add3_u32 v15, v15, v1, v13
	global_load_dwordx2 v[16:17], v[16:17], off
	v_lshlrev_b64 v[14:15], 3, v[14:15]
	v_add_co_u32_e32 v14, vcc, v10, v14
	v_addc_co_u32_e32 v15, vcc, v7, v15, vcc
	global_load_dwordx2 v[14:15], v[14:15], off
	v_ashrrev_i64 v[18:19], 29, v[4:5]
	v_add_co_u32_e32 v4, vcc, 0, v4
	v_addc_co_u32_e32 v5, vcc, v5, v12, vcc
	v_add_co_u32_e32 v20, vcc, s8, v18
	v_addc_co_u32_e32 v21, vcc, v9, v19, vcc
	;; [unrolled: 2-line block ×3, first 2 shown]
	v_add_u32_e32 v0, 4, v0
	v_cmp_le_i32_e32 vcc, s11, v0
	s_or_b64 s[4:5], vcc, s[4:5]
	s_waitcnt vmcnt(1)
	v_subrev_co_u32_e32 v1, vcc, s12, v16
	v_subb_co_u32_e32 v13, vcc, v17, v8, vcc
	v_mul_lo_u32 v22, v1, s3
	v_mul_lo_u32 v13, v13, s2
	v_mad_u64_u32 v[16:17], s[14:15], v1, s2, v[2:3]
	v_add3_u32 v17, v13, v17, v22
	s_waitcnt vmcnt(0)
	global_store_dwordx2 v[18:19], v[14:15], off
	global_store_dwordx2 v[20:21], v[16:17], off
	s_andn2_b64 exec, exec, s[4:5]
	s_cbranch_execnz .LBB242_5
.LBB242_6:
	s_endpgm
	.section	.rodata,"a",@progbits
	.p2align	6, 0x0
	.amdhsa_kernel _ZN9rocsparseL33bsr2csr_block_per_row_8_32_kernelILj1024ELj16EdilEEv20rocsparse_direction_T3_S2_21rocsparse_index_base_PKT1_PKT2_PKS2_S2_S3_PS4_PS7_PS2_
		.amdhsa_group_segment_fixed_size 0
		.amdhsa_private_segment_fixed_size 0
		.amdhsa_kernarg_size 96
		.amdhsa_user_sgpr_count 6
		.amdhsa_user_sgpr_private_segment_buffer 1
		.amdhsa_user_sgpr_dispatch_ptr 0
		.amdhsa_user_sgpr_queue_ptr 0
		.amdhsa_user_sgpr_kernarg_segment_ptr 1
		.amdhsa_user_sgpr_dispatch_id 0
		.amdhsa_user_sgpr_flat_scratch_init 0
		.amdhsa_user_sgpr_kernarg_preload_length 0
		.amdhsa_user_sgpr_kernarg_preload_offset 0
		.amdhsa_user_sgpr_private_segment_size 0
		.amdhsa_uses_dynamic_stack 0
		.amdhsa_system_sgpr_private_segment_wavefront_offset 0
		.amdhsa_system_sgpr_workgroup_id_x 1
		.amdhsa_system_sgpr_workgroup_id_y 0
		.amdhsa_system_sgpr_workgroup_id_z 0
		.amdhsa_system_sgpr_workgroup_info 0
		.amdhsa_system_vgpr_workitem_id 0
		.amdhsa_next_free_vgpr 23
		.amdhsa_next_free_sgpr 21
		.amdhsa_accum_offset 24
		.amdhsa_reserve_vcc 1
		.amdhsa_reserve_flat_scratch 0
		.amdhsa_float_round_mode_32 0
		.amdhsa_float_round_mode_16_64 0
		.amdhsa_float_denorm_mode_32 3
		.amdhsa_float_denorm_mode_16_64 3
		.amdhsa_dx10_clamp 1
		.amdhsa_ieee_mode 1
		.amdhsa_fp16_overflow 0
		.amdhsa_tg_split 0
		.amdhsa_exception_fp_ieee_invalid_op 0
		.amdhsa_exception_fp_denorm_src 0
		.amdhsa_exception_fp_ieee_div_zero 0
		.amdhsa_exception_fp_ieee_overflow 0
		.amdhsa_exception_fp_ieee_underflow 0
		.amdhsa_exception_fp_ieee_inexact 0
		.amdhsa_exception_int_div_zero 0
	.end_amdhsa_kernel
	.section	.text._ZN9rocsparseL33bsr2csr_block_per_row_8_32_kernelILj1024ELj16EdilEEv20rocsparse_direction_T3_S2_21rocsparse_index_base_PKT1_PKT2_PKS2_S2_S3_PS4_PS7_PS2_,"axG",@progbits,_ZN9rocsparseL33bsr2csr_block_per_row_8_32_kernelILj1024ELj16EdilEEv20rocsparse_direction_T3_S2_21rocsparse_index_base_PKT1_PKT2_PKS2_S2_S3_PS4_PS7_PS2_,comdat
.Lfunc_end242:
	.size	_ZN9rocsparseL33bsr2csr_block_per_row_8_32_kernelILj1024ELj16EdilEEv20rocsparse_direction_T3_S2_21rocsparse_index_base_PKT1_PKT2_PKS2_S2_S3_PS4_PS7_PS2_, .Lfunc_end242-_ZN9rocsparseL33bsr2csr_block_per_row_8_32_kernelILj1024ELj16EdilEEv20rocsparse_direction_T3_S2_21rocsparse_index_base_PKT1_PKT2_PKS2_S2_S3_PS4_PS7_PS2_
                                        ; -- End function
	.section	.AMDGPU.csdata,"",@progbits
; Kernel info:
; codeLenInByte = 728
; NumSgprs: 25
; NumVgprs: 23
; NumAgprs: 0
; TotalNumVgprs: 23
; ScratchSize: 0
; MemoryBound: 0
; FloatMode: 240
; IeeeMode: 1
; LDSByteSize: 0 bytes/workgroup (compile time only)
; SGPRBlocks: 3
; VGPRBlocks: 2
; NumSGPRsForWavesPerEU: 25
; NumVGPRsForWavesPerEU: 23
; AccumOffset: 24
; Occupancy: 8
; WaveLimiterHint : 0
; COMPUTE_PGM_RSRC2:SCRATCH_EN: 0
; COMPUTE_PGM_RSRC2:USER_SGPR: 6
; COMPUTE_PGM_RSRC2:TRAP_HANDLER: 0
; COMPUTE_PGM_RSRC2:TGID_X_EN: 1
; COMPUTE_PGM_RSRC2:TGID_Y_EN: 0
; COMPUTE_PGM_RSRC2:TGID_Z_EN: 0
; COMPUTE_PGM_RSRC2:TIDIG_COMP_CNT: 0
; COMPUTE_PGM_RSRC3_GFX90A:ACCUM_OFFSET: 5
; COMPUTE_PGM_RSRC3_GFX90A:TG_SPLIT: 0
	.section	.text._ZN9rocsparseL33bsr2csr_block_per_row_8_32_kernelILj1024ELj32EdilEEv20rocsparse_direction_T3_S2_21rocsparse_index_base_PKT1_PKT2_PKS2_S2_S3_PS4_PS7_PS2_,"axG",@progbits,_ZN9rocsparseL33bsr2csr_block_per_row_8_32_kernelILj1024ELj32EdilEEv20rocsparse_direction_T3_S2_21rocsparse_index_base_PKT1_PKT2_PKS2_S2_S3_PS4_PS7_PS2_,comdat
	.globl	_ZN9rocsparseL33bsr2csr_block_per_row_8_32_kernelILj1024ELj32EdilEEv20rocsparse_direction_T3_S2_21rocsparse_index_base_PKT1_PKT2_PKS2_S2_S3_PS4_PS7_PS2_ ; -- Begin function _ZN9rocsparseL33bsr2csr_block_per_row_8_32_kernelILj1024ELj32EdilEEv20rocsparse_direction_T3_S2_21rocsparse_index_base_PKT1_PKT2_PKS2_S2_S3_PS4_PS7_PS2_
	.p2align	8
	.type	_ZN9rocsparseL33bsr2csr_block_per_row_8_32_kernelILj1024ELj32EdilEEv20rocsparse_direction_T3_S2_21rocsparse_index_base_PKT1_PKT2_PKS2_S2_S3_PS4_PS7_PS2_,@function
_ZN9rocsparseL33bsr2csr_block_per_row_8_32_kernelILj1024ELj32EdilEEv20rocsparse_direction_T3_S2_21rocsparse_index_base_PKT1_PKT2_PKS2_S2_S3_PS4_PS7_PS2_: ; @_ZN9rocsparseL33bsr2csr_block_per_row_8_32_kernelILj1024ELj32EdilEEv20rocsparse_direction_T3_S2_21rocsparse_index_base_PKT1_PKT2_PKS2_S2_S3_PS4_PS7_PS2_
; %bb.0:
	s_load_dwordx2 s[0:1], s[4:5], 0x28
	s_load_dword s14, s[4:5], 0x40
	s_load_dwordx2 s[8:9], s[4:5], 0x50
	s_mov_b32 s7, 0
	s_lshl_b64 s[2:3], s[6:7], 2
	s_waitcnt lgkmcnt(0)
	s_add_u32 s10, s0, s2
	v_or_b32_e32 v1, s6, v0
	s_addc_u32 s11, s1, s3
	v_cmp_eq_u32_e32 vcc, 0, v1
	s_and_saveexec_b64 s[0:1], vcc
	s_cbranch_execz .LBB243_2
; %bb.1:
	v_mov_b32_e32 v1, 0
	v_mov_b32_e32 v2, s14
	global_store_dword v1, v2, s[8:9]
.LBB243_2:
	s_or_b64 exec, exec, s[0:1]
	s_load_dwordx2 s[2:3], s[4:5], 0x38
	v_mov_b32_e32 v5, 0
	v_and_b32_e32 v4, 31, v0
	v_lshrrev_b32_e32 v6, 5, v0
	v_mov_b32_e32 v7, v5
	s_waitcnt lgkmcnt(0)
	v_cmp_gt_i64_e32 vcc, s[2:3], v[6:7]
	v_cmp_gt_i64_e64 s[0:1], s[2:3], v[4:5]
	s_and_b64 s[0:1], vcc, s[0:1]
	s_and_saveexec_b64 s[12:13], s[0:1]
	s_cbranch_execz .LBB243_6
; %bb.3:
	s_load_dwordx2 s[16:17], s[10:11], 0x0
	s_load_dword s12, s[4:5], 0x18
	s_mul_i32 s10, s2, s2
	v_lshlrev_b32_e32 v1, 2, v6
	s_waitcnt lgkmcnt(0)
	s_sub_i32 s0, s16, s12
	s_sub_i32 s13, s17, s12
	;; [unrolled: 1-line block ×3, first 2 shown]
	s_mul_i32 s11, s1, s2
	s_mul_i32 s7, s10, s0
	v_mul_lo_u32 v0, s11, v6
	s_add_i32 s11, s11, s14
	s_add_i32 s11, s11, s7
	v_add_u32_e32 v0, s11, v0
	s_mul_i32 s7, s6, s3
	s_mul_hi_u32 s11, s6, s2
	s_add_i32 s7, s11, s7
	s_mul_i32 s6, s6, s2
	s_lshl_b64 s[6:7], s[6:7], 2
	s_add_u32 s6, s8, s6
	s_addc_u32 s7, s9, s7
	s_cmp_ge_i32 s16, s17
	global_store_dword v1, v0, s[6:7] offset:4
	s_cbranch_scc1 .LBB243_6
; %bb.4:
	s_mul_i32 s11, s2, s3
	s_mul_hi_u32 s15, s2, s2
	s_add_i32 s15, s15, s11
	s_load_dwordx2 s[16:17], s[4:5], 0x30
	s_load_dwordx2 s[6:7], s[4:5], 0x48
	;; [unrolled: 1-line block ×3, first 2 shown]
	s_add_i32 s11, s15, s11
	s_load_dwordx2 s[18:19], s[4:5], 0x20
	s_load_dword s15, s[4:5], 0x0
	v_mad_u64_u32 v[2:3], s[4:5], v4, s2, 0
	v_mov_b32_e32 v8, v3
	v_mad_u64_u32 v[8:9], s[4:5], v4, s3, v[8:9]
	v_mov_b32_e32 v3, v8
	v_add_co_u32_e32 v0, vcc, s14, v4
	v_lshlrev_b64 v[2:3], 3, v[2:3]
	v_addc_co_u32_e64 v1, s[4:5], 0, 0, vcc
	s_waitcnt lgkmcnt(0)
	v_mov_b32_e32 v5, s19
	v_add_co_u32_e32 v7, vcc, s18, v2
	v_addc_co_u32_e32 v3, vcc, v5, v3, vcc
	v_lshlrev_b32_e32 v8, 3, v6
	v_add_co_u32_e32 v7, vcc, v7, v8
	v_mad_u64_u32 v[8:9], s[4:5], v6, s2, 0
	v_mov_b32_e32 v10, v9
	v_mad_u64_u32 v[10:11], s[4:5], v6, s3, v[10:11]
	v_mov_b32_e32 v9, v10
	v_addc_co_u32_e32 v3, vcc, 0, v3, vcc
	v_lshlrev_b64 v[8:9], 3, v[8:9]
	v_add_co_u32_e32 v8, vcc, s18, v8
	v_addc_co_u32_e32 v5, vcc, v5, v9, vcc
	v_lshlrev_b32_e32 v9, 3, v4
	v_add_co_u32_e32 v8, vcc, v8, v9
	s_cmp_eq_u32 s15, 0
	v_addc_co_u32_e32 v5, vcc, 0, v5, vcc
	s_cselect_b64 vcc, -1, 0
	v_cndmask_b32_e32 v9, v3, v5, vcc
	s_mul_i32 s4, s2, s0
	v_mul_lo_u32 v3, v6, s1
	v_add_u32_e32 v3, s4, v3
	v_mad_u64_u32 v[4:5], s[4:5], s2, v3, v[4:5]
	s_ashr_i32 s1, s0, 31
	s_lshl_b64 s[4:5], s[0:1], 3
	s_add_u32 s4, s16, s4
	s_mul_hi_u32 s14, s10, s0
	s_mul_i32 s1, s10, s1
	s_addc_u32 s5, s17, s5
	s_add_i32 s1, s14, s1
	s_mul_i32 s14, s11, s0
	s_add_i32 s15, s1, s14
	s_mul_i32 s14, s10, s0
	v_cndmask_b32_e32 v7, v7, v8, vcc
	s_lshl_b64 s[14:15], s[14:15], 3
	v_mov_b32_e32 v3, v4
	v_mov_b32_e32 v5, s15
	v_add_co_u32_e32 v4, vcc, s14, v7
	s_lshl_b64 s[10:11], s[10:11], 3
	v_mov_b32_e32 v2, 0
	v_addc_co_u32_e32 v5, vcc, v9, v5, vcc
	v_mov_b32_e32 v6, s2
	v_mov_b32_e32 v7, s9
	;; [unrolled: 1-line block ×5, first 2 shown]
.LBB243_5:                              ; =>This Inner Loop Header: Depth=1
	global_load_dwordx2 v[12:13], v[4:5], off
	s_load_dwordx2 s[14:15], s[4:5], 0x0
	v_ashrrev_i64 v[14:15], 29, v[2:3]
	v_add_co_u32_e32 v2, vcc, 0, v2
	v_addc_co_u32_e32 v3, vcc, v3, v9, vcc
	s_waitcnt lgkmcnt(0)
	s_sub_u32 s1, s14, s12
	v_add_co_u32_e32 v4, vcc, s10, v4
	s_subb_u32 s7, s15, 0
	v_addc_co_u32_e32 v5, vcc, v5, v10, vcc
	s_mul_i32 s9, s1, s3
	s_mul_i32 s7, s7, s2
	v_add_co_u32_e32 v16, vcc, s8, v14
	s_add_i32 s0, s0, 1
	s_add_i32 s9, s9, s7
	v_addc_co_u32_e32 v17, vcc, v7, v15, vcc
	s_add_u32 s4, s4, 8
	v_add_co_u32_e32 v14, vcc, s6, v14
	v_mad_u64_u32 v[18:19], s[14:15], s1, v6, v[0:1]
	s_addc_u32 s5, s5, 0
	v_addc_co_u32_e32 v15, vcc, v8, v15, vcc
	v_add_u32_e32 v19, s9, v19
	s_cmp_lt_i32 s0, s13
	global_store_dwordx2 v[16:17], v[18:19], off
	s_waitcnt vmcnt(1)
	global_store_dwordx2 v[14:15], v[12:13], off
	s_cbranch_scc1 .LBB243_5
.LBB243_6:
	s_endpgm
	.section	.rodata,"a",@progbits
	.p2align	6, 0x0
	.amdhsa_kernel _ZN9rocsparseL33bsr2csr_block_per_row_8_32_kernelILj1024ELj32EdilEEv20rocsparse_direction_T3_S2_21rocsparse_index_base_PKT1_PKT2_PKS2_S2_S3_PS4_PS7_PS2_
		.amdhsa_group_segment_fixed_size 0
		.amdhsa_private_segment_fixed_size 0
		.amdhsa_kernarg_size 96
		.amdhsa_user_sgpr_count 6
		.amdhsa_user_sgpr_private_segment_buffer 1
		.amdhsa_user_sgpr_dispatch_ptr 0
		.amdhsa_user_sgpr_queue_ptr 0
		.amdhsa_user_sgpr_kernarg_segment_ptr 1
		.amdhsa_user_sgpr_dispatch_id 0
		.amdhsa_user_sgpr_flat_scratch_init 0
		.amdhsa_user_sgpr_kernarg_preload_length 0
		.amdhsa_user_sgpr_kernarg_preload_offset 0
		.amdhsa_user_sgpr_private_segment_size 0
		.amdhsa_uses_dynamic_stack 0
		.amdhsa_system_sgpr_private_segment_wavefront_offset 0
		.amdhsa_system_sgpr_workgroup_id_x 1
		.amdhsa_system_sgpr_workgroup_id_y 0
		.amdhsa_system_sgpr_workgroup_id_z 0
		.amdhsa_system_sgpr_workgroup_info 0
		.amdhsa_system_vgpr_workitem_id 0
		.amdhsa_next_free_vgpr 20
		.amdhsa_next_free_sgpr 20
		.amdhsa_accum_offset 20
		.amdhsa_reserve_vcc 1
		.amdhsa_reserve_flat_scratch 0
		.amdhsa_float_round_mode_32 0
		.amdhsa_float_round_mode_16_64 0
		.amdhsa_float_denorm_mode_32 3
		.amdhsa_float_denorm_mode_16_64 3
		.amdhsa_dx10_clamp 1
		.amdhsa_ieee_mode 1
		.amdhsa_fp16_overflow 0
		.amdhsa_tg_split 0
		.amdhsa_exception_fp_ieee_invalid_op 0
		.amdhsa_exception_fp_denorm_src 0
		.amdhsa_exception_fp_ieee_div_zero 0
		.amdhsa_exception_fp_ieee_overflow 0
		.amdhsa_exception_fp_ieee_underflow 0
		.amdhsa_exception_fp_ieee_inexact 0
		.amdhsa_exception_int_div_zero 0
	.end_amdhsa_kernel
	.section	.text._ZN9rocsparseL33bsr2csr_block_per_row_8_32_kernelILj1024ELj32EdilEEv20rocsparse_direction_T3_S2_21rocsparse_index_base_PKT1_PKT2_PKS2_S2_S3_PS4_PS7_PS2_,"axG",@progbits,_ZN9rocsparseL33bsr2csr_block_per_row_8_32_kernelILj1024ELj32EdilEEv20rocsparse_direction_T3_S2_21rocsparse_index_base_PKT1_PKT2_PKS2_S2_S3_PS4_PS7_PS2_,comdat
.Lfunc_end243:
	.size	_ZN9rocsparseL33bsr2csr_block_per_row_8_32_kernelILj1024ELj32EdilEEv20rocsparse_direction_T3_S2_21rocsparse_index_base_PKT1_PKT2_PKS2_S2_S3_PS4_PS7_PS2_, .Lfunc_end243-_ZN9rocsparseL33bsr2csr_block_per_row_8_32_kernelILj1024ELj32EdilEEv20rocsparse_direction_T3_S2_21rocsparse_index_base_PKT1_PKT2_PKS2_S2_S3_PS4_PS7_PS2_
                                        ; -- End function
	.section	.AMDGPU.csdata,"",@progbits
; Kernel info:
; codeLenInByte = 688
; NumSgprs: 24
; NumVgprs: 20
; NumAgprs: 0
; TotalNumVgprs: 20
; ScratchSize: 0
; MemoryBound: 0
; FloatMode: 240
; IeeeMode: 1
; LDSByteSize: 0 bytes/workgroup (compile time only)
; SGPRBlocks: 2
; VGPRBlocks: 2
; NumSGPRsForWavesPerEU: 24
; NumVGPRsForWavesPerEU: 20
; AccumOffset: 20
; Occupancy: 8
; WaveLimiterHint : 0
; COMPUTE_PGM_RSRC2:SCRATCH_EN: 0
; COMPUTE_PGM_RSRC2:USER_SGPR: 6
; COMPUTE_PGM_RSRC2:TRAP_HANDLER: 0
; COMPUTE_PGM_RSRC2:TGID_X_EN: 1
; COMPUTE_PGM_RSRC2:TGID_Y_EN: 0
; COMPUTE_PGM_RSRC2:TGID_Z_EN: 0
; COMPUTE_PGM_RSRC2:TIDIG_COMP_CNT: 0
; COMPUTE_PGM_RSRC3_GFX90A:ACCUM_OFFSET: 4
; COMPUTE_PGM_RSRC3_GFX90A:TG_SPLIT: 0
	.section	.text._ZN9rocsparseL35bsr2csr_block_per_row_33_256_kernelILj1024ELj64ELj32EdilEEv20rocsparse_direction_T4_S2_21rocsparse_index_base_PKT2_PKT3_PKS2_S2_S3_PS4_PS7_PS2_,"axG",@progbits,_ZN9rocsparseL35bsr2csr_block_per_row_33_256_kernelILj1024ELj64ELj32EdilEEv20rocsparse_direction_T4_S2_21rocsparse_index_base_PKT2_PKT3_PKS2_S2_S3_PS4_PS7_PS2_,comdat
	.globl	_ZN9rocsparseL35bsr2csr_block_per_row_33_256_kernelILj1024ELj64ELj32EdilEEv20rocsparse_direction_T4_S2_21rocsparse_index_base_PKT2_PKT3_PKS2_S2_S3_PS4_PS7_PS2_ ; -- Begin function _ZN9rocsparseL35bsr2csr_block_per_row_33_256_kernelILj1024ELj64ELj32EdilEEv20rocsparse_direction_T4_S2_21rocsparse_index_base_PKT2_PKT3_PKS2_S2_S3_PS4_PS7_PS2_
	.p2align	8
	.type	_ZN9rocsparseL35bsr2csr_block_per_row_33_256_kernelILj1024ELj64ELj32EdilEEv20rocsparse_direction_T4_S2_21rocsparse_index_base_PKT2_PKT3_PKS2_S2_S3_PS4_PS7_PS2_,@function
_ZN9rocsparseL35bsr2csr_block_per_row_33_256_kernelILj1024ELj64ELj32EdilEEv20rocsparse_direction_T4_S2_21rocsparse_index_base_PKT2_PKT3_PKS2_S2_S3_PS4_PS7_PS2_: ; @_ZN9rocsparseL35bsr2csr_block_per_row_33_256_kernelILj1024ELj64ELj32EdilEEv20rocsparse_direction_T4_S2_21rocsparse_index_base_PKT2_PKT3_PKS2_S2_S3_PS4_PS7_PS2_
; %bb.0:
	s_load_dwordx2 s[0:1], s[4:5], 0x28
	s_load_dword s26, s[4:5], 0x40
	s_load_dwordx2 s[2:3], s[4:5], 0x50
	s_mov_b32 s7, 0
	s_lshl_b64 s[8:9], s[6:7], 2
	s_waitcnt lgkmcnt(0)
	s_add_u32 s0, s0, s8
	s_addc_u32 s1, s1, s9
	s_load_dwordx2 s[0:1], s[0:1], 0x0
	v_or_b32_e32 v1, s6, v0
	v_cmp_eq_u32_e32 vcc, 0, v1
	s_and_saveexec_b64 s[8:9], vcc
	s_cbranch_execz .LBB244_2
; %bb.1:
	v_mov_b32_e32 v1, 0
	v_mov_b32_e32 v2, s26
	global_store_dword v1, v2, s[2:3]
.LBB244_2:
	s_or_b64 exec, exec, s[8:9]
	s_load_dword s27, s[4:5], 0x18
	s_load_dwordx2 s[8:9], s[4:5], 0x38
	v_mov_b32_e32 v7, 0
	v_lshrrev_b32_e32 v6, 5, v0
	v_lshlrev_b32_e32 v1, 2, v6
	s_waitcnt lgkmcnt(0)
	s_sub_i32 s10, s0, s27
	s_mul_i32 s7, s8, s9
	s_mul_hi_u32 s11, s8, s8
	s_sub_i32 s28, s1, s27
	s_add_i32 s11, s11, s7
	s_add_i32 s23, s11, s7
	s_sub_i32 s11, s28, s10
	s_mul_i32 s7, s6, s9
	s_mul_hi_u32 s12, s6, s8
	s_mul_i32 s16, s11, s8
	s_add_i32 s7, s12, s7
	s_mul_i32 s6, s6, s8
	s_add_i32 s15, s16, s26
	s_lshl_b64 s[6:7], s[6:7], 2
	s_mul_i32 s22, s8, s8
	s_add_u32 s6, s2, s6
	s_mul_i32 s14, s22, s10
	s_addc_u32 s7, s3, s7
	v_cmp_gt_i64_e32 vcc, s[8:9], v[6:7]
	s_and_saveexec_b64 s[2:3], vcc
	s_cbranch_execz .LBB244_4
; %bb.3:
	v_mul_lo_u32 v2, v6, s16
	s_add_i32 s12, s15, s14
	v_add_u32_e32 v2, s12, v2
	global_store_dword v1, v2, s[6:7] offset:4
.LBB244_4:
	s_or_b64 exec, exec, s[2:3]
	v_or_b32_e32 v4, 32, v6
	v_mov_b32_e32 v5, v7
	v_cmp_gt_i64_e64 s[2:3], s[8:9], v[4:5]
	s_and_saveexec_b64 s[12:13], s[2:3]
	s_cbranch_execz .LBB244_6
; %bb.5:
	s_add_u32 s6, s6, 4
	s_addc_u32 s7, s7, 0
	v_mul_lo_u32 v2, v4, s16
	s_add_i32 s15, s15, s14
	v_add_u32_e32 v2, s15, v2
	global_store_dword v1, v2, s[6:7] offset:128
.LBB244_6:
	s_or_b64 exec, exec, s[12:13]
	s_cmp_lt_i32 s0, s1
	s_cbranch_scc0 .LBB244_17
; %bb.7:
	s_load_dwordx2 s[24:25], s[4:5], 0x30
	s_load_dwordx2 s[12:13], s[4:5], 0x48
	s_load_dword s0, s[4:5], 0x0
	s_load_dwordx2 s[14:15], s[4:5], 0x20
	s_load_dwordx2 s[16:17], s[4:5], 0x58
	v_and_b32_e32 v0, 31, v0
	v_mov_b32_e32 v1, 0
	s_waitcnt lgkmcnt(0)
	s_cmp_eq_u32 s0, 0
	v_or_b32_e32 v2, 32, v0
	v_mov_b32_e32 v3, v1
	s_cselect_b64 s[0:1], -1, 0
	v_mul_lo_u32 v7, v6, s11
	v_cmp_gt_i64_e64 s[4:5], s[8:9], v[0:1]
	v_cmp_gt_i64_e64 s[6:7], s[8:9], v[2:3]
	v_mul_lo_u32 v3, v4, s11
	s_ashr_i32 s11, s10, 31
	s_and_b64 s[18:19], vcc, s[4:5]
	s_and_b64 s[20:21], vcc, s[6:7]
	s_and_b64 s[4:5], s[2:3], s[4:5]
	s_and_b64 s[2:3], s[2:3], s[6:7]
	s_lshl_b64 s[6:7], s[10:11], 3
	s_add_u32 s6, s24, s6
	s_mul_hi_u32 s24, s8, s10
	s_mul_i32 s11, s8, s11
	s_addc_u32 s7, s25, s7
	s_add_i32 s11, s24, s11
	s_mul_i32 s24, s9, s10
	s_mul_i32 s30, s8, s10
	s_add_i32 s31, s11, s24
	s_lshl_b64 s[24:25], s[30:31], 3
	v_lshlrev_b32_e32 v14, 3, v6
	v_mov_b32_e32 v6, s25
	v_add_co_u32_e32 v10, vcc, s24, v14
	v_addc_co_u32_e32 v11, vcc, 0, v6, vcc
	s_movk_i32 s11, 0x100
	v_add_co_u32_e32 v8, vcc, s11, v10
	v_addc_co_u32_e32 v9, vcc, 0, v11, vcc
	v_lshlrev_b32_e32 v12, 3, v0
	v_mov_b32_e32 v13, v1
	v_add_u32_e32 v3, s30, v3
	v_mov_b32_e32 v4, v1
	v_add_u32_e32 v7, s30, v7
	v_mov_b32_e32 v15, v1
	v_mul_lo_u32 v1, s8, v9
	v_mul_lo_u32 v16, s9, v8
	v_mad_u64_u32 v[8:9], s[30:31], s8, v8, v[12:13]
	v_add3_u32 v9, v16, v9, v1
	v_mul_lo_u32 v1, s8, v11
	v_mul_lo_u32 v16, s9, v10
	v_mad_u64_u32 v[10:11], s[30:31], s8, v10, v[12:13]
	v_add3_u32 v11, v16, v11, v1
	v_add_co_u32_e32 v1, vcc, s24, v12
	v_addc_co_u32_e32 v6, vcc, 0, v6, vcc
	v_add_co_u32_e32 v12, vcc, s11, v1
	v_addc_co_u32_e32 v13, vcc, 0, v6, vcc
	v_mul_lo_u32 v16, s8, v13
	v_mul_lo_u32 v17, s9, v12
	v_mad_u64_u32 v[12:13], s[24:25], s8, v12, v[14:15]
	v_add3_u32 v13, v17, v13, v16
	v_mul_lo_u32 v6, s8, v6
	v_mul_lo_u32 v16, s9, v1
	v_mad_u64_u32 v[14:15], s[24:25], s8, v1, v[14:15]
	v_add3_u32 v15, v16, v15, v6
	v_mul_lo_u32 v3, s8, v3
	v_mov_b32_e32 v5, v0
	s_mov_b32 s29, s8
	v_mul_lo_u32 v7, s8, v7
	s_lshl_b64 s[22:23], s[22:23], 3
	v_cndmask_b32_e64 v1, v15, v11, s[0:1]
	v_cndmask_b32_e64 v6, v14, v10, s[0:1]
	s_branch .LBB244_9
.LBB244_8:                              ;   in Loop: Header=BB244_9 Depth=1
	s_or_b64 exec, exec, s[24:25]
	s_add_i32 s10, s10, 1
	s_add_u32 s6, s6, 8
	s_addc_u32 s7, s7, 0
	s_add_u32 s14, s14, s22
	v_mov_b32_e32 v16, s29
	s_addc_u32 s15, s15, s23
	v_add_co_u32_e32 v4, vcc, 0, v4
	s_cmp_ge_i32 s10, s28
	v_addc_co_u32_e32 v5, vcc, v5, v16, vcc
	s_cbranch_scc1 .LBB244_17
.LBB244_9:                              ; =>This Inner Loop Header: Depth=1
	s_load_dwordx2 s[24:25], s[6:7], 0x0
	s_waitcnt lgkmcnt(0)
	s_sub_u32 s24, s24, s27
	s_subb_u32 s25, s25, 0
	s_mul_i32 s30, s24, s9
	s_mul_hi_u32 s31, s24, s8
	s_add_i32 s30, s31, s30
	s_mul_i32 s25, s25, s8
	s_add_i32 s25, s30, s25
	s_mul_i32 s24, s24, s8
	s_add_u32 s30, s24, s26
	s_addc_u32 s31, s25, 0
	s_and_saveexec_b64 s[24:25], s[18:19]
	s_cbranch_execnz .LBB244_13
; %bb.10:                               ;   in Loop: Header=BB244_9 Depth=1
	s_or_b64 exec, exec, s[24:25]
	s_and_saveexec_b64 s[24:25], s[20:21]
	s_cbranch_execnz .LBB244_14
.LBB244_11:                             ;   in Loop: Header=BB244_9 Depth=1
	s_or_b64 exec, exec, s[24:25]
	s_and_saveexec_b64 s[24:25], s[4:5]
	s_cbranch_execnz .LBB244_15
.LBB244_12:                             ;   in Loop: Header=BB244_9 Depth=1
	s_or_b64 exec, exec, s[24:25]
	s_and_saveexec_b64 s[24:25], s[2:3]
	s_cbranch_execz .LBB244_8
	s_branch .LBB244_16
.LBB244_13:                             ;   in Loop: Header=BB244_9 Depth=1
	v_mov_b32_e32 v17, s15
	v_add_co_u32_e32 v16, vcc, s14, v6
	v_addc_co_u32_e32 v17, vcc, v17, v1, vcc
	global_load_dwordx2 v[16:17], v[16:17], off
	v_mov_b32_e32 v19, s31
	v_add_co_u32_e32 v18, vcc, s30, v0
	v_addc_co_u32_e32 v19, vcc, 0, v19, vcc
	v_add_co_u32_e32 v20, vcc, 0, v4
	v_addc_co_u32_e32 v21, vcc, v7, v5, vcc
	v_ashrrev_i64 v[20:21], 29, v[20:21]
	v_mov_b32_e32 v23, s17
	v_add_co_u32_e32 v22, vcc, s16, v20
	v_addc_co_u32_e32 v23, vcc, v23, v21, vcc
	global_store_dwordx2 v[22:23], v[18:19], off
	v_mov_b32_e32 v19, s13
	v_add_co_u32_e32 v18, vcc, s12, v20
	v_addc_co_u32_e32 v19, vcc, v19, v21, vcc
	s_waitcnt vmcnt(1)
	global_store_dwordx2 v[18:19], v[16:17], off
	s_or_b64 exec, exec, s[24:25]
	s_and_saveexec_b64 s[24:25], s[20:21]
	s_cbranch_execz .LBB244_11
.LBB244_14:                             ;   in Loop: Header=BB244_9 Depth=1
	v_mov_b32_e32 v16, s15
	v_add_co_u32_e32 v17, vcc, s14, v10
	v_addc_co_u32_e32 v18, vcc, v16, v11, vcc
	v_add_co_u32_e32 v19, vcc, s11, v17
	v_addc_co_u32_e32 v17, vcc, 0, v18, vcc
	;; [unrolled: 2-line block ×3, first 2 shown]
	v_cndmask_b32_e64 v17, v16, v17, s[0:1]
	v_cndmask_b32_e64 v16, v18, v19, s[0:1]
	global_load_dwordx2 v[16:17], v[16:17], off
	v_mov_b32_e32 v19, s31
	v_add_co_u32_e32 v18, vcc, s30, v2
	v_addc_co_u32_e32 v19, vcc, 0, v19, vcc
	v_add_co_u32_e32 v20, vcc, 0, v4
	v_addc_co_u32_e32 v21, vcc, v7, v5, vcc
	;; [unrolled: 2-line block ×3, first 2 shown]
	v_ashrrev_i64 v[20:21], 29, v[20:21]
	v_mov_b32_e32 v23, s17
	v_add_co_u32_e32 v22, vcc, s16, v20
	v_addc_co_u32_e32 v23, vcc, v23, v21, vcc
	global_store_dwordx2 v[22:23], v[18:19], off
	v_mov_b32_e32 v19, s13
	v_add_co_u32_e32 v18, vcc, s12, v20
	v_addc_co_u32_e32 v19, vcc, v19, v21, vcc
	s_waitcnt vmcnt(1)
	global_store_dwordx2 v[18:19], v[16:17], off
	s_or_b64 exec, exec, s[24:25]
	s_and_saveexec_b64 s[24:25], s[4:5]
	s_cbranch_execz .LBB244_12
.LBB244_15:                             ;   in Loop: Header=BB244_9 Depth=1
	v_mov_b32_e32 v16, s15
	v_add_co_u32_e32 v18, vcc, s14, v8
	v_addc_co_u32_e32 v17, vcc, v16, v9, vcc
	v_add_co_u32_e32 v19, vcc, s14, v14
	v_addc_co_u32_e32 v16, vcc, v16, v15, vcc
	;; [unrolled: 2-line block ×3, first 2 shown]
	v_cndmask_b32_e64 v17, v16, v17, s[0:1]
	v_cndmask_b32_e64 v16, v19, v18, s[0:1]
	global_load_dwordx2 v[16:17], v[16:17], off
	v_mov_b32_e32 v19, s31
	v_add_co_u32_e32 v18, vcc, s30, v0
	v_addc_co_u32_e32 v19, vcc, 0, v19, vcc
	v_add_co_u32_e32 v20, vcc, 0, v4
	v_addc_co_u32_e32 v21, vcc, v3, v5, vcc
	v_ashrrev_i64 v[20:21], 29, v[20:21]
	v_mov_b32_e32 v23, s17
	v_add_co_u32_e32 v22, vcc, s16, v20
	v_addc_co_u32_e32 v23, vcc, v23, v21, vcc
	global_store_dwordx2 v[22:23], v[18:19], off
	v_mov_b32_e32 v19, s13
	v_add_co_u32_e32 v18, vcc, s12, v20
	v_addc_co_u32_e32 v19, vcc, v19, v21, vcc
	s_waitcnt vmcnt(1)
	global_store_dwordx2 v[18:19], v[16:17], off
	s_or_b64 exec, exec, s[24:25]
	s_and_saveexec_b64 s[24:25], s[2:3]
	s_cbranch_execz .LBB244_8
.LBB244_16:                             ;   in Loop: Header=BB244_9 Depth=1
	v_cndmask_b32_e64 v16, v12, v8, s[0:1]
	v_cndmask_b32_e64 v17, v13, v9, s[0:1]
	v_mov_b32_e32 v18, s15
	v_add_co_u32_e32 v16, vcc, s14, v16
	v_addc_co_u32_e32 v17, vcc, v18, v17, vcc
	global_load_dwordx2 v[16:17], v[16:17], off offset:256
	v_mov_b32_e32 v19, s31
	v_add_co_u32_e32 v18, vcc, s30, v2
	v_addc_co_u32_e32 v19, vcc, 0, v19, vcc
	v_add_co_u32_e32 v20, vcc, 0, v4
	v_addc_co_u32_e32 v21, vcc, v3, v5, vcc
	;; [unrolled: 2-line block ×3, first 2 shown]
	v_ashrrev_i64 v[20:21], 29, v[20:21]
	v_mov_b32_e32 v23, s17
	v_add_co_u32_e32 v22, vcc, s16, v20
	v_addc_co_u32_e32 v23, vcc, v23, v21, vcc
	global_store_dwordx2 v[22:23], v[18:19], off
	v_mov_b32_e32 v19, s13
	v_add_co_u32_e32 v18, vcc, s12, v20
	v_addc_co_u32_e32 v19, vcc, v19, v21, vcc
	s_waitcnt vmcnt(1)
	global_store_dwordx2 v[18:19], v[16:17], off
	s_branch .LBB244_8
.LBB244_17:
	s_endpgm
	.section	.rodata,"a",@progbits
	.p2align	6, 0x0
	.amdhsa_kernel _ZN9rocsparseL35bsr2csr_block_per_row_33_256_kernelILj1024ELj64ELj32EdilEEv20rocsparse_direction_T4_S2_21rocsparse_index_base_PKT2_PKT3_PKS2_S2_S3_PS4_PS7_PS2_
		.amdhsa_group_segment_fixed_size 0
		.amdhsa_private_segment_fixed_size 0
		.amdhsa_kernarg_size 96
		.amdhsa_user_sgpr_count 6
		.amdhsa_user_sgpr_private_segment_buffer 1
		.amdhsa_user_sgpr_dispatch_ptr 0
		.amdhsa_user_sgpr_queue_ptr 0
		.amdhsa_user_sgpr_kernarg_segment_ptr 1
		.amdhsa_user_sgpr_dispatch_id 0
		.amdhsa_user_sgpr_flat_scratch_init 0
		.amdhsa_user_sgpr_kernarg_preload_length 0
		.amdhsa_user_sgpr_kernarg_preload_offset 0
		.amdhsa_user_sgpr_private_segment_size 0
		.amdhsa_uses_dynamic_stack 0
		.amdhsa_system_sgpr_private_segment_wavefront_offset 0
		.amdhsa_system_sgpr_workgroup_id_x 1
		.amdhsa_system_sgpr_workgroup_id_y 0
		.amdhsa_system_sgpr_workgroup_id_z 0
		.amdhsa_system_sgpr_workgroup_info 0
		.amdhsa_system_vgpr_workitem_id 0
		.amdhsa_next_free_vgpr 24
		.amdhsa_next_free_sgpr 32
		.amdhsa_accum_offset 24
		.amdhsa_reserve_vcc 1
		.amdhsa_reserve_flat_scratch 0
		.amdhsa_float_round_mode_32 0
		.amdhsa_float_round_mode_16_64 0
		.amdhsa_float_denorm_mode_32 3
		.amdhsa_float_denorm_mode_16_64 3
		.amdhsa_dx10_clamp 1
		.amdhsa_ieee_mode 1
		.amdhsa_fp16_overflow 0
		.amdhsa_tg_split 0
		.amdhsa_exception_fp_ieee_invalid_op 0
		.amdhsa_exception_fp_denorm_src 0
		.amdhsa_exception_fp_ieee_div_zero 0
		.amdhsa_exception_fp_ieee_overflow 0
		.amdhsa_exception_fp_ieee_underflow 0
		.amdhsa_exception_fp_ieee_inexact 0
		.amdhsa_exception_int_div_zero 0
	.end_amdhsa_kernel
	.section	.text._ZN9rocsparseL35bsr2csr_block_per_row_33_256_kernelILj1024ELj64ELj32EdilEEv20rocsparse_direction_T4_S2_21rocsparse_index_base_PKT2_PKT3_PKS2_S2_S3_PS4_PS7_PS2_,"axG",@progbits,_ZN9rocsparseL35bsr2csr_block_per_row_33_256_kernelILj1024ELj64ELj32EdilEEv20rocsparse_direction_T4_S2_21rocsparse_index_base_PKT2_PKT3_PKS2_S2_S3_PS4_PS7_PS2_,comdat
.Lfunc_end244:
	.size	_ZN9rocsparseL35bsr2csr_block_per_row_33_256_kernelILj1024ELj64ELj32EdilEEv20rocsparse_direction_T4_S2_21rocsparse_index_base_PKT2_PKT3_PKS2_S2_S3_PS4_PS7_PS2_, .Lfunc_end244-_ZN9rocsparseL35bsr2csr_block_per_row_33_256_kernelILj1024ELj64ELj32EdilEEv20rocsparse_direction_T4_S2_21rocsparse_index_base_PKT2_PKT3_PKS2_S2_S3_PS4_PS7_PS2_
                                        ; -- End function
	.section	.AMDGPU.csdata,"",@progbits
; Kernel info:
; codeLenInByte = 1360
; NumSgprs: 36
; NumVgprs: 24
; NumAgprs: 0
; TotalNumVgprs: 24
; ScratchSize: 0
; MemoryBound: 0
; FloatMode: 240
; IeeeMode: 1
; LDSByteSize: 0 bytes/workgroup (compile time only)
; SGPRBlocks: 4
; VGPRBlocks: 2
; NumSGPRsForWavesPerEU: 36
; NumVGPRsForWavesPerEU: 24
; AccumOffset: 24
; Occupancy: 8
; WaveLimiterHint : 1
; COMPUTE_PGM_RSRC2:SCRATCH_EN: 0
; COMPUTE_PGM_RSRC2:USER_SGPR: 6
; COMPUTE_PGM_RSRC2:TRAP_HANDLER: 0
; COMPUTE_PGM_RSRC2:TGID_X_EN: 1
; COMPUTE_PGM_RSRC2:TGID_Y_EN: 0
; COMPUTE_PGM_RSRC2:TGID_Z_EN: 0
; COMPUTE_PGM_RSRC2:TIDIG_COMP_CNT: 0
; COMPUTE_PGM_RSRC3_GFX90A:ACCUM_OFFSET: 5
; COMPUTE_PGM_RSRC3_GFX90A:TG_SPLIT: 0
	.section	.text._ZN9rocsparseL35bsr2csr_block_per_row_33_256_kernelILj1024ELj128ELj32EdilEEv20rocsparse_direction_T4_S2_21rocsparse_index_base_PKT2_PKT3_PKS2_S2_S3_PS4_PS7_PS2_,"axG",@progbits,_ZN9rocsparseL35bsr2csr_block_per_row_33_256_kernelILj1024ELj128ELj32EdilEEv20rocsparse_direction_T4_S2_21rocsparse_index_base_PKT2_PKT3_PKS2_S2_S3_PS4_PS7_PS2_,comdat
	.globl	_ZN9rocsparseL35bsr2csr_block_per_row_33_256_kernelILj1024ELj128ELj32EdilEEv20rocsparse_direction_T4_S2_21rocsparse_index_base_PKT2_PKT3_PKS2_S2_S3_PS4_PS7_PS2_ ; -- Begin function _ZN9rocsparseL35bsr2csr_block_per_row_33_256_kernelILj1024ELj128ELj32EdilEEv20rocsparse_direction_T4_S2_21rocsparse_index_base_PKT2_PKT3_PKS2_S2_S3_PS4_PS7_PS2_
	.p2align	8
	.type	_ZN9rocsparseL35bsr2csr_block_per_row_33_256_kernelILj1024ELj128ELj32EdilEEv20rocsparse_direction_T4_S2_21rocsparse_index_base_PKT2_PKT3_PKS2_S2_S3_PS4_PS7_PS2_,@function
_ZN9rocsparseL35bsr2csr_block_per_row_33_256_kernelILj1024ELj128ELj32EdilEEv20rocsparse_direction_T4_S2_21rocsparse_index_base_PKT2_PKT3_PKS2_S2_S3_PS4_PS7_PS2_: ; @_ZN9rocsparseL35bsr2csr_block_per_row_33_256_kernelILj1024ELj128ELj32EdilEEv20rocsparse_direction_T4_S2_21rocsparse_index_base_PKT2_PKT3_PKS2_S2_S3_PS4_PS7_PS2_
; %bb.0:
	s_load_dwordx2 s[0:1], s[4:5], 0x28
	s_load_dword s33, s[4:5], 0x40
	s_load_dwordx2 s[2:3], s[4:5], 0x50
	s_mov_b32 s7, 0
	s_lshl_b64 s[8:9], s[6:7], 2
	s_waitcnt lgkmcnt(0)
	s_add_u32 s0, s0, s8
	s_addc_u32 s1, s1, s9
	s_load_dwordx2 s[0:1], s[0:1], 0x0
	v_or_b32_e32 v1, s6, v0
	v_cmp_eq_u32_e32 vcc, 0, v1
	s_and_saveexec_b64 s[8:9], vcc
	s_cbranch_execz .LBB245_2
; %bb.1:
	v_mov_b32_e32 v1, 0
	v_mov_b32_e32 v2, s33
	global_store_dword v1, v2, s[2:3]
.LBB245_2:
	s_or_b64 exec, exec, s[8:9]
	s_load_dword s52, s[4:5], 0x18
	s_load_dwordx2 s[16:17], s[4:5], 0x38
	v_mov_b32_e32 v17, 0
	v_lshrrev_b32_e32 v16, 5, v0
	v_lshlrev_b32_e32 v1, 2, v16
	s_waitcnt lgkmcnt(0)
	s_sub_i32 s18, s0, s52
	s_mul_i32 s7, s16, s17
	s_mul_hi_u32 s8, s16, s16
	s_sub_i32 s53, s1, s52
	s_add_i32 s8, s8, s7
	s_add_i32 s49, s8, s7
	s_sub_i32 s19, s53, s18
	s_mul_i32 s7, s6, s17
	s_mul_hi_u32 s8, s6, s16
	s_mul_i32 s20, s19, s16
	s_add_i32 s7, s8, s7
	s_mul_i32 s6, s6, s16
	s_add_i32 s15, s20, s33
	s_lshl_b64 s[6:7], s[6:7], 2
	s_mul_i32 s48, s16, s16
	s_add_u32 s2, s2, s6
	s_mul_i32 s14, s48, s18
	s_addc_u32 s3, s3, s7
	v_cmp_gt_i64_e32 vcc, s[16:17], v[16:17]
	s_and_saveexec_b64 s[6:7], vcc
	s_cbranch_execz .LBB245_4
; %bb.3:
	v_mul_lo_u32 v2, v16, s20
	s_add_i32 s8, s15, s14
	v_add_u32_e32 v2, s8, v2
	global_store_dword v1, v2, s[2:3] offset:4
.LBB245_4:
	s_or_b64 exec, exec, s[6:7]
	s_add_u32 s10, s2, 4
	v_or_b32_e32 v12, 32, v16
	v_mov_b32_e32 v13, v17
	s_addc_u32 s11, s3, 0
	v_cmp_gt_i64_e64 s[2:3], s[16:17], v[12:13]
	s_and_saveexec_b64 s[6:7], s[2:3]
	s_cbranch_execz .LBB245_6
; %bb.5:
	v_mul_lo_u32 v2, v12, s20
	s_add_i32 s8, s15, s14
	v_add_u32_e32 v2, s8, v2
	global_store_dword v1, v2, s[10:11] offset:128
.LBB245_6:
	s_or_b64 exec, exec, s[6:7]
	v_or_b32_e32 v10, 64, v16
	v_mov_b32_e32 v11, v17
	v_cmp_gt_i64_e64 s[6:7], s[16:17], v[10:11]
	s_and_saveexec_b64 s[8:9], s[6:7]
	s_cbranch_execz .LBB245_8
; %bb.7:
	v_mul_lo_u32 v2, v10, s20
	s_add_i32 s12, s15, s14
	v_add_u32_e32 v2, s12, v2
	global_store_dword v1, v2, s[10:11] offset:256
.LBB245_8:
	s_or_b64 exec, exec, s[8:9]
	v_or_b32_e32 v2, 0x60, v16
	v_mov_b32_e32 v3, v17
	v_cmp_gt_i64_e64 s[8:9], s[16:17], v[2:3]
	s_and_saveexec_b64 s[12:13], s[8:9]
	s_cbranch_execz .LBB245_10
; %bb.9:
	v_mul_lo_u32 v2, v2, s20
	s_add_i32 s15, s15, s14
	v_add_u32_e32 v2, s15, v2
	global_store_dword v1, v2, s[10:11] offset:384
.LBB245_10:
	s_or_b64 exec, exec, s[12:13]
	s_cmp_lt_i32 s0, s1
	s_cbranch_scc0 .LBB245_45
; %bb.11:
	s_load_dwordx2 s[50:51], s[4:5], 0x30
	s_load_dwordx2 s[20:21], s[4:5], 0x48
	s_load_dword s0, s[4:5], 0x0
	s_load_dwordx2 s[22:23], s[4:5], 0x20
	s_load_dwordx2 s[24:25], s[4:5], 0x58
	v_and_b32_e32 v0, 31, v0
	v_mov_b32_e32 v1, 0
	v_or_b32_e32 v4, 64, v0
	v_mov_b32_e32 v5, v1
	s_waitcnt lgkmcnt(0)
	s_cmp_eq_u32 s0, 0
	v_or_b32_e32 v2, 32, v0
	v_mov_b32_e32 v3, v1
	v_cmp_gt_i64_e64 s[12:13], s[16:17], v[4:5]
	v_or_b32_e32 v6, 0x60, v0
	v_mov_b32_e32 v7, v1
	v_or_b32_e32 v5, 0x60, v16
	s_cselect_b64 s[0:1], -1, 0
	v_mul_lo_u32 v11, v16, s19
	v_cmp_gt_i64_e64 s[4:5], s[16:17], v[0:1]
	v_cmp_gt_i64_e64 s[10:11], s[16:17], v[2:3]
	;; [unrolled: 1-line block ×3, first 2 shown]
	v_mul_lo_u32 v5, v5, s19
	v_mul_lo_u32 v7, v10, s19
	v_mul_lo_u32 v9, v12, s19
	s_ashr_i32 s19, s18, 31
	s_and_b64 s[26:27], vcc, s[4:5]
	s_and_b64 s[28:29], vcc, s[10:11]
	;; [unrolled: 1-line block ×4, first 2 shown]
	s_and_b64 s[36:37], s[2:3], s[4:5]
	s_and_b64 s[38:39], s[2:3], s[10:11]
	;; [unrolled: 1-line block ×12, first 2 shown]
	s_lshl_b64 s[14:15], s[18:19], 3
	s_mul_i32 s56, s16, s18
	s_add_u32 s14, s50, s14
	s_mul_hi_u32 s50, s16, s18
	s_mul_i32 s19, s16, s19
	v_add_u32_e32 v5, s56, v5
	s_addc_u32 s15, s51, s15
	s_add_i32 s19, s50, s19
	s_mul_i32 s50, s17, s18
	v_mul_lo_u32 v5, s16, v5
	v_mov_b32_e32 v13, 0x60
	v_add_co_u32_e64 v8, vcc, 0, 0
	s_add_i32 s57, s19, s50
	v_addc_co_u32_e32 v5, vcc, v5, v13, vcc
	s_lshl_b64 s[50:51], s[56:57], 3
	v_lshlrev_b32_e32 v30, 3, v16
	v_mov_b32_e32 v15, s51
	v_add_co_u32_e32 v22, vcc, s50, v30
	v_addc_co_u32_e32 v23, vcc, 0, v15, vcc
	s_movk_i32 s19, 0x300
	v_add_co_u32_e32 v16, vcc, s19, v22
	v_addc_co_u32_e32 v17, vcc, 0, v23, vcc
	v_lshlrev_b32_e32 v24, 3, v0
	v_mov_b32_e32 v25, v1
	v_add_u32_e32 v7, s56, v7
	v_mov_b32_e32 v10, v1
	v_add_u32_e32 v9, s56, v9
	v_mov_b32_e32 v12, v1
	v_add_u32_e32 v11, s56, v11
	v_mov_b32_e32 v14, v1
	v_mov_b32_e32 v31, v1
	v_mul_lo_u32 v1, s16, v17
	v_mul_lo_u32 v18, s17, v16
	v_mad_u64_u32 v[16:17], s[56:57], s16, v16, v[24:25]
	s_movk_i32 s55, 0x200
	v_add3_u32 v17, v18, v17, v1
	v_add_co_u32_e32 v1, vcc, s55, v22
	v_addc_co_u32_e32 v18, vcc, 0, v23, vcc
	v_mul_lo_u32 v20, s16, v18
	v_mad_u64_u32 v[18:19], s[56:57], s16, v1, v[24:25]
	s_movk_i32 s56, 0x100
	v_mul_lo_u32 v21, s17, v1
	v_add_co_u32_e32 v1, vcc, s56, v22
	v_add3_u32 v19, v21, v19, v20
	v_addc_co_u32_e32 v20, vcc, 0, v23, vcc
	v_mul_lo_u32 v26, s16, v20
	v_mul_lo_u32 v27, s17, v1
	v_mad_u64_u32 v[20:21], s[58:59], s16, v1, v[24:25]
	v_add3_u32 v21, v27, v21, v26
	v_mul_lo_u32 v1, s16, v23
	v_mul_lo_u32 v26, s17, v22
	v_mad_u64_u32 v[22:23], s[58:59], s16, v22, v[24:25]
	v_add3_u32 v23, v26, v23, v1
	v_add_co_u32_e32 v1, vcc, s50, v24
	v_addc_co_u32_e32 v15, vcc, 0, v15, vcc
	v_add_co_u32_e32 v24, vcc, s19, v1
	v_addc_co_u32_e32 v25, vcc, 0, v15, vcc
	v_mul_lo_u32 v26, s16, v25
	v_mul_lo_u32 v27, s17, v24
	v_mad_u64_u32 v[24:25], s[50:51], s16, v24, v[30:31]
	v_add3_u32 v25, v27, v25, v26
	v_add_co_u32_e32 v26, vcc, s55, v1
	v_addc_co_u32_e32 v27, vcc, 0, v15, vcc
	v_mul_lo_u32 v28, s16, v27
	v_mul_lo_u32 v29, s17, v26
	v_mad_u64_u32 v[26:27], s[50:51], s16, v26, v[30:31]
	v_add3_u32 v27, v29, v27, v28
	v_add_co_u32_e32 v28, vcc, s56, v1
	v_addc_co_u32_e32 v29, vcc, 0, v15, vcc
	v_mul_lo_u32 v32, s16, v29
	v_mul_lo_u32 v33, s17, v28
	v_mad_u64_u32 v[28:29], s[50:51], s16, v28, v[30:31]
	v_add3_u32 v29, v33, v29, v32
	v_mul_lo_u32 v15, s16, v15
	v_mul_lo_u32 v32, s17, v1
	v_mad_u64_u32 v[30:31], s[50:51], s16, v1, v[30:31]
	v_mov_b32_e32 v3, v0
	s_mov_b32 s54, s16
	v_mul_lo_u32 v7, s16, v7
	v_mul_lo_u32 v9, s16, v9
	;; [unrolled: 1-line block ×3, first 2 shown]
	s_lshl_b64 s[48:49], s[48:49], 3
	v_add3_u32 v31, v32, v31, v15
	v_mov_b32_e32 v1, 0xffffffa0
	v_not_b32_e32 v15, 63
	v_not_b32_e32 v32, 31
	s_branch .LBB245_13
.LBB245_12:                             ;   in Loop: Header=BB245_13 Depth=1
	s_or_b64 exec, exec, s[50:51]
	v_mov_b32_e32 v33, s54
	v_add_co_u32_e32 v8, vcc, 0, v8
	v_addc_co_u32_e32 v5, vcc, v5, v33, vcc
	s_add_i32 s18, s18, 1
	v_add_co_u32_e32 v10, vcc, 0, v10
	v_addc_co_u32_e32 v7, vcc, v7, v33, vcc
	s_add_u32 s14, s14, 8
	v_add_co_u32_e32 v12, vcc, 0, v12
	s_addc_u32 s15, s15, 0
	v_addc_co_u32_e32 v9, vcc, v9, v33, vcc
	s_add_u32 s22, s22, s48
	s_addc_u32 s23, s23, s49
	v_add_co_u32_e32 v14, vcc, 0, v14
	s_cmp_ge_i32 s18, s53
	v_addc_co_u32_e32 v11, vcc, v11, v33, vcc
	s_cbranch_scc1 .LBB245_45
.LBB245_13:                             ; =>This Inner Loop Header: Depth=1
	s_load_dwordx2 s[50:51], s[14:15], 0x0
	s_waitcnt lgkmcnt(0)
	s_sub_u32 s50, s50, s52
	s_subb_u32 s51, s51, 0
	s_mul_i32 s57, s50, s17
	s_mul_hi_u32 s58, s50, s16
	s_add_i32 s57, s58, s57
	s_mul_i32 s51, s51, s16
	s_add_i32 s51, s57, s51
	s_mul_i32 s50, s50, s16
	s_add_u32 s57, s50, s33
	s_addc_u32 s58, s51, 0
	s_and_saveexec_b64 s[50:51], s[26:27]
	s_cbranch_execnz .LBB245_29
; %bb.14:                               ;   in Loop: Header=BB245_13 Depth=1
	s_or_b64 exec, exec, s[50:51]
	s_and_saveexec_b64 s[50:51], s[28:29]
	s_cbranch_execnz .LBB245_30
.LBB245_15:                             ;   in Loop: Header=BB245_13 Depth=1
	s_or_b64 exec, exec, s[50:51]
	s_and_saveexec_b64 s[50:51], s[30:31]
	s_cbranch_execnz .LBB245_31
.LBB245_16:                             ;   in Loop: Header=BB245_13 Depth=1
	s_or_b64 exec, exec, s[50:51]
	s_and_saveexec_b64 s[50:51], s[34:35]
	s_cbranch_execnz .LBB245_32
.LBB245_17:                             ;   in Loop: Header=BB245_13 Depth=1
	s_or_b64 exec, exec, s[50:51]
	s_and_saveexec_b64 s[50:51], s[36:37]
	s_cbranch_execnz .LBB245_33
.LBB245_18:                             ;   in Loop: Header=BB245_13 Depth=1
	s_or_b64 exec, exec, s[50:51]
	s_and_saveexec_b64 s[50:51], s[38:39]
	s_cbranch_execnz .LBB245_34
.LBB245_19:                             ;   in Loop: Header=BB245_13 Depth=1
	s_or_b64 exec, exec, s[50:51]
	s_and_saveexec_b64 s[50:51], s[40:41]
	s_cbranch_execnz .LBB245_35
.LBB245_20:                             ;   in Loop: Header=BB245_13 Depth=1
	s_or_b64 exec, exec, s[50:51]
	s_and_saveexec_b64 s[50:51], s[2:3]
	s_cbranch_execnz .LBB245_36
.LBB245_21:                             ;   in Loop: Header=BB245_13 Depth=1
	s_or_b64 exec, exec, s[50:51]
	s_and_saveexec_b64 s[50:51], s[42:43]
	s_cbranch_execnz .LBB245_37
.LBB245_22:                             ;   in Loop: Header=BB245_13 Depth=1
	s_or_b64 exec, exec, s[50:51]
	s_and_saveexec_b64 s[50:51], s[44:45]
	s_cbranch_execnz .LBB245_38
.LBB245_23:                             ;   in Loop: Header=BB245_13 Depth=1
	s_or_b64 exec, exec, s[50:51]
	s_and_saveexec_b64 s[50:51], s[46:47]
	s_cbranch_execnz .LBB245_39
.LBB245_24:                             ;   in Loop: Header=BB245_13 Depth=1
	s_or_b64 exec, exec, s[50:51]
	s_and_saveexec_b64 s[50:51], s[6:7]
	s_cbranch_execnz .LBB245_40
.LBB245_25:                             ;   in Loop: Header=BB245_13 Depth=1
	s_or_b64 exec, exec, s[50:51]
	s_and_saveexec_b64 s[50:51], s[4:5]
	s_cbranch_execnz .LBB245_41
.LBB245_26:                             ;   in Loop: Header=BB245_13 Depth=1
	s_or_b64 exec, exec, s[50:51]
	s_and_saveexec_b64 s[50:51], s[10:11]
	s_cbranch_execnz .LBB245_42
.LBB245_27:                             ;   in Loop: Header=BB245_13 Depth=1
	s_or_b64 exec, exec, s[50:51]
	s_and_saveexec_b64 s[50:51], s[12:13]
	s_cbranch_execnz .LBB245_43
.LBB245_28:                             ;   in Loop: Header=BB245_13 Depth=1
	s_or_b64 exec, exec, s[50:51]
	s_and_saveexec_b64 s[50:51], s[8:9]
	s_cbranch_execz .LBB245_12
	s_branch .LBB245_44
.LBB245_29:                             ;   in Loop: Header=BB245_13 Depth=1
	v_cndmask_b32_e64 v34, v30, v22, s[0:1]
	v_cndmask_b32_e64 v33, v31, v23, s[0:1]
	v_mov_b32_e32 v35, s23
	v_add_co_u32_e32 v34, vcc, s22, v34
	v_addc_co_u32_e32 v35, vcc, v35, v33, vcc
	global_load_dwordx2 v[34:35], v[34:35], off
	v_mov_b32_e32 v33, s58
	v_add_co_u32_e32 v36, vcc, s57, v0
	v_addc_co_u32_e32 v37, vcc, 0, v33, vcc
	v_add_co_u32_e32 v38, vcc, 0, v14
	v_addc_co_u32_e32 v39, vcc, v3, v11, vcc
	v_ashrrev_i64 v[38:39], 29, v[38:39]
	v_mov_b32_e32 v33, s25
	v_add_co_u32_e32 v40, vcc, s24, v38
	v_addc_co_u32_e32 v41, vcc, v33, v39, vcc
	global_store_dwordx2 v[40:41], v[36:37], off
	v_mov_b32_e32 v33, s21
	v_add_co_u32_e32 v36, vcc, s20, v38
	v_addc_co_u32_e32 v37, vcc, v33, v39, vcc
	s_waitcnt vmcnt(1)
	global_store_dwordx2 v[36:37], v[34:35], off
	s_or_b64 exec, exec, s[50:51]
	s_and_saveexec_b64 s[50:51], s[28:29]
	s_cbranch_execz .LBB245_15
.LBB245_30:                             ;   in Loop: Header=BB245_13 Depth=1
	v_mov_b32_e32 v33, s23
	v_add_co_u32_e32 v34, vcc, s22, v22
	v_addc_co_u32_e32 v35, vcc, v33, v23, vcc
	v_add_co_u32_e32 v34, vcc, s56, v34
	v_addc_co_u32_e32 v35, vcc, 0, v35, vcc
	;; [unrolled: 2-line block ×3, first 2 shown]
	v_cndmask_b32_e64 v35, v33, v35, s[0:1]
	v_cndmask_b32_e64 v34, v36, v34, s[0:1]
	global_load_dwordx2 v[34:35], v[34:35], off
	v_mov_b32_e32 v33, s58
	v_add_co_u32_e32 v36, vcc, s57, v2
	v_addc_co_u32_e32 v37, vcc, 0, v33, vcc
	v_add_co_u32_e32 v33, vcc, 0, v14
	v_addc_co_u32_e32 v39, vcc, v3, v11, vcc
	;; [unrolled: 2-line block ×3, first 2 shown]
	v_ashrrev_i64 v[38:39], 29, v[38:39]
	v_mov_b32_e32 v33, s25
	v_add_co_u32_e32 v40, vcc, s24, v38
	v_addc_co_u32_e32 v41, vcc, v33, v39, vcc
	global_store_dwordx2 v[40:41], v[36:37], off
	v_mov_b32_e32 v33, s21
	v_add_co_u32_e32 v36, vcc, s20, v38
	v_addc_co_u32_e32 v37, vcc, v33, v39, vcc
	s_waitcnt vmcnt(1)
	global_store_dwordx2 v[36:37], v[34:35], off
	s_or_b64 exec, exec, s[50:51]
	s_and_saveexec_b64 s[50:51], s[30:31]
	s_cbranch_execz .LBB245_16
.LBB245_31:                             ;   in Loop: Header=BB245_13 Depth=1
	v_mov_b32_e32 v33, s23
	v_add_co_u32_e32 v34, vcc, s22, v22
	v_addc_co_u32_e32 v35, vcc, v33, v23, vcc
	v_add_co_u32_e32 v34, vcc, s55, v34
	v_addc_co_u32_e32 v35, vcc, 0, v35, vcc
	;; [unrolled: 2-line block ×3, first 2 shown]
	v_cndmask_b32_e64 v35, v33, v35, s[0:1]
	v_cndmask_b32_e64 v34, v36, v34, s[0:1]
	global_load_dwordx2 v[34:35], v[34:35], off
	v_mov_b32_e32 v33, s58
	v_add_co_u32_e32 v36, vcc, s57, v4
	v_addc_co_u32_e32 v37, vcc, 0, v33, vcc
	v_add_co_u32_e32 v33, vcc, 0, v14
	v_addc_co_u32_e32 v39, vcc, v3, v11, vcc
	;; [unrolled: 2-line block ×3, first 2 shown]
	v_ashrrev_i64 v[38:39], 29, v[38:39]
	v_mov_b32_e32 v33, s25
	v_add_co_u32_e32 v40, vcc, s24, v38
	v_addc_co_u32_e32 v41, vcc, v33, v39, vcc
	global_store_dwordx2 v[40:41], v[36:37], off
	v_mov_b32_e32 v33, s21
	v_add_co_u32_e32 v36, vcc, s20, v38
	v_addc_co_u32_e32 v37, vcc, v33, v39, vcc
	s_waitcnt vmcnt(1)
	global_store_dwordx2 v[36:37], v[34:35], off
	s_or_b64 exec, exec, s[50:51]
	s_and_saveexec_b64 s[50:51], s[34:35]
	s_cbranch_execz .LBB245_17
.LBB245_32:                             ;   in Loop: Header=BB245_13 Depth=1
	v_mov_b32_e32 v33, s23
	v_add_co_u32_e32 v34, vcc, s22, v22
	v_addc_co_u32_e32 v35, vcc, v33, v23, vcc
	v_add_co_u32_e32 v34, vcc, s19, v34
	v_addc_co_u32_e32 v35, vcc, 0, v35, vcc
	;; [unrolled: 2-line block ×3, first 2 shown]
	v_cndmask_b32_e64 v35, v33, v35, s[0:1]
	v_cndmask_b32_e64 v34, v36, v34, s[0:1]
	global_load_dwordx2 v[34:35], v[34:35], off
	v_mov_b32_e32 v33, s58
	v_add_co_u32_e32 v36, vcc, s57, v6
	v_addc_co_u32_e32 v37, vcc, 0, v33, vcc
	v_add_co_u32_e32 v33, vcc, 0, v14
	v_addc_co_u32_e32 v39, vcc, v3, v11, vcc
	;; [unrolled: 2-line block ×3, first 2 shown]
	v_ashrrev_i64 v[38:39], 29, v[38:39]
	v_mov_b32_e32 v33, s25
	v_add_co_u32_e32 v40, vcc, s24, v38
	v_addc_co_u32_e32 v41, vcc, v33, v39, vcc
	global_store_dwordx2 v[40:41], v[36:37], off
	v_mov_b32_e32 v33, s21
	v_add_co_u32_e32 v36, vcc, s20, v38
	v_addc_co_u32_e32 v37, vcc, v33, v39, vcc
	s_waitcnt vmcnt(1)
	global_store_dwordx2 v[36:37], v[34:35], off
	s_or_b64 exec, exec, s[50:51]
	s_and_saveexec_b64 s[50:51], s[36:37]
	s_cbranch_execz .LBB245_18
.LBB245_33:                             ;   in Loop: Header=BB245_13 Depth=1
	v_mov_b32_e32 v33, s23
	v_add_co_u32_e32 v34, vcc, s22, v20
	v_addc_co_u32_e32 v35, vcc, v33, v21, vcc
	v_add_co_u32_e32 v36, vcc, s22, v30
	v_addc_co_u32_e32 v33, vcc, v33, v31, vcc
	;; [unrolled: 2-line block ×3, first 2 shown]
	v_cndmask_b32_e64 v35, v33, v35, s[0:1]
	v_cndmask_b32_e64 v34, v36, v34, s[0:1]
	global_load_dwordx2 v[34:35], v[34:35], off
	v_mov_b32_e32 v33, s58
	v_add_co_u32_e32 v36, vcc, s57, v0
	v_addc_co_u32_e32 v37, vcc, 0, v33, vcc
	v_add_co_u32_e32 v38, vcc, 0, v12
	v_addc_co_u32_e32 v39, vcc, v3, v9, vcc
	v_ashrrev_i64 v[38:39], 29, v[38:39]
	v_mov_b32_e32 v33, s25
	v_add_co_u32_e32 v40, vcc, s24, v38
	v_addc_co_u32_e32 v41, vcc, v33, v39, vcc
	global_store_dwordx2 v[40:41], v[36:37], off
	v_mov_b32_e32 v33, s21
	v_add_co_u32_e32 v36, vcc, s20, v38
	v_addc_co_u32_e32 v37, vcc, v33, v39, vcc
	s_waitcnt vmcnt(1)
	global_store_dwordx2 v[36:37], v[34:35], off
	s_or_b64 exec, exec, s[50:51]
	s_and_saveexec_b64 s[50:51], s[38:39]
	s_cbranch_execz .LBB245_19
.LBB245_34:                             ;   in Loop: Header=BB245_13 Depth=1
	v_cndmask_b32_e64 v34, v28, v20, s[0:1]
	v_cndmask_b32_e64 v33, v29, v21, s[0:1]
	v_mov_b32_e32 v35, s23
	v_add_co_u32_e32 v34, vcc, s22, v34
	v_addc_co_u32_e32 v35, vcc, v35, v33, vcc
	global_load_dwordx2 v[34:35], v[34:35], off offset:256
	v_mov_b32_e32 v33, s58
	v_add_co_u32_e32 v36, vcc, s57, v2
	v_addc_co_u32_e32 v37, vcc, 0, v33, vcc
	v_add_co_u32_e32 v33, vcc, 0, v12
	v_addc_co_u32_e32 v39, vcc, v3, v9, vcc
	;; [unrolled: 2-line block ×3, first 2 shown]
	v_ashrrev_i64 v[38:39], 29, v[38:39]
	v_mov_b32_e32 v33, s25
	v_add_co_u32_e32 v40, vcc, s24, v38
	v_addc_co_u32_e32 v41, vcc, v33, v39, vcc
	global_store_dwordx2 v[40:41], v[36:37], off
	v_mov_b32_e32 v33, s21
	v_add_co_u32_e32 v36, vcc, s20, v38
	v_addc_co_u32_e32 v37, vcc, v33, v39, vcc
	s_waitcnt vmcnt(1)
	global_store_dwordx2 v[36:37], v[34:35], off
	s_or_b64 exec, exec, s[50:51]
	s_and_saveexec_b64 s[50:51], s[40:41]
	s_cbranch_execz .LBB245_20
.LBB245_35:                             ;   in Loop: Header=BB245_13 Depth=1
	v_mov_b32_e32 v33, s23
	v_add_co_u32_e32 v34, vcc, s22, v20
	v_addc_co_u32_e32 v35, vcc, v33, v21, vcc
	v_add_co_u32_e32 v34, vcc, s55, v34
	v_addc_co_u32_e32 v35, vcc, 0, v35, vcc
	;; [unrolled: 2-line block ×4, first 2 shown]
	v_cndmask_b32_e64 v35, v33, v35, s[0:1]
	v_cndmask_b32_e64 v34, v36, v34, s[0:1]
	global_load_dwordx2 v[34:35], v[34:35], off
	v_mov_b32_e32 v33, s58
	v_add_co_u32_e32 v36, vcc, s57, v4
	v_addc_co_u32_e32 v37, vcc, 0, v33, vcc
	v_add_co_u32_e32 v33, vcc, 0, v12
	v_addc_co_u32_e32 v39, vcc, v3, v9, vcc
	;; [unrolled: 2-line block ×3, first 2 shown]
	v_ashrrev_i64 v[38:39], 29, v[38:39]
	v_mov_b32_e32 v33, s25
	v_add_co_u32_e32 v40, vcc, s24, v38
	v_addc_co_u32_e32 v41, vcc, v33, v39, vcc
	global_store_dwordx2 v[40:41], v[36:37], off
	v_mov_b32_e32 v33, s21
	v_add_co_u32_e32 v36, vcc, s20, v38
	v_addc_co_u32_e32 v37, vcc, v33, v39, vcc
	s_waitcnt vmcnt(1)
	global_store_dwordx2 v[36:37], v[34:35], off
	s_or_b64 exec, exec, s[50:51]
	s_and_saveexec_b64 s[50:51], s[2:3]
	s_cbranch_execz .LBB245_21
.LBB245_36:                             ;   in Loop: Header=BB245_13 Depth=1
	v_mov_b32_e32 v33, s23
	v_add_co_u32_e32 v34, vcc, s22, v20
	v_addc_co_u32_e32 v35, vcc, v33, v21, vcc
	v_add_co_u32_e32 v34, vcc, s19, v34
	v_addc_co_u32_e32 v35, vcc, 0, v35, vcc
	;; [unrolled: 2-line block ×4, first 2 shown]
	v_cndmask_b32_e64 v35, v33, v35, s[0:1]
	v_cndmask_b32_e64 v34, v36, v34, s[0:1]
	global_load_dwordx2 v[34:35], v[34:35], off
	v_mov_b32_e32 v33, s58
	v_add_co_u32_e32 v36, vcc, s57, v6
	v_addc_co_u32_e32 v37, vcc, 0, v33, vcc
	v_add_co_u32_e32 v33, vcc, 0, v12
	v_addc_co_u32_e32 v39, vcc, v3, v9, vcc
	v_add_co_u32_e32 v38, vcc, 0, v33
	v_addc_co_u32_e32 v39, vcc, v39, v13, vcc
	v_ashrrev_i64 v[38:39], 29, v[38:39]
	v_mov_b32_e32 v33, s25
	v_add_co_u32_e32 v40, vcc, s24, v38
	v_addc_co_u32_e32 v41, vcc, v33, v39, vcc
	global_store_dwordx2 v[40:41], v[36:37], off
	v_mov_b32_e32 v33, s21
	v_add_co_u32_e32 v36, vcc, s20, v38
	v_addc_co_u32_e32 v37, vcc, v33, v39, vcc
	s_waitcnt vmcnt(1)
	global_store_dwordx2 v[36:37], v[34:35], off
	s_or_b64 exec, exec, s[50:51]
	s_and_saveexec_b64 s[50:51], s[42:43]
	s_cbranch_execz .LBB245_22
.LBB245_37:                             ;   in Loop: Header=BB245_13 Depth=1
	v_mov_b32_e32 v33, s23
	v_add_co_u32_e32 v34, vcc, s22, v18
	v_addc_co_u32_e32 v35, vcc, v33, v19, vcc
	v_add_co_u32_e32 v36, vcc, s22, v30
	v_addc_co_u32_e32 v33, vcc, v33, v31, vcc
	;; [unrolled: 2-line block ×3, first 2 shown]
	v_cndmask_b32_e64 v35, v33, v35, s[0:1]
	v_cndmask_b32_e64 v34, v36, v34, s[0:1]
	global_load_dwordx2 v[34:35], v[34:35], off
	v_mov_b32_e32 v33, s58
	v_add_co_u32_e32 v36, vcc, s57, v0
	v_addc_co_u32_e32 v37, vcc, 0, v33, vcc
	v_add_co_u32_e32 v38, vcc, 0, v10
	v_addc_co_u32_e32 v39, vcc, v3, v7, vcc
	v_ashrrev_i64 v[38:39], 29, v[38:39]
	v_mov_b32_e32 v33, s25
	v_add_co_u32_e32 v40, vcc, s24, v38
	v_addc_co_u32_e32 v41, vcc, v33, v39, vcc
	global_store_dwordx2 v[40:41], v[36:37], off
	v_mov_b32_e32 v33, s21
	v_add_co_u32_e32 v36, vcc, s20, v38
	v_addc_co_u32_e32 v37, vcc, v33, v39, vcc
	s_waitcnt vmcnt(1)
	global_store_dwordx2 v[36:37], v[34:35], off
	s_or_b64 exec, exec, s[50:51]
	s_and_saveexec_b64 s[50:51], s[44:45]
	s_cbranch_execz .LBB245_23
.LBB245_38:                             ;   in Loop: Header=BB245_13 Depth=1
	v_mov_b32_e32 v33, s23
	v_add_co_u32_e32 v34, vcc, s22, v18
	v_addc_co_u32_e32 v35, vcc, v33, v19, vcc
	v_add_co_u32_e32 v34, vcc, s56, v34
	v_addc_co_u32_e32 v35, vcc, 0, v35, vcc
	;; [unrolled: 2-line block ×4, first 2 shown]
	v_cndmask_b32_e64 v35, v33, v35, s[0:1]
	v_cndmask_b32_e64 v34, v36, v34, s[0:1]
	global_load_dwordx2 v[34:35], v[34:35], off
	v_mov_b32_e32 v33, s58
	v_add_co_u32_e32 v36, vcc, s57, v2
	v_addc_co_u32_e32 v37, vcc, 0, v33, vcc
	v_add_co_u32_e32 v33, vcc, 0, v10
	v_addc_co_u32_e32 v39, vcc, v3, v7, vcc
	;; [unrolled: 2-line block ×3, first 2 shown]
	v_ashrrev_i64 v[38:39], 29, v[38:39]
	v_mov_b32_e32 v33, s25
	v_add_co_u32_e32 v40, vcc, s24, v38
	v_addc_co_u32_e32 v41, vcc, v33, v39, vcc
	global_store_dwordx2 v[40:41], v[36:37], off
	v_mov_b32_e32 v33, s21
	v_add_co_u32_e32 v36, vcc, s20, v38
	v_addc_co_u32_e32 v37, vcc, v33, v39, vcc
	s_waitcnt vmcnt(1)
	global_store_dwordx2 v[36:37], v[34:35], off
	s_or_b64 exec, exec, s[50:51]
	s_and_saveexec_b64 s[50:51], s[46:47]
	s_cbranch_execz .LBB245_24
.LBB245_39:                             ;   in Loop: Header=BB245_13 Depth=1
	v_cndmask_b32_e64 v34, v26, v18, s[0:1]
	v_cndmask_b32_e64 v33, v27, v19, s[0:1]
	v_mov_b32_e32 v35, s23
	v_add_co_u32_e32 v34, vcc, s22, v34
	v_addc_co_u32_e32 v35, vcc, v35, v33, vcc
	global_load_dwordx2 v[34:35], v[34:35], off offset:512
	v_mov_b32_e32 v33, s58
	v_add_co_u32_e32 v36, vcc, s57, v4
	v_addc_co_u32_e32 v37, vcc, 0, v33, vcc
	v_add_co_u32_e32 v33, vcc, 0, v10
	v_addc_co_u32_e32 v39, vcc, v3, v7, vcc
	;; [unrolled: 2-line block ×3, first 2 shown]
	v_ashrrev_i64 v[38:39], 29, v[38:39]
	v_mov_b32_e32 v33, s25
	v_add_co_u32_e32 v40, vcc, s24, v38
	v_addc_co_u32_e32 v41, vcc, v33, v39, vcc
	global_store_dwordx2 v[40:41], v[36:37], off
	v_mov_b32_e32 v33, s21
	v_add_co_u32_e32 v36, vcc, s20, v38
	v_addc_co_u32_e32 v37, vcc, v33, v39, vcc
	s_waitcnt vmcnt(1)
	global_store_dwordx2 v[36:37], v[34:35], off
	s_or_b64 exec, exec, s[50:51]
	s_and_saveexec_b64 s[50:51], s[6:7]
	s_cbranch_execz .LBB245_25
.LBB245_40:                             ;   in Loop: Header=BB245_13 Depth=1
	v_mov_b32_e32 v33, s23
	v_add_co_u32_e32 v34, vcc, s22, v18
	v_addc_co_u32_e32 v35, vcc, v33, v19, vcc
	v_add_co_u32_e32 v34, vcc, s19, v34
	v_addc_co_u32_e32 v35, vcc, 0, v35, vcc
	;; [unrolled: 2-line block ×4, first 2 shown]
	v_cndmask_b32_e64 v35, v33, v35, s[0:1]
	v_cndmask_b32_e64 v34, v36, v34, s[0:1]
	global_load_dwordx2 v[34:35], v[34:35], off
	v_mov_b32_e32 v33, s58
	v_add_co_u32_e32 v36, vcc, s57, v6
	v_addc_co_u32_e32 v37, vcc, 0, v33, vcc
	v_add_co_u32_e32 v33, vcc, 0, v10
	v_addc_co_u32_e32 v39, vcc, v3, v7, vcc
	;; [unrolled: 2-line block ×3, first 2 shown]
	v_ashrrev_i64 v[38:39], 29, v[38:39]
	v_mov_b32_e32 v33, s25
	v_add_co_u32_e32 v40, vcc, s24, v38
	v_addc_co_u32_e32 v41, vcc, v33, v39, vcc
	global_store_dwordx2 v[40:41], v[36:37], off
	v_mov_b32_e32 v33, s21
	v_add_co_u32_e32 v36, vcc, s20, v38
	v_addc_co_u32_e32 v37, vcc, v33, v39, vcc
	s_waitcnt vmcnt(1)
	global_store_dwordx2 v[36:37], v[34:35], off
	s_or_b64 exec, exec, s[50:51]
	s_and_saveexec_b64 s[50:51], s[4:5]
	s_cbranch_execz .LBB245_26
.LBB245_41:                             ;   in Loop: Header=BB245_13 Depth=1
	v_mov_b32_e32 v33, s23
	v_add_co_u32_e32 v34, vcc, s22, v16
	v_addc_co_u32_e32 v35, vcc, v33, v17, vcc
	v_add_co_u32_e32 v36, vcc, s22, v30
	v_addc_co_u32_e32 v33, vcc, v33, v31, vcc
	;; [unrolled: 2-line block ×3, first 2 shown]
	v_cndmask_b32_e64 v35, v33, v35, s[0:1]
	v_cndmask_b32_e64 v34, v36, v34, s[0:1]
	global_load_dwordx2 v[34:35], v[34:35], off
	v_mov_b32_e32 v33, s58
	v_add_co_u32_e32 v36, vcc, s57, v0
	v_addc_co_u32_e32 v37, vcc, 0, v33, vcc
	v_add_co_u32_e32 v33, vcc, 0, v8
	v_addc_co_u32_e32 v39, vcc, v3, v5, vcc
	;; [unrolled: 2-line block ×3, first 2 shown]
	v_ashrrev_i64 v[38:39], 29, v[38:39]
	v_mov_b32_e32 v33, s25
	v_add_co_u32_e32 v40, vcc, s24, v38
	v_addc_co_u32_e32 v41, vcc, v33, v39, vcc
	global_store_dwordx2 v[40:41], v[36:37], off
	v_mov_b32_e32 v33, s21
	v_add_co_u32_e32 v36, vcc, s20, v38
	v_addc_co_u32_e32 v37, vcc, v33, v39, vcc
	s_waitcnt vmcnt(1)
	global_store_dwordx2 v[36:37], v[34:35], off
	s_or_b64 exec, exec, s[50:51]
	s_and_saveexec_b64 s[50:51], s[10:11]
	s_cbranch_execz .LBB245_27
.LBB245_42:                             ;   in Loop: Header=BB245_13 Depth=1
	v_mov_b32_e32 v33, s23
	v_add_co_u32_e32 v34, vcc, s22, v16
	v_addc_co_u32_e32 v35, vcc, v33, v17, vcc
	v_add_co_u32_e32 v34, vcc, s56, v34
	v_addc_co_u32_e32 v35, vcc, 0, v35, vcc
	;; [unrolled: 2-line block ×4, first 2 shown]
	v_cndmask_b32_e64 v35, v33, v35, s[0:1]
	v_cndmask_b32_e64 v34, v36, v34, s[0:1]
	global_load_dwordx2 v[34:35], v[34:35], off
	v_mov_b32_e32 v33, s58
	v_add_co_u32_e32 v36, vcc, s57, v2
	v_addc_co_u32_e32 v37, vcc, 0, v33, vcc
	v_add_co_u32_e32 v33, vcc, 0, v8
	v_addc_co_u32_e32 v39, vcc, v3, v5, vcc
	;; [unrolled: 2-line block ×3, first 2 shown]
	v_ashrrev_i64 v[38:39], 29, v[38:39]
	v_mov_b32_e32 v33, s25
	v_add_co_u32_e32 v40, vcc, s24, v38
	v_addc_co_u32_e32 v41, vcc, v33, v39, vcc
	global_store_dwordx2 v[40:41], v[36:37], off
	v_mov_b32_e32 v33, s21
	v_add_co_u32_e32 v36, vcc, s20, v38
	v_addc_co_u32_e32 v37, vcc, v33, v39, vcc
	s_waitcnt vmcnt(1)
	global_store_dwordx2 v[36:37], v[34:35], off
	s_or_b64 exec, exec, s[50:51]
	s_and_saveexec_b64 s[50:51], s[12:13]
	s_cbranch_execz .LBB245_28
.LBB245_43:                             ;   in Loop: Header=BB245_13 Depth=1
	v_mov_b32_e32 v33, s23
	v_add_co_u32_e32 v34, vcc, s22, v16
	v_addc_co_u32_e32 v35, vcc, v33, v17, vcc
	v_add_co_u32_e32 v34, vcc, s55, v34
	v_addc_co_u32_e32 v35, vcc, 0, v35, vcc
	;; [unrolled: 2-line block ×4, first 2 shown]
	v_cndmask_b32_e64 v35, v33, v35, s[0:1]
	v_cndmask_b32_e64 v34, v36, v34, s[0:1]
	global_load_dwordx2 v[34:35], v[34:35], off
	v_mov_b32_e32 v33, s58
	v_add_co_u32_e32 v36, vcc, s57, v4
	v_addc_co_u32_e32 v37, vcc, 0, v33, vcc
	v_add_co_u32_e32 v33, vcc, 0, v8
	v_addc_co_u32_e32 v39, vcc, v3, v5, vcc
	;; [unrolled: 2-line block ×3, first 2 shown]
	v_ashrrev_i64 v[38:39], 29, v[38:39]
	v_mov_b32_e32 v33, s25
	v_add_co_u32_e32 v40, vcc, s24, v38
	v_addc_co_u32_e32 v41, vcc, v33, v39, vcc
	global_store_dwordx2 v[40:41], v[36:37], off
	v_mov_b32_e32 v33, s21
	v_add_co_u32_e32 v36, vcc, s20, v38
	v_addc_co_u32_e32 v37, vcc, v33, v39, vcc
	s_waitcnt vmcnt(1)
	global_store_dwordx2 v[36:37], v[34:35], off
	s_or_b64 exec, exec, s[50:51]
	s_and_saveexec_b64 s[50:51], s[8:9]
	s_cbranch_execz .LBB245_12
.LBB245_44:                             ;   in Loop: Header=BB245_13 Depth=1
	v_cndmask_b32_e64 v34, v24, v16, s[0:1]
	v_cndmask_b32_e64 v33, v25, v17, s[0:1]
	v_mov_b32_e32 v35, s23
	v_add_co_u32_e32 v34, vcc, s22, v34
	v_addc_co_u32_e32 v35, vcc, v35, v33, vcc
	global_load_dwordx2 v[34:35], v[34:35], off offset:768
	v_mov_b32_e32 v33, s58
	v_add_co_u32_e32 v36, vcc, s57, v6
	v_addc_co_u32_e32 v37, vcc, 0, v33, vcc
	v_add_co_u32_e32 v38, vcc, 0, v8
	v_addc_co_u32_e32 v39, vcc, v3, v5, vcc
	v_ashrrev_i64 v[38:39], 29, v[38:39]
	v_mov_b32_e32 v33, s25
	v_add_co_u32_e32 v40, vcc, s24, v38
	v_addc_co_u32_e32 v41, vcc, v33, v39, vcc
	global_store_dwordx2 v[40:41], v[36:37], off
	v_mov_b32_e32 v33, s21
	v_add_co_u32_e32 v36, vcc, s20, v38
	v_addc_co_u32_e32 v37, vcc, v33, v39, vcc
	s_waitcnt vmcnt(1)
	global_store_dwordx2 v[36:37], v[34:35], off
	s_branch .LBB245_12
.LBB245_45:
	s_endpgm
	.section	.rodata,"a",@progbits
	.p2align	6, 0x0
	.amdhsa_kernel _ZN9rocsparseL35bsr2csr_block_per_row_33_256_kernelILj1024ELj128ELj32EdilEEv20rocsparse_direction_T4_S2_21rocsparse_index_base_PKT2_PKT3_PKS2_S2_S3_PS4_PS7_PS2_
		.amdhsa_group_segment_fixed_size 0
		.amdhsa_private_segment_fixed_size 0
		.amdhsa_kernarg_size 96
		.amdhsa_user_sgpr_count 6
		.amdhsa_user_sgpr_private_segment_buffer 1
		.amdhsa_user_sgpr_dispatch_ptr 0
		.amdhsa_user_sgpr_queue_ptr 0
		.amdhsa_user_sgpr_kernarg_segment_ptr 1
		.amdhsa_user_sgpr_dispatch_id 0
		.amdhsa_user_sgpr_flat_scratch_init 0
		.amdhsa_user_sgpr_kernarg_preload_length 0
		.amdhsa_user_sgpr_kernarg_preload_offset 0
		.amdhsa_user_sgpr_private_segment_size 0
		.amdhsa_uses_dynamic_stack 0
		.amdhsa_system_sgpr_private_segment_wavefront_offset 0
		.amdhsa_system_sgpr_workgroup_id_x 1
		.amdhsa_system_sgpr_workgroup_id_y 0
		.amdhsa_system_sgpr_workgroup_id_z 0
		.amdhsa_system_sgpr_workgroup_info 0
		.amdhsa_system_vgpr_workitem_id 0
		.amdhsa_next_free_vgpr 42
		.amdhsa_next_free_sgpr 60
		.amdhsa_accum_offset 44
		.amdhsa_reserve_vcc 1
		.amdhsa_reserve_flat_scratch 0
		.amdhsa_float_round_mode_32 0
		.amdhsa_float_round_mode_16_64 0
		.amdhsa_float_denorm_mode_32 3
		.amdhsa_float_denorm_mode_16_64 3
		.amdhsa_dx10_clamp 1
		.amdhsa_ieee_mode 1
		.amdhsa_fp16_overflow 0
		.amdhsa_tg_split 0
		.amdhsa_exception_fp_ieee_invalid_op 0
		.amdhsa_exception_fp_denorm_src 0
		.amdhsa_exception_fp_ieee_div_zero 0
		.amdhsa_exception_fp_ieee_overflow 0
		.amdhsa_exception_fp_ieee_underflow 0
		.amdhsa_exception_fp_ieee_inexact 0
		.amdhsa_exception_int_div_zero 0
	.end_amdhsa_kernel
	.section	.text._ZN9rocsparseL35bsr2csr_block_per_row_33_256_kernelILj1024ELj128ELj32EdilEEv20rocsparse_direction_T4_S2_21rocsparse_index_base_PKT2_PKT3_PKS2_S2_S3_PS4_PS7_PS2_,"axG",@progbits,_ZN9rocsparseL35bsr2csr_block_per_row_33_256_kernelILj1024ELj128ELj32EdilEEv20rocsparse_direction_T4_S2_21rocsparse_index_base_PKT2_PKT3_PKS2_S2_S3_PS4_PS7_PS2_,comdat
.Lfunc_end245:
	.size	_ZN9rocsparseL35bsr2csr_block_per_row_33_256_kernelILj1024ELj128ELj32EdilEEv20rocsparse_direction_T4_S2_21rocsparse_index_base_PKT2_PKT3_PKS2_S2_S3_PS4_PS7_PS2_, .Lfunc_end245-_ZN9rocsparseL35bsr2csr_block_per_row_33_256_kernelILj1024ELj128ELj32EdilEEv20rocsparse_direction_T4_S2_21rocsparse_index_base_PKT2_PKT3_PKS2_S2_S3_PS4_PS7_PS2_
                                        ; -- End function
	.section	.AMDGPU.csdata,"",@progbits
; Kernel info:
; codeLenInByte = 3740
; NumSgprs: 64
; NumVgprs: 42
; NumAgprs: 0
; TotalNumVgprs: 42
; ScratchSize: 0
; MemoryBound: 0
; FloatMode: 240
; IeeeMode: 1
; LDSByteSize: 0 bytes/workgroup (compile time only)
; SGPRBlocks: 7
; VGPRBlocks: 5
; NumSGPRsForWavesPerEU: 64
; NumVGPRsForWavesPerEU: 42
; AccumOffset: 44
; Occupancy: 8
; WaveLimiterHint : 1
; COMPUTE_PGM_RSRC2:SCRATCH_EN: 0
; COMPUTE_PGM_RSRC2:USER_SGPR: 6
; COMPUTE_PGM_RSRC2:TRAP_HANDLER: 0
; COMPUTE_PGM_RSRC2:TGID_X_EN: 1
; COMPUTE_PGM_RSRC2:TGID_Y_EN: 0
; COMPUTE_PGM_RSRC2:TGID_Z_EN: 0
; COMPUTE_PGM_RSRC2:TIDIG_COMP_CNT: 0
; COMPUTE_PGM_RSRC3_GFX90A:ACCUM_OFFSET: 10
; COMPUTE_PGM_RSRC3_GFX90A:TG_SPLIT: 0
	.section	.text._ZN9rocsparseL35bsr2csr_block_per_row_33_256_kernelILj1024ELj256ELj32EdilEEv20rocsparse_direction_T4_S2_21rocsparse_index_base_PKT2_PKT3_PKS2_S2_S3_PS4_PS7_PS2_,"axG",@progbits,_ZN9rocsparseL35bsr2csr_block_per_row_33_256_kernelILj1024ELj256ELj32EdilEEv20rocsparse_direction_T4_S2_21rocsparse_index_base_PKT2_PKT3_PKS2_S2_S3_PS4_PS7_PS2_,comdat
	.globl	_ZN9rocsparseL35bsr2csr_block_per_row_33_256_kernelILj1024ELj256ELj32EdilEEv20rocsparse_direction_T4_S2_21rocsparse_index_base_PKT2_PKT3_PKS2_S2_S3_PS4_PS7_PS2_ ; -- Begin function _ZN9rocsparseL35bsr2csr_block_per_row_33_256_kernelILj1024ELj256ELj32EdilEEv20rocsparse_direction_T4_S2_21rocsparse_index_base_PKT2_PKT3_PKS2_S2_S3_PS4_PS7_PS2_
	.p2align	8
	.type	_ZN9rocsparseL35bsr2csr_block_per_row_33_256_kernelILj1024ELj256ELj32EdilEEv20rocsparse_direction_T4_S2_21rocsparse_index_base_PKT2_PKT3_PKS2_S2_S3_PS4_PS7_PS2_,@function
_ZN9rocsparseL35bsr2csr_block_per_row_33_256_kernelILj1024ELj256ELj32EdilEEv20rocsparse_direction_T4_S2_21rocsparse_index_base_PKT2_PKT3_PKS2_S2_S3_PS4_PS7_PS2_: ; @_ZN9rocsparseL35bsr2csr_block_per_row_33_256_kernelILj1024ELj256ELj32EdilEEv20rocsparse_direction_T4_S2_21rocsparse_index_base_PKT2_PKT3_PKS2_S2_S3_PS4_PS7_PS2_
; %bb.0:
	s_load_dwordx2 s[0:1], s[4:5], 0x28
	s_load_dword s12, s[4:5], 0x40
	s_load_dwordx2 s[2:3], s[4:5], 0x50
	s_mov_b32 s7, 0
	s_lshl_b64 s[8:9], s[6:7], 2
	s_waitcnt lgkmcnt(0)
	s_add_u32 s0, s0, s8
	s_addc_u32 s1, s1, s9
	s_load_dwordx2 s[0:1], s[0:1], 0x0
	v_or_b32_e32 v1, s6, v0
	v_cmp_eq_u32_e32 vcc, 0, v1
	s_and_saveexec_b64 s[8:9], vcc
	s_cbranch_execz .LBB246_2
; %bb.1:
	v_mov_b32_e32 v1, 0
	v_mov_b32_e32 v2, s12
	global_store_dword v1, v2, s[2:3]
.LBB246_2:
	s_or_b64 exec, exec, s[8:9]
	s_load_dword s7, s[4:5], 0x18
	s_load_dwordx2 s[36:37], s[4:5], 0x38
                                        ; implicit-def: $vgpr86 : SGPR spill to VGPR lane
	v_mov_b32_e32 v17, 0
	v_lshrrev_b32_e32 v16, 5, v0
	v_lshlrev_b32_e32 v1, 2, v16
	s_waitcnt lgkmcnt(0)
	s_sub_i32 s38, s0, s7
	v_writelane_b32 v86, s7, 0
	s_sub_i32 s9, s1, s7
	s_mul_i32 s7, s36, s37
	s_mul_hi_u32 s8, s36, s36
	s_add_i32 s8, s8, s7
	s_add_i32 s89, s8, s7
	s_sub_i32 s33, s9, s38
	s_mul_i32 s7, s6, s37
	s_mul_hi_u32 s8, s6, s36
	s_mul_i32 s24, s33, s36
	s_add_i32 s7, s8, s7
	s_mul_i32 s6, s6, s36
	s_add_i32 s23, s24, s12
	s_lshl_b64 s[6:7], s[6:7], 2
	s_mul_i32 s88, s36, s36
	s_add_u32 s2, s2, s6
	s_mul_i32 s22, s88, s38
	v_writelane_b32 v86, s9, 1
	s_addc_u32 s3, s3, s7
	v_cmp_gt_i64_e32 vcc, s[36:37], v[16:17]
	v_writelane_b32 v86, s12, 2
	s_and_saveexec_b64 s[6:7], vcc
	s_cbranch_execz .LBB246_4
; %bb.3:
	v_mul_lo_u32 v2, v16, s24
	s_add_i32 s8, s23, s22
	v_add_u32_e32 v2, s8, v2
	global_store_dword v1, v2, s[2:3] offset:4
.LBB246_4:
	s_or_b64 exec, exec, s[6:7]
	s_add_u32 s18, s2, 4
	v_or_b32_e32 v18, 32, v16
	v_mov_b32_e32 v19, v17
	s_addc_u32 s19, s3, 0
	v_cmp_gt_i64_e64 s[2:3], s[36:37], v[18:19]
	s_and_saveexec_b64 s[6:7], s[2:3]
	s_cbranch_execz .LBB246_6
; %bb.5:
	v_mul_lo_u32 v2, v18, s24
	s_add_i32 s8, s23, s22
	v_add_u32_e32 v2, s8, v2
	global_store_dword v1, v2, s[18:19] offset:128
.LBB246_6:
	s_or_b64 exec, exec, s[6:7]
	v_or_b32_e32 v20, 64, v16
	v_mov_b32_e32 v21, v17
	v_cmp_gt_i64_e64 s[6:7], s[36:37], v[20:21]
	s_and_saveexec_b64 s[8:9], s[6:7]
	s_cbranch_execz .LBB246_8
; %bb.7:
	v_mul_lo_u32 v2, v20, s24
	s_add_i32 s10, s23, s22
	v_add_u32_e32 v2, s10, v2
	global_store_dword v1, v2, s[18:19] offset:256
.LBB246_8:
	s_or_b64 exec, exec, s[8:9]
	v_or_b32_e32 v2, 0x60, v16
	v_mov_b32_e32 v3, v17
	;; [unrolled: 12-line block ×6, first 2 shown]
	v_cmp_gt_i64_e64 s[16:17], s[36:37], v[2:3]
	s_and_saveexec_b64 s[20:21], s[16:17]
	s_cbranch_execz .LBB246_18
; %bb.17:
	v_mul_lo_u32 v2, v2, s24
	s_add_i32 s23, s23, s22
	v_add_u32_e32 v2, s23, v2
	global_store_dword v1, v2, s[18:19] offset:896
.LBB246_18:
	s_or_b64 exec, exec, s[20:21]
	s_cmp_lt_i32 s0, s1
	s_cbranch_scc0 .LBB246_149
; %bb.19:
	s_load_dword s0, s[4:5], 0x0
	v_and_b32_e32 v0, 31, v0
	v_mov_b32_e32 v1, 0
	v_cmp_gt_i64_e64 s[18:19], s[36:37], v[0:1]
	v_or_b32_e32 v2, 32, v0
	s_waitcnt lgkmcnt(0)
	s_cmp_eq_u32 s0, 0
	s_cselect_b64 s[0:1], -1, 0
	v_mov_b32_e32 v3, v1
	s_and_b64 s[44:45], vcc, s[18:19]
	v_cmp_gt_i64_e64 s[20:21], s[36:37], v[2:3]
	v_writelane_b32 v86, s44, 3
	v_or_b32_e32 v4, 64, v0
	v_mov_b32_e32 v5, v1
	v_writelane_b32 v86, s45, 4
	s_and_b64 s[44:45], vcc, s[20:21]
	v_cmp_gt_i64_e64 s[22:23], s[36:37], v[4:5]
	v_writelane_b32 v86, s44, 5
	v_or_b32_e32 v6, 0x60, v0
	v_mov_b32_e32 v7, v1
	v_writelane_b32 v86, s45, 6
	;; [unrolled: 6-line block ×6, first 2 shown]
	s_and_b64 s[44:45], vcc, s[30:31]
	v_cmp_gt_i64_e64 s[34:35], s[36:37], v[14:15]
	v_writelane_b32 v86, s44, 15
	v_writelane_b32 v86, s45, 16
	s_and_b64 s[44:45], vcc, s[34:35]
	v_writelane_b32 v86, s44, 17
	v_writelane_b32 v86, s45, 18
	s_and_b64 s[44:45], s[2:3], s[18:19]
	v_writelane_b32 v86, s44, 19
	v_writelane_b32 v86, s45, 20
	s_and_b64 s[44:45], s[2:3], s[20:21]
	;; [unrolled: 3-line block ×23, first 2 shown]
	s_and_b64 s[8:9], s[8:9], s[34:35]
	s_and_b64 s[50:51], s[10:11], s[18:19]
	;; [unrolled: 1-line block ×33, first 2 shown]
	s_load_dwordx2 s[34:35], s[4:5], 0x30
	s_ashr_i32 s39, s38, 31
	s_lshl_b64 s[44:45], s[38:39], 3
	v_or_b32_e32 v5, 0xe0, v16
	v_or_b32_e32 v7, 0xc0, v16
	v_or_b32_e32 v9, 0xa0, v16
	v_or_b32_e32 v11, 0x80, v16
	v_or_b32_e32 v13, 0x60, v16
	s_waitcnt lgkmcnt(0)
	s_add_u32 s34, s34, s44
	v_mul_lo_u32 v3, v16, s33
	v_mul_lo_u32 v5, v5, s33
	;; [unrolled: 1-line block ×8, first 2 shown]
	s_mul_hi_u32 s33, s36, s38
	s_mul_i32 s39, s36, s39
	s_addc_u32 s35, s35, s45
	s_add_i32 s33, s33, s39
	s_mul_i32 s39, s37, s38
	s_add_i32 s45, s33, s39
	s_mul_i32 s44, s36, s38
	s_lshl_b64 s[46:47], s[44:45], 3
	v_lshlrev_b32_e32 v62, 3, v16
	v_add_u32_e32 v19, s44, v3
	v_mov_b32_e32 v3, s47
	v_add_co_u32_e32 v21, vcc, s46, v62
	v_addc_co_u32_e32 v23, vcc, 0, v3, vcc
	s_movk_i32 s39, 0x700
	v_add_co_u32_e32 v25, vcc, s39, v21
	v_addc_co_u32_e32 v27, vcc, 0, v23, vcc
	s_movk_i32 s33, 0x600
	;; [unrolled: 3-line block ×6, first 2 shown]
	v_add_co_u32_e32 v42, vcc, s95, v21
	v_add_u32_e32 v5, s44, v5
	v_add_u32_e32 v7, s44, v7
	;; [unrolled: 1-line block ×7, first 2 shown]
	v_addc_co_u32_e32 v43, vcc, 0, v23, vcc
	s_movk_i32 s44, 0x100
	v_add_co_u32_e32 v44, vcc, s44, v21
	v_addc_co_u32_e32 v45, vcc, 0, v23, vcc
	v_lshlrev_b32_e32 v46, 3, v0
	v_add_co_u32_e32 v48, vcc, s46, v46
	v_addc_co_u32_e32 v49, vcc, 0, v3, vcc
	v_add_co_u32_e32 v50, vcc, s44, v48
	v_addc_co_u32_e32 v51, vcc, 0, v49, vcc
	;; [unrolled: 2-line block ×3, first 2 shown]
	v_add_co_u32_e32 v54, vcc, s94, v48
	v_mov_b32_e32 v47, v1
	v_addc_co_u32_e32 v55, vcc, 0, v49, vcc
	v_mov_b32_e32 v16, v1
	v_mov_b32_e32 v18, v1
	v_mov_b32_e32 v20, v1
	v_mov_b32_e32 v22, v1
	v_mov_b32_e32 v24, v1
	v_mov_b32_e32 v26, v1
	v_mov_b32_e32 v28, v1
	v_mov_b32_e32 v30, v1
	v_mov_b32_e32 v63, v1
	v_mul_lo_u32 v1, s36, v27
	v_mul_lo_u32 v27, s37, v25
	v_mad_u64_u32 v[32:33], s[46:47], s36, v25, v[46:47]
	v_add_co_u32_e32 v56, vcc, s93, v48
	v_add3_u32 v33, v27, v33, v1
	v_mul_lo_u32 v1, s36, v31
	v_mul_lo_u32 v25, s37, v29
	v_mad_u64_u32 v[34:35], s[46:47], s36, v29, v[46:47]
	v_addc_co_u32_e32 v57, vcc, 0, v49, vcc
	v_add3_u32 v35, v25, v35, v1
	v_mul_lo_u32 v1, s36, v37
	v_mul_lo_u32 v25, s37, v36
	v_mad_u64_u32 v[36:37], s[46:47], s36, v36, v[46:47]
	v_add_co_u32_e32 v58, vcc, s92, v48
	v_add3_u32 v37, v25, v37, v1
	v_mul_lo_u32 v1, s36, v39
	v_mul_lo_u32 v25, s37, v38
	v_mad_u64_u32 v[38:39], s[46:47], s36, v38, v[46:47]
	v_addc_co_u32_e32 v59, vcc, 0, v49, vcc
	v_add3_u32 v39, v25, v39, v1
	;; [unrolled: 10-line block ×4, first 2 shown]
	v_mul_lo_u32 v1, s36, v49
	v_mul_lo_u32 v21, s37, v48
	v_mad_u64_u32 v[48:49], s[46:47], s36, v48, v[62:63]
	v_add3_u32 v49, v21, v49, v1
	v_mul_lo_u32 v1, s36, v51
	v_mul_lo_u32 v21, s37, v50
	v_mad_u64_u32 v[50:51], s[46:47], s36, v50, v[62:63]
	v_add3_u32 v51, v21, v51, v1
	;; [unrolled: 4-line block ×3, first 2 shown]
	v_mul_lo_u32 v1, s36, v55
	v_mul_lo_u32 v21, s37, v54
	v_mad_u64_u32 v[54:55], s[46:47], s36, v54, v[62:63]
	s_load_dwordx2 s[40:41], s[4:5], 0x48
	s_load_dwordx2 s[42:43], s[4:5], 0x20
	v_add3_u32 v55, v21, v55, v1
	s_load_dwordx2 s[4:5], s[4:5], 0x58
	v_mul_lo_u32 v1, s36, v57
	v_mul_lo_u32 v21, s37, v56
	v_mad_u64_u32 v[56:57], s[46:47], s36, v56, v[62:63]
	v_add3_u32 v57, v21, v57, v1
	v_mul_lo_u32 v1, s36, v59
	v_mul_lo_u32 v21, s37, v58
	v_mad_u64_u32 v[58:59], s[46:47], s36, v58, v[62:63]
	v_add3_u32 v59, v21, v59, v1
	;; [unrolled: 4-line block ×3, first 2 shown]
	v_mul_lo_u32 v1, s36, v65
	v_mul_lo_u32 v21, s37, v64
	v_mad_u64_u32 v[62:63], s[46:47], s36, v64, v[62:63]
	v_mov_b32_e32 v3, v0
	v_mul_lo_u32 v5, s36, v5
	v_mul_lo_u32 v7, s36, v7
	;; [unrolled: 1-line block ×8, first 2 shown]
	s_lshl_b64 s[88:89], s[88:89], 3
	v_add3_u32 v63, v21, v63, v1
	v_mov_b32_e32 v1, 0x60
	v_mov_b32_e32 v21, 0x80
	;; [unrolled: 1-line block ×5, first 2 shown]
	s_mov_b32 s45, s36
	s_branch .LBB246_21
.LBB246_20:                             ;   in Loop: Header=BB246_21 Depth=1
	s_or_b64 exec, exec, s[90:91]
	v_mov_b32_e32 v29, s45
	v_add_co_u32_e32 v16, vcc, 0, v16
	v_addc_co_u32_e32 v5, vcc, v5, v29, vcc
	v_add_co_u32_e32 v18, vcc, 0, v18
	v_addc_co_u32_e32 v7, vcc, v7, v29, vcc
	;; [unrolled: 2-line block ×5, first 2 shown]
	s_add_i32 s38, s38, 1
	v_add_co_u32_e32 v26, vcc, 0, v26
	v_addc_co_u32_e32 v15, vcc, v15, v29, vcc
	s_add_u32 s34, s34, 8
	v_add_co_u32_e32 v28, vcc, 0, v28
	s_addc_u32 s35, s35, 0
	v_addc_co_u32_e32 v17, vcc, v17, v29, vcc
	s_add_u32 s42, s42, s88
	s_addc_u32 s43, s43, s89
	v_readlane_b32 s46, v86, 1
	v_add_co_u32_e32 v30, vcc, 0, v30
	s_cmp_ge_i32 s38, s46
	v_addc_co_u32_e32 v19, vcc, v19, v29, vcc
	s_cbranch_scc1 .LBB246_149
.LBB246_21:                             ; =>This Inner Loop Header: Depth=1
	s_load_dwordx2 s[46:47], s[34:35], 0x0
	v_readlane_b32 s90, v86, 0
	s_waitcnt lgkmcnt(0)
	s_sub_u32 s46, s46, s90
	s_subb_u32 s47, s47, 0
	s_mul_i32 s90, s46, s37
	s_mul_hi_u32 s91, s46, s36
	s_add_i32 s90, s91, s90
	s_mul_i32 s47, s47, s36
	s_mul_i32 s46, s46, s36
	s_add_i32 s90, s90, s47
	v_readlane_b32 s47, v86, 2
	s_add_u32 s46, s46, s47
	s_addc_u32 s47, s90, 0
	v_mov_b32_e32 v29, s47
	v_add_co_u32_e32 v68, vcc, s46, v0
	v_addc_co_u32_e32 v69, vcc, 0, v29, vcc
	s_mov_b64 s[90:91], exec
	v_readlane_b32 vcc_lo, v86, 3
	v_readlane_b32 vcc_hi, v86, 4
	s_and_b64 vcc, s[90:91], vcc
	s_mov_b64 exec, vcc
	s_cbranch_execz .LBB246_23
; %bb.22:                               ;   in Loop: Header=BB246_21 Depth=1
	v_cndmask_b32_e64 v31, v48, v46, s[0:1]
	v_cndmask_b32_e64 v29, v49, v47, s[0:1]
	v_mov_b32_e32 v65, s43
	v_add_co_u32_e32 v64, vcc, s42, v31
	v_addc_co_u32_e32 v65, vcc, v65, v29, vcc
	global_load_dwordx2 v[64:65], v[64:65], off
	v_add_co_u32_e32 v66, vcc, 0, v30
	v_addc_co_u32_e32 v67, vcc, v3, v19, vcc
	v_ashrrev_i64 v[66:67], 29, v[66:67]
	v_mov_b32_e32 v29, s5
	v_add_co_u32_e32 v70, vcc, s4, v66
	v_addc_co_u32_e32 v71, vcc, v29, v67, vcc
	v_mov_b32_e32 v29, s41
	v_add_co_u32_e32 v66, vcc, s40, v66
	v_addc_co_u32_e32 v67, vcc, v29, v67, vcc
	global_store_dwordx2 v[70:71], v[68:69], off
	s_waitcnt vmcnt(1)
	global_store_dwordx2 v[66:67], v[64:65], off
.LBB246_23:                             ;   in Loop: Header=BB246_21 Depth=1
	s_or_b64 exec, exec, s[90:91]
	v_mov_b32_e32 v29, s47
	v_add_co_u32_e32 v64, vcc, s46, v2
	v_addc_co_u32_e32 v65, vcc, 0, v29, vcc
	s_mov_b64 s[90:91], exec
	v_readlane_b32 vcc_lo, v86, 5
	v_readlane_b32 vcc_hi, v86, 6
	s_and_b64 vcc, s[90:91], vcc
	s_mov_b64 exec, vcc
	s_cbranch_execz .LBB246_25
; %bb.24:                               ;   in Loop: Header=BB246_21 Depth=1
	v_mov_b32_e32 v29, s43
	v_add_co_u32_e32 v31, vcc, s42, v46
	v_addc_co_u32_e32 v66, vcc, v29, v47, vcc
	v_add_co_u32_e32 v31, vcc, s44, v31
	v_addc_co_u32_e32 v66, vcc, 0, v66, vcc
	v_add_co_u32_e32 v70, vcc, s42, v50
	v_addc_co_u32_e32 v29, vcc, v29, v51, vcc
	v_cndmask_b32_e64 v67, v29, v66, s[0:1]
	v_cndmask_b32_e64 v66, v70, v31, s[0:1]
	global_load_dwordx2 v[66:67], v[66:67], off
	v_add_co_u32_e32 v29, vcc, 0, v30
	v_addc_co_u32_e32 v31, vcc, v3, v19, vcc
	v_add_co_u32_e32 v70, vcc, 0, v29
	v_addc_co_u32_e32 v71, vcc, 32, v31, vcc
	v_ashrrev_i64 v[70:71], 29, v[70:71]
	v_mov_b32_e32 v29, s5
	v_add_co_u32_e32 v72, vcc, s4, v70
	v_addc_co_u32_e32 v73, vcc, v29, v71, vcc
	v_mov_b32_e32 v29, s41
	v_add_co_u32_e32 v70, vcc, s40, v70
	v_addc_co_u32_e32 v71, vcc, v29, v71, vcc
	global_store_dwordx2 v[72:73], v[64:65], off
	s_waitcnt vmcnt(1)
	global_store_dwordx2 v[70:71], v[66:67], off
.LBB246_25:                             ;   in Loop: Header=BB246_21 Depth=1
	s_or_b64 exec, exec, s[90:91]
	v_mov_b32_e32 v29, s47
	v_add_co_u32_e32 v66, vcc, s46, v4
	v_addc_co_u32_e32 v67, vcc, 0, v29, vcc
	s_mov_b64 s[90:91], exec
	v_readlane_b32 vcc_lo, v86, 7
	v_readlane_b32 vcc_hi, v86, 8
	s_and_b64 vcc, s[90:91], vcc
	s_mov_b64 exec, vcc
	s_cbranch_execz .LBB246_27
; %bb.26:                               ;   in Loop: Header=BB246_21 Depth=1
	v_mov_b32_e32 v29, s43
	v_add_co_u32_e32 v31, vcc, s42, v46
	v_addc_co_u32_e32 v70, vcc, v29, v47, vcc
	v_add_co_u32_e32 v31, vcc, s95, v31
	v_addc_co_u32_e32 v70, vcc, 0, v70, vcc
	v_add_co_u32_e32 v72, vcc, s42, v52
	v_addc_co_u32_e32 v29, vcc, v29, v53, vcc
	v_cndmask_b32_e64 v71, v29, v70, s[0:1]
	v_cndmask_b32_e64 v70, v72, v31, s[0:1]
	global_load_dwordx2 v[70:71], v[70:71], off
	v_add_co_u32_e32 v29, vcc, 0, v30
	v_addc_co_u32_e32 v31, vcc, v3, v19, vcc
	v_add_co_u32_e32 v72, vcc, 0, v29
	v_addc_co_u32_e32 v73, vcc, 64, v31, vcc
	v_ashrrev_i64 v[72:73], 29, v[72:73]
	v_mov_b32_e32 v29, s5
	v_add_co_u32_e32 v74, vcc, s4, v72
	v_addc_co_u32_e32 v75, vcc, v29, v73, vcc
	v_mov_b32_e32 v29, s41
	v_add_co_u32_e32 v72, vcc, s40, v72
	v_addc_co_u32_e32 v73, vcc, v29, v73, vcc
	global_store_dwordx2 v[74:75], v[66:67], off
	s_waitcnt vmcnt(1)
	global_store_dwordx2 v[72:73], v[70:71], off
.LBB246_27:                             ;   in Loop: Header=BB246_21 Depth=1
	s_or_b64 exec, exec, s[90:91]
	v_mov_b32_e32 v29, s47
	v_add_co_u32_e32 v70, vcc, s46, v6
	v_addc_co_u32_e32 v71, vcc, 0, v29, vcc
	s_mov_b64 s[90:91], exec
	v_readlane_b32 vcc_lo, v86, 9
	v_readlane_b32 vcc_hi, v86, 10
	s_and_b64 vcc, s[90:91], vcc
	s_mov_b64 exec, vcc
	s_cbranch_execz .LBB246_29
; %bb.28:                               ;   in Loop: Header=BB246_21 Depth=1
	v_mov_b32_e32 v29, s43
	v_add_co_u32_e32 v31, vcc, s42, v46
	v_addc_co_u32_e32 v72, vcc, v29, v47, vcc
	v_add_co_u32_e32 v31, vcc, s94, v31
	v_addc_co_u32_e32 v72, vcc, 0, v72, vcc
	v_add_co_u32_e32 v74, vcc, s42, v54
	v_addc_co_u32_e32 v29, vcc, v29, v55, vcc
	v_cndmask_b32_e64 v73, v29, v72, s[0:1]
	v_cndmask_b32_e64 v72, v74, v31, s[0:1]
	global_load_dwordx2 v[72:73], v[72:73], off
	v_add_co_u32_e32 v29, vcc, 0, v30
	v_addc_co_u32_e32 v31, vcc, v3, v19, vcc
	v_add_co_u32_e32 v74, vcc, 0, v29
	v_addc_co_u32_e32 v75, vcc, v31, v1, vcc
	v_ashrrev_i64 v[74:75], 29, v[74:75]
	v_mov_b32_e32 v29, s5
	v_add_co_u32_e32 v76, vcc, s4, v74
	v_addc_co_u32_e32 v77, vcc, v29, v75, vcc
	v_mov_b32_e32 v29, s41
	v_add_co_u32_e32 v74, vcc, s40, v74
	v_addc_co_u32_e32 v75, vcc, v29, v75, vcc
	global_store_dwordx2 v[76:77], v[70:71], off
	s_waitcnt vmcnt(1)
	global_store_dwordx2 v[74:75], v[72:73], off
.LBB246_29:                             ;   in Loop: Header=BB246_21 Depth=1
	s_or_b64 exec, exec, s[90:91]
	v_mov_b32_e32 v29, s47
	v_add_co_u32_e32 v72, vcc, s46, v8
	v_addc_co_u32_e32 v73, vcc, 0, v29, vcc
	s_mov_b64 s[90:91], exec
	v_readlane_b32 vcc_lo, v86, 11
	v_readlane_b32 vcc_hi, v86, 12
	s_and_b64 vcc, s[90:91], vcc
	s_mov_b64 exec, vcc
	s_cbranch_execz .LBB246_31
; %bb.30:                               ;   in Loop: Header=BB246_21 Depth=1
	v_mov_b32_e32 v29, s43
	v_add_co_u32_e32 v31, vcc, s42, v46
	v_addc_co_u32_e32 v74, vcc, v29, v47, vcc
	v_add_co_u32_e32 v31, vcc, s93, v31
	v_addc_co_u32_e32 v74, vcc, 0, v74, vcc
	v_add_co_u32_e32 v76, vcc, s42, v56
	v_addc_co_u32_e32 v29, vcc, v29, v57, vcc
	v_cndmask_b32_e64 v75, v29, v74, s[0:1]
	v_cndmask_b32_e64 v74, v76, v31, s[0:1]
	global_load_dwordx2 v[74:75], v[74:75], off
	v_add_co_u32_e32 v29, vcc, 0, v30
	v_addc_co_u32_e32 v31, vcc, v3, v19, vcc
	v_add_co_u32_e32 v76, vcc, 0, v29
	v_addc_co_u32_e32 v77, vcc, v31, v21, vcc
	v_ashrrev_i64 v[76:77], 29, v[76:77]
	v_mov_b32_e32 v29, s5
	v_add_co_u32_e32 v78, vcc, s4, v76
	v_addc_co_u32_e32 v79, vcc, v29, v77, vcc
	v_mov_b32_e32 v29, s41
	v_add_co_u32_e32 v76, vcc, s40, v76
	v_addc_co_u32_e32 v77, vcc, v29, v77, vcc
	global_store_dwordx2 v[78:79], v[72:73], off
	s_waitcnt vmcnt(1)
	global_store_dwordx2 v[76:77], v[74:75], off
.LBB246_31:                             ;   in Loop: Header=BB246_21 Depth=1
	s_or_b64 exec, exec, s[90:91]
	v_mov_b32_e32 v29, s47
	v_add_co_u32_e32 v74, vcc, s46, v10
	v_addc_co_u32_e32 v75, vcc, 0, v29, vcc
	s_mov_b64 s[90:91], exec
	v_readlane_b32 vcc_lo, v86, 13
	v_readlane_b32 vcc_hi, v86, 14
	s_and_b64 vcc, s[90:91], vcc
	s_mov_b64 exec, vcc
	s_cbranch_execz .LBB246_33
; %bb.32:                               ;   in Loop: Header=BB246_21 Depth=1
	v_mov_b32_e32 v29, s43
	v_add_co_u32_e32 v31, vcc, s42, v46
	v_addc_co_u32_e32 v76, vcc, v29, v47, vcc
	v_add_co_u32_e32 v31, vcc, s92, v31
	v_addc_co_u32_e32 v76, vcc, 0, v76, vcc
	v_add_co_u32_e32 v78, vcc, s42, v58
	v_addc_co_u32_e32 v29, vcc, v29, v59, vcc
	v_cndmask_b32_e64 v77, v29, v76, s[0:1]
	v_cndmask_b32_e64 v76, v78, v31, s[0:1]
	global_load_dwordx2 v[76:77], v[76:77], off
	v_add_co_u32_e32 v29, vcc, 0, v30
	v_addc_co_u32_e32 v31, vcc, v3, v19, vcc
	v_add_co_u32_e32 v78, vcc, 0, v29
	v_addc_co_u32_e32 v79, vcc, v31, v23, vcc
	v_ashrrev_i64 v[78:79], 29, v[78:79]
	v_mov_b32_e32 v29, s5
	v_add_co_u32_e32 v80, vcc, s4, v78
	v_addc_co_u32_e32 v81, vcc, v29, v79, vcc
	v_mov_b32_e32 v29, s41
	v_add_co_u32_e32 v78, vcc, s40, v78
	v_addc_co_u32_e32 v79, vcc, v29, v79, vcc
	global_store_dwordx2 v[80:81], v[74:75], off
	s_waitcnt vmcnt(1)
	global_store_dwordx2 v[78:79], v[76:77], off
.LBB246_33:                             ;   in Loop: Header=BB246_21 Depth=1
	s_or_b64 exec, exec, s[90:91]
	v_mov_b32_e32 v29, s47
	v_add_co_u32_e32 v76, vcc, s46, v12
	v_addc_co_u32_e32 v77, vcc, 0, v29, vcc
	s_mov_b64 s[90:91], exec
	v_readlane_b32 vcc_lo, v86, 15
	v_readlane_b32 vcc_hi, v86, 16
	s_and_b64 vcc, s[90:91], vcc
	s_mov_b64 exec, vcc
	s_cbranch_execz .LBB246_35
; %bb.34:                               ;   in Loop: Header=BB246_21 Depth=1
	v_mov_b32_e32 v29, s43
	v_add_co_u32_e32 v31, vcc, s42, v46
	v_addc_co_u32_e32 v78, vcc, v29, v47, vcc
	v_add_co_u32_e32 v31, vcc, s33, v31
	v_addc_co_u32_e32 v78, vcc, 0, v78, vcc
	v_add_co_u32_e32 v80, vcc, s42, v60
	v_addc_co_u32_e32 v29, vcc, v29, v61, vcc
	v_cndmask_b32_e64 v79, v29, v78, s[0:1]
	v_cndmask_b32_e64 v78, v80, v31, s[0:1]
	global_load_dwordx2 v[78:79], v[78:79], off
	v_add_co_u32_e32 v29, vcc, 0, v30
	v_addc_co_u32_e32 v31, vcc, v3, v19, vcc
	v_add_co_u32_e32 v80, vcc, 0, v29
	v_addc_co_u32_e32 v81, vcc, v31, v25, vcc
	v_ashrrev_i64 v[80:81], 29, v[80:81]
	v_mov_b32_e32 v29, s5
	v_add_co_u32_e32 v82, vcc, s4, v80
	v_addc_co_u32_e32 v83, vcc, v29, v81, vcc
	v_mov_b32_e32 v29, s41
	v_add_co_u32_e32 v80, vcc, s40, v80
	v_addc_co_u32_e32 v81, vcc, v29, v81, vcc
	global_store_dwordx2 v[82:83], v[76:77], off
	s_waitcnt vmcnt(1)
	global_store_dwordx2 v[80:81], v[78:79], off
.LBB246_35:                             ;   in Loop: Header=BB246_21 Depth=1
	s_or_b64 exec, exec, s[90:91]
	v_mov_b32_e32 v29, s47
	v_add_co_u32_e32 v78, vcc, s46, v14
	v_addc_co_u32_e32 v79, vcc, 0, v29, vcc
	s_mov_b64 s[90:91], exec
	v_readlane_b32 s46, v86, 17
	v_readlane_b32 s47, v86, 18
	s_and_b64 s[46:47], s[90:91], s[46:47]
	s_mov_b64 exec, s[46:47]
	s_cbranch_execz .LBB246_37
; %bb.36:                               ;   in Loop: Header=BB246_21 Depth=1
	v_mov_b32_e32 v29, s43
	v_add_co_u32_e32 v31, vcc, s42, v46
	v_addc_co_u32_e32 v80, vcc, v29, v47, vcc
	v_add_co_u32_e32 v31, vcc, s39, v31
	v_addc_co_u32_e32 v80, vcc, 0, v80, vcc
	;; [unrolled: 2-line block ×3, first 2 shown]
	v_cndmask_b32_e64 v81, v29, v80, s[0:1]
	v_cndmask_b32_e64 v80, v82, v31, s[0:1]
	global_load_dwordx2 v[80:81], v[80:81], off
	v_add_co_u32_e32 v29, vcc, 0, v30
	v_addc_co_u32_e32 v31, vcc, v3, v19, vcc
	v_add_co_u32_e32 v82, vcc, 0, v29
	v_addc_co_u32_e32 v83, vcc, v31, v27, vcc
	v_ashrrev_i64 v[82:83], 29, v[82:83]
	v_mov_b32_e32 v29, s5
	v_add_co_u32_e32 v84, vcc, s4, v82
	v_addc_co_u32_e32 v85, vcc, v29, v83, vcc
	v_mov_b32_e32 v29, s41
	v_add_co_u32_e32 v82, vcc, s40, v82
	v_addc_co_u32_e32 v83, vcc, v29, v83, vcc
	global_store_dwordx2 v[84:85], v[78:79], off
	s_waitcnt vmcnt(1)
	global_store_dwordx2 v[82:83], v[80:81], off
.LBB246_37:                             ;   in Loop: Header=BB246_21 Depth=1
	s_or_b64 exec, exec, s[90:91]
	s_mov_b64 s[90:91], exec
	v_readlane_b32 s46, v86, 19
	v_readlane_b32 s47, v86, 20
	s_and_b64 s[46:47], s[90:91], s[46:47]
	s_mov_b64 exec, s[46:47]
	s_cbranch_execz .LBB246_39
; %bb.38:                               ;   in Loop: Header=BB246_21 Depth=1
	v_mov_b32_e32 v29, s43
	v_add_co_u32_e32 v31, vcc, s42, v44
	v_addc_co_u32_e32 v80, vcc, v29, v45, vcc
	v_add_co_u32_e32 v81, vcc, s42, v48
	v_addc_co_u32_e32 v29, vcc, v29, v49, vcc
	;; [unrolled: 2-line block ×3, first 2 shown]
	v_cndmask_b32_e64 v81, v29, v80, s[0:1]
	v_cndmask_b32_e64 v80, v82, v31, s[0:1]
	global_load_dwordx2 v[80:81], v[80:81], off
	v_add_co_u32_e32 v82, vcc, 0, v28
	v_addc_co_u32_e32 v83, vcc, v3, v17, vcc
	v_ashrrev_i64 v[82:83], 29, v[82:83]
	v_mov_b32_e32 v29, s5
	v_add_co_u32_e32 v84, vcc, s4, v82
	v_addc_co_u32_e32 v85, vcc, v29, v83, vcc
	v_mov_b32_e32 v29, s41
	v_add_co_u32_e32 v82, vcc, s40, v82
	v_addc_co_u32_e32 v83, vcc, v29, v83, vcc
	global_store_dwordx2 v[84:85], v[68:69], off
	s_waitcnt vmcnt(1)
	global_store_dwordx2 v[82:83], v[80:81], off
.LBB246_39:                             ;   in Loop: Header=BB246_21 Depth=1
	s_or_b64 exec, exec, s[90:91]
	s_mov_b64 s[90:91], exec
	v_readlane_b32 s46, v86, 21
	v_readlane_b32 s47, v86, 22
	s_and_b64 s[46:47], s[90:91], s[46:47]
	s_mov_b64 exec, s[46:47]
	s_cbranch_execz .LBB246_41
; %bb.40:                               ;   in Loop: Header=BB246_21 Depth=1
	v_cndmask_b32_e64 v31, v50, v44, s[0:1]
	v_cndmask_b32_e64 v29, v51, v45, s[0:1]
	v_mov_b32_e32 v81, s43
	v_add_co_u32_e32 v80, vcc, s42, v31
	v_addc_co_u32_e32 v81, vcc, v81, v29, vcc
	global_load_dwordx2 v[80:81], v[80:81], off offset:256
	v_add_co_u32_e32 v29, vcc, 0, v28
	v_addc_co_u32_e32 v31, vcc, v3, v17, vcc
	v_add_co_u32_e32 v82, vcc, 0, v29
	v_addc_co_u32_e32 v83, vcc, 32, v31, vcc
	v_ashrrev_i64 v[82:83], 29, v[82:83]
	v_mov_b32_e32 v29, s5
	v_add_co_u32_e32 v84, vcc, s4, v82
	v_addc_co_u32_e32 v85, vcc, v29, v83, vcc
	v_mov_b32_e32 v29, s41
	v_add_co_u32_e32 v82, vcc, s40, v82
	v_addc_co_u32_e32 v83, vcc, v29, v83, vcc
	global_store_dwordx2 v[84:85], v[64:65], off
	s_waitcnt vmcnt(1)
	global_store_dwordx2 v[82:83], v[80:81], off
.LBB246_41:                             ;   in Loop: Header=BB246_21 Depth=1
	s_or_b64 exec, exec, s[90:91]
	s_mov_b64 s[90:91], exec
	v_readlane_b32 s46, v86, 23
	v_readlane_b32 s47, v86, 24
	s_and_b64 s[46:47], s[90:91], s[46:47]
	s_mov_b64 exec, s[46:47]
	s_cbranch_execz .LBB246_43
; %bb.42:                               ;   in Loop: Header=BB246_21 Depth=1
	v_mov_b32_e32 v29, s43
	v_add_co_u32_e32 v31, vcc, s42, v44
	v_addc_co_u32_e32 v80, vcc, v29, v45, vcc
	v_add_co_u32_e32 v31, vcc, s95, v31
	v_addc_co_u32_e32 v80, vcc, 0, v80, vcc
	v_add_co_u32_e32 v81, vcc, s42, v52
	v_addc_co_u32_e32 v29, vcc, v29, v53, vcc
	v_add_co_u32_e32 v82, vcc, 0x100, v81
	v_addc_co_u32_e32 v29, vcc, 0, v29, vcc
	v_cndmask_b32_e64 v81, v29, v80, s[0:1]
	v_cndmask_b32_e64 v80, v82, v31, s[0:1]
	global_load_dwordx2 v[80:81], v[80:81], off
	v_add_co_u32_e32 v29, vcc, 0, v28
	v_addc_co_u32_e32 v31, vcc, v3, v17, vcc
	v_add_co_u32_e32 v82, vcc, 0, v29
	v_addc_co_u32_e32 v83, vcc, 64, v31, vcc
	v_ashrrev_i64 v[82:83], 29, v[82:83]
	v_mov_b32_e32 v29, s5
	v_add_co_u32_e32 v84, vcc, s4, v82
	v_addc_co_u32_e32 v85, vcc, v29, v83, vcc
	v_mov_b32_e32 v29, s41
	v_add_co_u32_e32 v82, vcc, s40, v82
	v_addc_co_u32_e32 v83, vcc, v29, v83, vcc
	global_store_dwordx2 v[84:85], v[66:67], off
	s_waitcnt vmcnt(1)
	global_store_dwordx2 v[82:83], v[80:81], off
.LBB246_43:                             ;   in Loop: Header=BB246_21 Depth=1
	s_or_b64 exec, exec, s[90:91]
	s_mov_b64 s[90:91], exec
	v_readlane_b32 s46, v86, 25
	v_readlane_b32 s47, v86, 26
	s_and_b64 s[46:47], s[90:91], s[46:47]
	s_mov_b64 exec, s[46:47]
	s_cbranch_execz .LBB246_45
; %bb.44:                               ;   in Loop: Header=BB246_21 Depth=1
	v_mov_b32_e32 v29, s43
	v_add_co_u32_e32 v31, vcc, s42, v44
	v_addc_co_u32_e32 v80, vcc, v29, v45, vcc
	v_add_co_u32_e32 v31, vcc, s94, v31
	v_addc_co_u32_e32 v80, vcc, 0, v80, vcc
	v_add_co_u32_e32 v81, vcc, s42, v54
	v_addc_co_u32_e32 v29, vcc, v29, v55, vcc
	v_add_co_u32_e32 v82, vcc, 0x100, v81
	v_addc_co_u32_e32 v29, vcc, 0, v29, vcc
	v_cndmask_b32_e64 v81, v29, v80, s[0:1]
	v_cndmask_b32_e64 v80, v82, v31, s[0:1]
	global_load_dwordx2 v[80:81], v[80:81], off
	v_add_co_u32_e32 v29, vcc, 0, v28
	v_addc_co_u32_e32 v31, vcc, v3, v17, vcc
	v_add_co_u32_e32 v82, vcc, 0, v29
	v_addc_co_u32_e32 v83, vcc, v31, v1, vcc
	v_ashrrev_i64 v[82:83], 29, v[82:83]
	v_mov_b32_e32 v29, s5
	v_add_co_u32_e32 v84, vcc, s4, v82
	v_addc_co_u32_e32 v85, vcc, v29, v83, vcc
	v_mov_b32_e32 v29, s41
	v_add_co_u32_e32 v82, vcc, s40, v82
	v_addc_co_u32_e32 v83, vcc, v29, v83, vcc
	global_store_dwordx2 v[84:85], v[70:71], off
	s_waitcnt vmcnt(1)
	global_store_dwordx2 v[82:83], v[80:81], off
.LBB246_45:                             ;   in Loop: Header=BB246_21 Depth=1
	;; [unrolled: 35-line block ×6, first 2 shown]
	s_or_b64 exec, exec, s[90:91]
	s_mov_b64 s[90:91], exec
	v_readlane_b32 s46, v86, 35
	v_readlane_b32 s47, v86, 36
	s_and_b64 s[46:47], s[90:91], s[46:47]
	s_mov_b64 exec, s[46:47]
	s_cbranch_execz .LBB246_55
; %bb.54:                               ;   in Loop: Header=BB246_21 Depth=1
	v_mov_b32_e32 v29, s43
	v_add_co_u32_e32 v31, vcc, s42, v42
	v_addc_co_u32_e32 v80, vcc, v29, v43, vcc
	v_add_co_u32_e32 v81, vcc, s42, v48
	v_addc_co_u32_e32 v29, vcc, v29, v49, vcc
	;; [unrolled: 2-line block ×3, first 2 shown]
	v_cndmask_b32_e64 v81, v29, v80, s[0:1]
	v_cndmask_b32_e64 v80, v82, v31, s[0:1]
	global_load_dwordx2 v[80:81], v[80:81], off
	v_add_co_u32_e32 v82, vcc, 0, v26
	v_addc_co_u32_e32 v83, vcc, v3, v15, vcc
	v_ashrrev_i64 v[82:83], 29, v[82:83]
	v_mov_b32_e32 v29, s5
	v_add_co_u32_e32 v84, vcc, s4, v82
	v_addc_co_u32_e32 v85, vcc, v29, v83, vcc
	v_mov_b32_e32 v29, s41
	v_add_co_u32_e32 v82, vcc, s40, v82
	v_addc_co_u32_e32 v83, vcc, v29, v83, vcc
	global_store_dwordx2 v[84:85], v[68:69], off
	s_waitcnt vmcnt(1)
	global_store_dwordx2 v[82:83], v[80:81], off
.LBB246_55:                             ;   in Loop: Header=BB246_21 Depth=1
	s_or_b64 exec, exec, s[90:91]
	s_mov_b64 s[90:91], exec
	v_readlane_b32 s46, v86, 37
	v_readlane_b32 s47, v86, 38
	s_and_b64 s[46:47], s[90:91], s[46:47]
	s_mov_b64 exec, s[46:47]
	s_cbranch_execz .LBB246_57
; %bb.56:                               ;   in Loop: Header=BB246_21 Depth=1
	v_mov_b32_e32 v29, s43
	v_add_co_u32_e32 v31, vcc, s42, v42
	v_addc_co_u32_e32 v80, vcc, v29, v43, vcc
	v_add_co_u32_e32 v31, vcc, s44, v31
	v_addc_co_u32_e32 v80, vcc, 0, v80, vcc
	;; [unrolled: 2-line block ×4, first 2 shown]
	v_cndmask_b32_e64 v81, v29, v80, s[0:1]
	v_cndmask_b32_e64 v80, v82, v31, s[0:1]
	global_load_dwordx2 v[80:81], v[80:81], off
	v_add_co_u32_e32 v29, vcc, 0, v26
	v_addc_co_u32_e32 v31, vcc, v3, v15, vcc
	v_add_co_u32_e32 v82, vcc, 0, v29
	v_addc_co_u32_e32 v83, vcc, 32, v31, vcc
	v_ashrrev_i64 v[82:83], 29, v[82:83]
	v_mov_b32_e32 v29, s5
	v_add_co_u32_e32 v84, vcc, s4, v82
	v_addc_co_u32_e32 v85, vcc, v29, v83, vcc
	v_mov_b32_e32 v29, s41
	v_add_co_u32_e32 v82, vcc, s40, v82
	v_addc_co_u32_e32 v83, vcc, v29, v83, vcc
	global_store_dwordx2 v[84:85], v[64:65], off
	s_waitcnt vmcnt(1)
	global_store_dwordx2 v[82:83], v[80:81], off
.LBB246_57:                             ;   in Loop: Header=BB246_21 Depth=1
	s_or_b64 exec, exec, s[90:91]
	s_mov_b64 s[90:91], exec
	v_readlane_b32 s46, v86, 39
	v_readlane_b32 s47, v86, 40
	s_and_b64 s[46:47], s[90:91], s[46:47]
	s_mov_b64 exec, s[46:47]
	s_cbranch_execz .LBB246_59
; %bb.58:                               ;   in Loop: Header=BB246_21 Depth=1
	v_cndmask_b32_e64 v31, v52, v42, s[0:1]
	v_cndmask_b32_e64 v29, v53, v43, s[0:1]
	v_mov_b32_e32 v81, s43
	v_add_co_u32_e32 v80, vcc, s42, v31
	v_addc_co_u32_e32 v81, vcc, v81, v29, vcc
	global_load_dwordx2 v[80:81], v[80:81], off offset:512
	v_add_co_u32_e32 v29, vcc, 0, v26
	v_addc_co_u32_e32 v31, vcc, v3, v15, vcc
	v_add_co_u32_e32 v82, vcc, 0, v29
	v_addc_co_u32_e32 v83, vcc, 64, v31, vcc
	v_ashrrev_i64 v[82:83], 29, v[82:83]
	v_mov_b32_e32 v29, s5
	v_add_co_u32_e32 v84, vcc, s4, v82
	v_addc_co_u32_e32 v85, vcc, v29, v83, vcc
	v_mov_b32_e32 v29, s41
	v_add_co_u32_e32 v82, vcc, s40, v82
	v_addc_co_u32_e32 v83, vcc, v29, v83, vcc
	global_store_dwordx2 v[84:85], v[66:67], off
	s_waitcnt vmcnt(1)
	global_store_dwordx2 v[82:83], v[80:81], off
.LBB246_59:                             ;   in Loop: Header=BB246_21 Depth=1
	s_or_b64 exec, exec, s[90:91]
	s_mov_b64 s[90:91], exec
	v_readlane_b32 s46, v86, 41
	v_readlane_b32 s47, v86, 42
	s_and_b64 s[46:47], s[90:91], s[46:47]
	s_mov_b64 exec, s[46:47]
	s_cbranch_execz .LBB246_61
; %bb.60:                               ;   in Loop: Header=BB246_21 Depth=1
	v_mov_b32_e32 v29, s43
	v_add_co_u32_e32 v31, vcc, s42, v42
	v_addc_co_u32_e32 v80, vcc, v29, v43, vcc
	v_add_co_u32_e32 v31, vcc, s94, v31
	v_addc_co_u32_e32 v80, vcc, 0, v80, vcc
	v_add_co_u32_e32 v81, vcc, s42, v54
	v_addc_co_u32_e32 v29, vcc, v29, v55, vcc
	v_add_co_u32_e32 v82, vcc, 0x200, v81
	v_addc_co_u32_e32 v29, vcc, 0, v29, vcc
	v_cndmask_b32_e64 v81, v29, v80, s[0:1]
	v_cndmask_b32_e64 v80, v82, v31, s[0:1]
	global_load_dwordx2 v[80:81], v[80:81], off
	v_add_co_u32_e32 v29, vcc, 0, v26
	v_addc_co_u32_e32 v31, vcc, v3, v15, vcc
	v_add_co_u32_e32 v82, vcc, 0, v29
	v_addc_co_u32_e32 v83, vcc, v31, v1, vcc
	v_ashrrev_i64 v[82:83], 29, v[82:83]
	v_mov_b32_e32 v29, s5
	v_add_co_u32_e32 v84, vcc, s4, v82
	v_addc_co_u32_e32 v85, vcc, v29, v83, vcc
	v_mov_b32_e32 v29, s41
	v_add_co_u32_e32 v82, vcc, s40, v82
	v_addc_co_u32_e32 v83, vcc, v29, v83, vcc
	global_store_dwordx2 v[84:85], v[70:71], off
	s_waitcnt vmcnt(1)
	global_store_dwordx2 v[82:83], v[80:81], off
.LBB246_61:                             ;   in Loop: Header=BB246_21 Depth=1
	s_or_b64 exec, exec, s[90:91]
	s_mov_b64 s[90:91], exec
	v_readlane_b32 s46, v86, 43
	v_readlane_b32 s47, v86, 44
	s_and_b64 s[46:47], s[90:91], s[46:47]
	s_mov_b64 exec, s[46:47]
	s_cbranch_execz .LBB246_63
; %bb.62:                               ;   in Loop: Header=BB246_21 Depth=1
	v_mov_b32_e32 v29, s43
	v_add_co_u32_e32 v31, vcc, s42, v42
	v_addc_co_u32_e32 v80, vcc, v29, v43, vcc
	v_add_co_u32_e32 v31, vcc, s93, v31
	v_addc_co_u32_e32 v80, vcc, 0, v80, vcc
	v_add_co_u32_e32 v81, vcc, s42, v56
	v_addc_co_u32_e32 v29, vcc, v29, v57, vcc
	v_add_co_u32_e32 v82, vcc, 0x200, v81
	v_addc_co_u32_e32 v29, vcc, 0, v29, vcc
	v_cndmask_b32_e64 v81, v29, v80, s[0:1]
	v_cndmask_b32_e64 v80, v82, v31, s[0:1]
	global_load_dwordx2 v[80:81], v[80:81], off
	v_add_co_u32_e32 v29, vcc, 0, v26
	v_addc_co_u32_e32 v31, vcc, v3, v15, vcc
	v_add_co_u32_e32 v82, vcc, 0, v29
	v_addc_co_u32_e32 v83, vcc, v31, v21, vcc
	v_ashrrev_i64 v[82:83], 29, v[82:83]
	v_mov_b32_e32 v29, s5
	v_add_co_u32_e32 v84, vcc, s4, v82
	v_addc_co_u32_e32 v85, vcc, v29, v83, vcc
	v_mov_b32_e32 v29, s41
	v_add_co_u32_e32 v82, vcc, s40, v82
	v_addc_co_u32_e32 v83, vcc, v29, v83, vcc
	global_store_dwordx2 v[84:85], v[72:73], off
	s_waitcnt vmcnt(1)
	global_store_dwordx2 v[82:83], v[80:81], off
.LBB246_63:                             ;   in Loop: Header=BB246_21 Depth=1
	;; [unrolled: 35-line block ×5, first 2 shown]
	s_or_b64 exec, exec, s[90:91]
	s_mov_b64 s[90:91], exec
	v_readlane_b32 s46, v86, 51
	v_readlane_b32 s47, v86, 52
	s_and_b64 s[46:47], s[90:91], s[46:47]
	s_mov_b64 exec, s[46:47]
	s_cbranch_execz .LBB246_71
; %bb.70:                               ;   in Loop: Header=BB246_21 Depth=1
	v_mov_b32_e32 v29, s43
	v_add_co_u32_e32 v31, vcc, s42, v40
	v_addc_co_u32_e32 v80, vcc, v29, v41, vcc
	v_add_co_u32_e32 v81, vcc, s42, v48
	v_addc_co_u32_e32 v29, vcc, v29, v49, vcc
	;; [unrolled: 2-line block ×3, first 2 shown]
	v_cndmask_b32_e64 v81, v29, v80, s[0:1]
	v_cndmask_b32_e64 v80, v82, v31, s[0:1]
	global_load_dwordx2 v[80:81], v[80:81], off
	v_add_co_u32_e32 v82, vcc, 0, v24
	v_addc_co_u32_e32 v83, vcc, v3, v13, vcc
	v_ashrrev_i64 v[82:83], 29, v[82:83]
	v_mov_b32_e32 v29, s5
	v_add_co_u32_e32 v84, vcc, s4, v82
	v_addc_co_u32_e32 v85, vcc, v29, v83, vcc
	v_mov_b32_e32 v29, s41
	v_add_co_u32_e32 v82, vcc, s40, v82
	v_addc_co_u32_e32 v83, vcc, v29, v83, vcc
	global_store_dwordx2 v[84:85], v[68:69], off
	s_waitcnt vmcnt(1)
	global_store_dwordx2 v[82:83], v[80:81], off
.LBB246_71:                             ;   in Loop: Header=BB246_21 Depth=1
	s_or_b64 exec, exec, s[90:91]
	s_mov_b64 s[90:91], exec
	v_readlane_b32 s46, v86, 53
	v_readlane_b32 s47, v86, 54
	s_and_b64 s[46:47], s[90:91], s[46:47]
	s_mov_b64 exec, s[46:47]
	s_cbranch_execz .LBB246_73
; %bb.72:                               ;   in Loop: Header=BB246_21 Depth=1
	v_mov_b32_e32 v29, s43
	v_add_co_u32_e32 v31, vcc, s42, v40
	v_addc_co_u32_e32 v80, vcc, v29, v41, vcc
	v_add_co_u32_e32 v31, vcc, s44, v31
	v_addc_co_u32_e32 v80, vcc, 0, v80, vcc
	;; [unrolled: 2-line block ×4, first 2 shown]
	v_cndmask_b32_e64 v81, v29, v80, s[0:1]
	v_cndmask_b32_e64 v80, v82, v31, s[0:1]
	global_load_dwordx2 v[80:81], v[80:81], off
	v_add_co_u32_e32 v29, vcc, 0, v24
	v_addc_co_u32_e32 v31, vcc, v3, v13, vcc
	v_add_co_u32_e32 v82, vcc, 0, v29
	v_addc_co_u32_e32 v83, vcc, 32, v31, vcc
	v_ashrrev_i64 v[82:83], 29, v[82:83]
	v_mov_b32_e32 v29, s5
	v_add_co_u32_e32 v84, vcc, s4, v82
	v_addc_co_u32_e32 v85, vcc, v29, v83, vcc
	v_mov_b32_e32 v29, s41
	v_add_co_u32_e32 v82, vcc, s40, v82
	v_addc_co_u32_e32 v83, vcc, v29, v83, vcc
	global_store_dwordx2 v[84:85], v[64:65], off
	s_waitcnt vmcnt(1)
	global_store_dwordx2 v[82:83], v[80:81], off
.LBB246_73:                             ;   in Loop: Header=BB246_21 Depth=1
	s_or_b64 exec, exec, s[90:91]
	s_mov_b64 s[90:91], exec
	v_readlane_b32 s46, v86, 55
	v_readlane_b32 s47, v86, 56
	s_and_b64 s[46:47], s[90:91], s[46:47]
	s_mov_b64 exec, s[46:47]
	s_cbranch_execz .LBB246_75
; %bb.74:                               ;   in Loop: Header=BB246_21 Depth=1
	v_mov_b32_e32 v29, s43
	v_add_co_u32_e32 v31, vcc, s42, v40
	v_addc_co_u32_e32 v80, vcc, v29, v41, vcc
	v_add_co_u32_e32 v31, vcc, s95, v31
	v_addc_co_u32_e32 v80, vcc, 0, v80, vcc
	v_add_co_u32_e32 v81, vcc, s42, v52
	v_addc_co_u32_e32 v29, vcc, v29, v53, vcc
	v_add_co_u32_e32 v82, vcc, 0x300, v81
	v_addc_co_u32_e32 v29, vcc, 0, v29, vcc
	v_cndmask_b32_e64 v81, v29, v80, s[0:1]
	v_cndmask_b32_e64 v80, v82, v31, s[0:1]
	global_load_dwordx2 v[80:81], v[80:81], off
	v_add_co_u32_e32 v29, vcc, 0, v24
	v_addc_co_u32_e32 v31, vcc, v3, v13, vcc
	v_add_co_u32_e32 v82, vcc, 0, v29
	v_addc_co_u32_e32 v83, vcc, 64, v31, vcc
	v_ashrrev_i64 v[82:83], 29, v[82:83]
	v_mov_b32_e32 v29, s5
	v_add_co_u32_e32 v84, vcc, s4, v82
	v_addc_co_u32_e32 v85, vcc, v29, v83, vcc
	v_mov_b32_e32 v29, s41
	v_add_co_u32_e32 v82, vcc, s40, v82
	v_addc_co_u32_e32 v83, vcc, v29, v83, vcc
	global_store_dwordx2 v[84:85], v[66:67], off
	s_waitcnt vmcnt(1)
	global_store_dwordx2 v[82:83], v[80:81], off
.LBB246_75:                             ;   in Loop: Header=BB246_21 Depth=1
	s_or_b64 exec, exec, s[90:91]
	s_mov_b64 s[90:91], exec
	v_readlane_b32 s46, v86, 57
	v_readlane_b32 s47, v86, 58
	s_and_b64 s[46:47], s[90:91], s[46:47]
	s_mov_b64 exec, s[46:47]
	s_cbranch_execz .LBB246_77
; %bb.76:                               ;   in Loop: Header=BB246_21 Depth=1
	v_cndmask_b32_e64 v31, v54, v40, s[0:1]
	v_cndmask_b32_e64 v29, v55, v41, s[0:1]
	v_mov_b32_e32 v81, s43
	v_add_co_u32_e32 v80, vcc, s42, v31
	v_addc_co_u32_e32 v81, vcc, v81, v29, vcc
	global_load_dwordx2 v[80:81], v[80:81], off offset:768
	v_add_co_u32_e32 v29, vcc, 0, v24
	v_addc_co_u32_e32 v31, vcc, v3, v13, vcc
	v_add_co_u32_e32 v82, vcc, 0, v29
	v_addc_co_u32_e32 v83, vcc, v31, v1, vcc
	v_ashrrev_i64 v[82:83], 29, v[82:83]
	v_mov_b32_e32 v29, s5
	v_add_co_u32_e32 v84, vcc, s4, v82
	v_addc_co_u32_e32 v85, vcc, v29, v83, vcc
	v_mov_b32_e32 v29, s41
	v_add_co_u32_e32 v82, vcc, s40, v82
	v_addc_co_u32_e32 v83, vcc, v29, v83, vcc
	global_store_dwordx2 v[84:85], v[70:71], off
	s_waitcnt vmcnt(1)
	global_store_dwordx2 v[82:83], v[80:81], off
.LBB246_77:                             ;   in Loop: Header=BB246_21 Depth=1
	s_or_b64 exec, exec, s[90:91]
	s_mov_b64 s[90:91], exec
	v_readlane_b32 s46, v86, 59
	v_readlane_b32 s47, v86, 60
	s_and_b64 s[46:47], s[90:91], s[46:47]
	s_mov_b64 exec, s[46:47]
	s_cbranch_execz .LBB246_79
; %bb.78:                               ;   in Loop: Header=BB246_21 Depth=1
	v_mov_b32_e32 v29, s43
	v_add_co_u32_e32 v31, vcc, s42, v40
	v_addc_co_u32_e32 v80, vcc, v29, v41, vcc
	v_add_co_u32_e32 v31, vcc, s93, v31
	v_addc_co_u32_e32 v80, vcc, 0, v80, vcc
	;; [unrolled: 2-line block ×4, first 2 shown]
	v_cndmask_b32_e64 v81, v29, v80, s[0:1]
	v_cndmask_b32_e64 v80, v82, v31, s[0:1]
	global_load_dwordx2 v[80:81], v[80:81], off
	v_add_co_u32_e32 v29, vcc, 0, v24
	v_addc_co_u32_e32 v31, vcc, v3, v13, vcc
	v_add_co_u32_e32 v82, vcc, 0, v29
	v_addc_co_u32_e32 v83, vcc, v31, v21, vcc
	v_ashrrev_i64 v[82:83], 29, v[82:83]
	v_mov_b32_e32 v29, s5
	v_add_co_u32_e32 v84, vcc, s4, v82
	v_addc_co_u32_e32 v85, vcc, v29, v83, vcc
	v_mov_b32_e32 v29, s41
	v_add_co_u32_e32 v82, vcc, s40, v82
	v_addc_co_u32_e32 v83, vcc, v29, v83, vcc
	global_store_dwordx2 v[84:85], v[72:73], off
	s_waitcnt vmcnt(1)
	global_store_dwordx2 v[82:83], v[80:81], off
.LBB246_79:                             ;   in Loop: Header=BB246_21 Depth=1
	s_or_b64 exec, exec, s[90:91]
	s_mov_b64 s[90:91], exec
	v_readlane_b32 s46, v86, 61
	v_readlane_b32 s47, v86, 62
	s_and_b64 s[46:47], s[90:91], s[46:47]
	s_mov_b64 exec, s[46:47]
	s_cbranch_execnz .LBB246_114
; %bb.80:                               ;   in Loop: Header=BB246_21 Depth=1
	s_or_b64 exec, exec, s[90:91]
	s_and_saveexec_b64 s[90:91], s[48:49]
	s_cbranch_execnz .LBB246_115
.LBB246_81:                             ;   in Loop: Header=BB246_21 Depth=1
	s_or_b64 exec, exec, s[90:91]
	s_and_saveexec_b64 s[90:91], s[8:9]
	s_cbranch_execnz .LBB246_116
.LBB246_82:                             ;   in Loop: Header=BB246_21 Depth=1
	s_or_b64 exec, exec, s[90:91]
	s_and_saveexec_b64 s[90:91], s[50:51]
	s_cbranch_execnz .LBB246_117
.LBB246_83:                             ;   in Loop: Header=BB246_21 Depth=1
	s_or_b64 exec, exec, s[90:91]
	s_and_saveexec_b64 s[90:91], s[52:53]
	s_cbranch_execnz .LBB246_118
.LBB246_84:                             ;   in Loop: Header=BB246_21 Depth=1
	s_or_b64 exec, exec, s[90:91]
	s_and_saveexec_b64 s[90:91], s[54:55]
	s_cbranch_execnz .LBB246_119
.LBB246_85:                             ;   in Loop: Header=BB246_21 Depth=1
	s_or_b64 exec, exec, s[90:91]
	s_and_saveexec_b64 s[90:91], s[56:57]
	s_cbranch_execnz .LBB246_120
.LBB246_86:                             ;   in Loop: Header=BB246_21 Depth=1
	s_or_b64 exec, exec, s[90:91]
	s_and_saveexec_b64 s[90:91], s[58:59]
	s_cbranch_execnz .LBB246_121
.LBB246_87:                             ;   in Loop: Header=BB246_21 Depth=1
	s_or_b64 exec, exec, s[90:91]
	s_and_saveexec_b64 s[90:91], s[60:61]
	s_cbranch_execnz .LBB246_122
.LBB246_88:                             ;   in Loop: Header=BB246_21 Depth=1
	s_or_b64 exec, exec, s[90:91]
	s_and_saveexec_b64 s[90:91], s[62:63]
	s_cbranch_execnz .LBB246_123
.LBB246_89:                             ;   in Loop: Header=BB246_21 Depth=1
	s_or_b64 exec, exec, s[90:91]
	s_and_saveexec_b64 s[90:91], s[10:11]
	s_cbranch_execnz .LBB246_124
.LBB246_90:                             ;   in Loop: Header=BB246_21 Depth=1
	s_or_b64 exec, exec, s[90:91]
	s_and_saveexec_b64 s[90:91], s[64:65]
	s_cbranch_execnz .LBB246_125
.LBB246_91:                             ;   in Loop: Header=BB246_21 Depth=1
	s_or_b64 exec, exec, s[90:91]
	s_and_saveexec_b64 s[90:91], s[66:67]
	s_cbranch_execnz .LBB246_126
.LBB246_92:                             ;   in Loop: Header=BB246_21 Depth=1
	s_or_b64 exec, exec, s[90:91]
	s_and_saveexec_b64 s[90:91], s[68:69]
	s_cbranch_execnz .LBB246_127
.LBB246_93:                             ;   in Loop: Header=BB246_21 Depth=1
	s_or_b64 exec, exec, s[90:91]
	s_and_saveexec_b64 s[90:91], s[70:71]
	s_cbranch_execnz .LBB246_128
.LBB246_94:                             ;   in Loop: Header=BB246_21 Depth=1
	s_or_b64 exec, exec, s[90:91]
	s_and_saveexec_b64 s[90:91], s[72:73]
	s_cbranch_execnz .LBB246_129
.LBB246_95:                             ;   in Loop: Header=BB246_21 Depth=1
	s_or_b64 exec, exec, s[90:91]
	s_and_saveexec_b64 s[90:91], s[2:3]
	s_cbranch_execnz .LBB246_130
.LBB246_96:                             ;   in Loop: Header=BB246_21 Depth=1
	s_or_b64 exec, exec, s[90:91]
	s_and_saveexec_b64 s[90:91], s[74:75]
	s_cbranch_execnz .LBB246_131
.LBB246_97:                             ;   in Loop: Header=BB246_21 Depth=1
	s_or_b64 exec, exec, s[90:91]
	s_and_saveexec_b64 s[90:91], s[12:13]
	s_cbranch_execnz .LBB246_132
.LBB246_98:                             ;   in Loop: Header=BB246_21 Depth=1
	s_or_b64 exec, exec, s[90:91]
	s_and_saveexec_b64 s[90:91], s[76:77]
	s_cbranch_execnz .LBB246_133
.LBB246_99:                             ;   in Loop: Header=BB246_21 Depth=1
	s_or_b64 exec, exec, s[90:91]
	s_and_saveexec_b64 s[90:91], s[78:79]
	s_cbranch_execnz .LBB246_134
.LBB246_100:                            ;   in Loop: Header=BB246_21 Depth=1
	s_or_b64 exec, exec, s[90:91]
	s_and_saveexec_b64 s[90:91], s[80:81]
	s_cbranch_execnz .LBB246_135
.LBB246_101:                            ;   in Loop: Header=BB246_21 Depth=1
	s_or_b64 exec, exec, s[90:91]
	s_and_saveexec_b64 s[90:91], s[82:83]
	s_cbranch_execnz .LBB246_136
.LBB246_102:                            ;   in Loop: Header=BB246_21 Depth=1
	s_or_b64 exec, exec, s[90:91]
	s_and_saveexec_b64 s[90:91], s[84:85]
	s_cbranch_execnz .LBB246_137
.LBB246_103:                            ;   in Loop: Header=BB246_21 Depth=1
	s_or_b64 exec, exec, s[90:91]
	s_and_saveexec_b64 s[90:91], s[86:87]
	s_cbranch_execnz .LBB246_138
.LBB246_104:                            ;   in Loop: Header=BB246_21 Depth=1
	s_or_b64 exec, exec, s[90:91]
	s_and_saveexec_b64 s[90:91], s[6:7]
	s_cbranch_execnz .LBB246_139
.LBB246_105:                            ;   in Loop: Header=BB246_21 Depth=1
	s_or_b64 exec, exec, s[90:91]
	s_and_saveexec_b64 s[90:91], s[14:15]
	s_cbranch_execnz .LBB246_140
.LBB246_106:                            ;   in Loop: Header=BB246_21 Depth=1
	s_or_b64 exec, exec, s[90:91]
	s_and_saveexec_b64 s[90:91], s[18:19]
	s_cbranch_execnz .LBB246_141
.LBB246_107:                            ;   in Loop: Header=BB246_21 Depth=1
	s_or_b64 exec, exec, s[90:91]
	s_and_saveexec_b64 s[90:91], s[20:21]
	s_cbranch_execnz .LBB246_142
.LBB246_108:                            ;   in Loop: Header=BB246_21 Depth=1
	s_or_b64 exec, exec, s[90:91]
	s_and_saveexec_b64 s[90:91], s[22:23]
	s_cbranch_execnz .LBB246_143
.LBB246_109:                            ;   in Loop: Header=BB246_21 Depth=1
	s_or_b64 exec, exec, s[90:91]
	s_and_saveexec_b64 s[90:91], s[24:25]
	s_cbranch_execnz .LBB246_144
.LBB246_110:                            ;   in Loop: Header=BB246_21 Depth=1
	s_or_b64 exec, exec, s[90:91]
	s_and_saveexec_b64 s[90:91], s[26:27]
	s_cbranch_execnz .LBB246_145
.LBB246_111:                            ;   in Loop: Header=BB246_21 Depth=1
	s_or_b64 exec, exec, s[90:91]
	s_and_saveexec_b64 s[90:91], s[28:29]
	s_cbranch_execnz .LBB246_146
.LBB246_112:                            ;   in Loop: Header=BB246_21 Depth=1
	s_or_b64 exec, exec, s[90:91]
	s_and_saveexec_b64 s[90:91], s[30:31]
	s_cbranch_execnz .LBB246_147
.LBB246_113:                            ;   in Loop: Header=BB246_21 Depth=1
	s_or_b64 exec, exec, s[90:91]
	s_and_saveexec_b64 s[90:91], s[16:17]
	s_cbranch_execz .LBB246_20
	s_branch .LBB246_148
.LBB246_114:                            ;   in Loop: Header=BB246_21 Depth=1
	v_mov_b32_e32 v29, s43
	v_add_co_u32_e32 v31, vcc, s42, v40
	v_addc_co_u32_e32 v80, vcc, v29, v41, vcc
	v_add_co_u32_e32 v31, vcc, s92, v31
	v_addc_co_u32_e32 v80, vcc, 0, v80, vcc
	;; [unrolled: 2-line block ×4, first 2 shown]
	v_cndmask_b32_e64 v81, v29, v80, s[0:1]
	v_cndmask_b32_e64 v80, v82, v31, s[0:1]
	global_load_dwordx2 v[80:81], v[80:81], off
	v_add_co_u32_e32 v29, vcc, 0, v24
	v_addc_co_u32_e32 v31, vcc, v3, v13, vcc
	v_add_co_u32_e32 v82, vcc, 0, v29
	v_addc_co_u32_e32 v83, vcc, v31, v23, vcc
	v_ashrrev_i64 v[82:83], 29, v[82:83]
	v_mov_b32_e32 v29, s5
	v_add_co_u32_e32 v84, vcc, s4, v82
	v_addc_co_u32_e32 v85, vcc, v29, v83, vcc
	v_mov_b32_e32 v29, s41
	v_add_co_u32_e32 v82, vcc, s40, v82
	v_addc_co_u32_e32 v83, vcc, v29, v83, vcc
	global_store_dwordx2 v[84:85], v[74:75], off
	s_waitcnt vmcnt(1)
	global_store_dwordx2 v[82:83], v[80:81], off
	s_or_b64 exec, exec, s[90:91]
	s_and_saveexec_b64 s[90:91], s[48:49]
	s_cbranch_execz .LBB246_81
.LBB246_115:                            ;   in Loop: Header=BB246_21 Depth=1
	v_mov_b32_e32 v29, s43
	v_add_co_u32_e32 v31, vcc, s42, v40
	v_addc_co_u32_e32 v80, vcc, v29, v41, vcc
	v_add_co_u32_e32 v31, vcc, s33, v31
	v_addc_co_u32_e32 v80, vcc, 0, v80, vcc
	v_add_co_u32_e32 v81, vcc, s42, v60
	v_addc_co_u32_e32 v29, vcc, v29, v61, vcc
	v_add_co_u32_e32 v82, vcc, 0x300, v81
	v_addc_co_u32_e32 v29, vcc, 0, v29, vcc
	v_cndmask_b32_e64 v81, v29, v80, s[0:1]
	v_cndmask_b32_e64 v80, v82, v31, s[0:1]
	global_load_dwordx2 v[80:81], v[80:81], off
	v_add_co_u32_e32 v29, vcc, 0, v24
	v_addc_co_u32_e32 v31, vcc, v3, v13, vcc
	v_add_co_u32_e32 v82, vcc, 0, v29
	v_addc_co_u32_e32 v83, vcc, v31, v25, vcc
	v_ashrrev_i64 v[82:83], 29, v[82:83]
	v_mov_b32_e32 v29, s5
	v_add_co_u32_e32 v84, vcc, s4, v82
	v_addc_co_u32_e32 v85, vcc, v29, v83, vcc
	v_mov_b32_e32 v29, s41
	v_add_co_u32_e32 v82, vcc, s40, v82
	v_addc_co_u32_e32 v83, vcc, v29, v83, vcc
	global_store_dwordx2 v[84:85], v[76:77], off
	s_waitcnt vmcnt(1)
	global_store_dwordx2 v[82:83], v[80:81], off
	s_or_b64 exec, exec, s[90:91]
	s_and_saveexec_b64 s[90:91], s[8:9]
	s_cbranch_execz .LBB246_82
.LBB246_116:                            ;   in Loop: Header=BB246_21 Depth=1
	v_mov_b32_e32 v29, s43
	v_add_co_u32_e32 v31, vcc, s42, v40
	v_addc_co_u32_e32 v80, vcc, v29, v41, vcc
	v_add_co_u32_e32 v31, vcc, s39, v31
	v_addc_co_u32_e32 v80, vcc, 0, v80, vcc
	;; [unrolled: 2-line block ×4, first 2 shown]
	v_cndmask_b32_e64 v81, v29, v80, s[0:1]
	v_cndmask_b32_e64 v80, v82, v31, s[0:1]
	global_load_dwordx2 v[80:81], v[80:81], off
	v_add_co_u32_e32 v29, vcc, 0, v24
	v_addc_co_u32_e32 v31, vcc, v3, v13, vcc
	v_add_co_u32_e32 v82, vcc, 0, v29
	v_addc_co_u32_e32 v83, vcc, v31, v27, vcc
	v_ashrrev_i64 v[82:83], 29, v[82:83]
	v_mov_b32_e32 v29, s5
	v_add_co_u32_e32 v84, vcc, s4, v82
	v_addc_co_u32_e32 v85, vcc, v29, v83, vcc
	v_mov_b32_e32 v29, s41
	v_add_co_u32_e32 v82, vcc, s40, v82
	v_addc_co_u32_e32 v83, vcc, v29, v83, vcc
	global_store_dwordx2 v[84:85], v[78:79], off
	s_waitcnt vmcnt(1)
	global_store_dwordx2 v[82:83], v[80:81], off
	s_or_b64 exec, exec, s[90:91]
	s_and_saveexec_b64 s[90:91], s[50:51]
	s_cbranch_execz .LBB246_83
.LBB246_117:                            ;   in Loop: Header=BB246_21 Depth=1
	v_mov_b32_e32 v29, s43
	v_add_co_u32_e32 v31, vcc, s42, v38
	v_addc_co_u32_e32 v80, vcc, v29, v39, vcc
	v_add_co_u32_e32 v81, vcc, s42, v48
	v_addc_co_u32_e32 v29, vcc, v29, v49, vcc
	v_add_co_u32_e32 v82, vcc, 0x400, v81
	v_addc_co_u32_e32 v29, vcc, 0, v29, vcc
	v_cndmask_b32_e64 v81, v29, v80, s[0:1]
	v_cndmask_b32_e64 v80, v82, v31, s[0:1]
	global_load_dwordx2 v[80:81], v[80:81], off
	v_add_co_u32_e32 v82, vcc, 0, v22
	v_addc_co_u32_e32 v83, vcc, v3, v11, vcc
	v_ashrrev_i64 v[82:83], 29, v[82:83]
	v_mov_b32_e32 v29, s5
	v_add_co_u32_e32 v84, vcc, s4, v82
	v_addc_co_u32_e32 v85, vcc, v29, v83, vcc
	v_mov_b32_e32 v29, s41
	v_add_co_u32_e32 v82, vcc, s40, v82
	v_addc_co_u32_e32 v83, vcc, v29, v83, vcc
	global_store_dwordx2 v[84:85], v[68:69], off
	s_waitcnt vmcnt(1)
	global_store_dwordx2 v[82:83], v[80:81], off
	s_or_b64 exec, exec, s[90:91]
	s_and_saveexec_b64 s[90:91], s[52:53]
	s_cbranch_execz .LBB246_84
.LBB246_118:                            ;   in Loop: Header=BB246_21 Depth=1
	v_mov_b32_e32 v29, s43
	v_add_co_u32_e32 v31, vcc, s42, v38
	v_addc_co_u32_e32 v80, vcc, v29, v39, vcc
	v_add_co_u32_e32 v31, vcc, s44, v31
	v_addc_co_u32_e32 v80, vcc, 0, v80, vcc
	;; [unrolled: 2-line block ×4, first 2 shown]
	v_cndmask_b32_e64 v81, v29, v80, s[0:1]
	v_cndmask_b32_e64 v80, v82, v31, s[0:1]
	global_load_dwordx2 v[80:81], v[80:81], off
	v_add_co_u32_e32 v29, vcc, 0, v22
	v_addc_co_u32_e32 v31, vcc, v3, v11, vcc
	v_add_co_u32_e32 v82, vcc, 0, v29
	v_addc_co_u32_e32 v83, vcc, 32, v31, vcc
	v_ashrrev_i64 v[82:83], 29, v[82:83]
	v_mov_b32_e32 v29, s5
	v_add_co_u32_e32 v84, vcc, s4, v82
	v_addc_co_u32_e32 v85, vcc, v29, v83, vcc
	v_mov_b32_e32 v29, s41
	v_add_co_u32_e32 v82, vcc, s40, v82
	v_addc_co_u32_e32 v83, vcc, v29, v83, vcc
	global_store_dwordx2 v[84:85], v[64:65], off
	s_waitcnt vmcnt(1)
	global_store_dwordx2 v[82:83], v[80:81], off
	s_or_b64 exec, exec, s[90:91]
	s_and_saveexec_b64 s[90:91], s[54:55]
	s_cbranch_execz .LBB246_85
.LBB246_119:                            ;   in Loop: Header=BB246_21 Depth=1
	v_mov_b32_e32 v29, s43
	v_add_co_u32_e32 v31, vcc, s42, v38
	v_addc_co_u32_e32 v80, vcc, v29, v39, vcc
	v_add_co_u32_e32 v31, vcc, s95, v31
	v_addc_co_u32_e32 v80, vcc, 0, v80, vcc
	;; [unrolled: 2-line block ×4, first 2 shown]
	v_cndmask_b32_e64 v81, v29, v80, s[0:1]
	v_cndmask_b32_e64 v80, v82, v31, s[0:1]
	global_load_dwordx2 v[80:81], v[80:81], off
	v_add_co_u32_e32 v29, vcc, 0, v22
	v_addc_co_u32_e32 v31, vcc, v3, v11, vcc
	v_add_co_u32_e32 v82, vcc, 0, v29
	v_addc_co_u32_e32 v83, vcc, 64, v31, vcc
	v_ashrrev_i64 v[82:83], 29, v[82:83]
	v_mov_b32_e32 v29, s5
	v_add_co_u32_e32 v84, vcc, s4, v82
	v_addc_co_u32_e32 v85, vcc, v29, v83, vcc
	v_mov_b32_e32 v29, s41
	v_add_co_u32_e32 v82, vcc, s40, v82
	v_addc_co_u32_e32 v83, vcc, v29, v83, vcc
	global_store_dwordx2 v[84:85], v[66:67], off
	s_waitcnt vmcnt(1)
	global_store_dwordx2 v[82:83], v[80:81], off
	s_or_b64 exec, exec, s[90:91]
	s_and_saveexec_b64 s[90:91], s[56:57]
	s_cbranch_execz .LBB246_86
.LBB246_120:                            ;   in Loop: Header=BB246_21 Depth=1
	v_mov_b32_e32 v29, s43
	v_add_co_u32_e32 v31, vcc, s42, v38
	v_addc_co_u32_e32 v80, vcc, v29, v39, vcc
	v_add_co_u32_e32 v31, vcc, s94, v31
	v_addc_co_u32_e32 v80, vcc, 0, v80, vcc
	;; [unrolled: 2-line block ×4, first 2 shown]
	v_cndmask_b32_e64 v81, v29, v80, s[0:1]
	v_cndmask_b32_e64 v80, v82, v31, s[0:1]
	global_load_dwordx2 v[80:81], v[80:81], off
	v_add_co_u32_e32 v29, vcc, 0, v22
	v_addc_co_u32_e32 v31, vcc, v3, v11, vcc
	v_add_co_u32_e32 v82, vcc, 0, v29
	v_addc_co_u32_e32 v83, vcc, v31, v1, vcc
	v_ashrrev_i64 v[82:83], 29, v[82:83]
	v_mov_b32_e32 v29, s5
	v_add_co_u32_e32 v84, vcc, s4, v82
	v_addc_co_u32_e32 v85, vcc, v29, v83, vcc
	v_mov_b32_e32 v29, s41
	v_add_co_u32_e32 v82, vcc, s40, v82
	v_addc_co_u32_e32 v83, vcc, v29, v83, vcc
	global_store_dwordx2 v[84:85], v[70:71], off
	s_waitcnt vmcnt(1)
	global_store_dwordx2 v[82:83], v[80:81], off
	s_or_b64 exec, exec, s[90:91]
	s_and_saveexec_b64 s[90:91], s[58:59]
	s_cbranch_execz .LBB246_87
.LBB246_121:                            ;   in Loop: Header=BB246_21 Depth=1
	v_cndmask_b32_e64 v31, v56, v38, s[0:1]
	v_cndmask_b32_e64 v29, v57, v39, s[0:1]
	v_mov_b32_e32 v81, s43
	v_add_co_u32_e32 v80, vcc, s42, v31
	v_addc_co_u32_e32 v81, vcc, v81, v29, vcc
	global_load_dwordx2 v[80:81], v[80:81], off offset:1024
	v_add_co_u32_e32 v29, vcc, 0, v22
	v_addc_co_u32_e32 v31, vcc, v3, v11, vcc
	v_add_co_u32_e32 v82, vcc, 0, v29
	v_addc_co_u32_e32 v83, vcc, v31, v21, vcc
	v_ashrrev_i64 v[82:83], 29, v[82:83]
	v_mov_b32_e32 v29, s5
	v_add_co_u32_e32 v84, vcc, s4, v82
	v_addc_co_u32_e32 v85, vcc, v29, v83, vcc
	v_mov_b32_e32 v29, s41
	v_add_co_u32_e32 v82, vcc, s40, v82
	v_addc_co_u32_e32 v83, vcc, v29, v83, vcc
	global_store_dwordx2 v[84:85], v[72:73], off
	s_waitcnt vmcnt(1)
	global_store_dwordx2 v[82:83], v[80:81], off
	s_or_b64 exec, exec, s[90:91]
	s_and_saveexec_b64 s[90:91], s[60:61]
	s_cbranch_execz .LBB246_88
.LBB246_122:                            ;   in Loop: Header=BB246_21 Depth=1
	v_mov_b32_e32 v29, s43
	v_add_co_u32_e32 v31, vcc, s42, v38
	v_addc_co_u32_e32 v80, vcc, v29, v39, vcc
	v_add_co_u32_e32 v31, vcc, s92, v31
	v_addc_co_u32_e32 v80, vcc, 0, v80, vcc
	;; [unrolled: 2-line block ×4, first 2 shown]
	v_cndmask_b32_e64 v81, v29, v80, s[0:1]
	v_cndmask_b32_e64 v80, v82, v31, s[0:1]
	global_load_dwordx2 v[80:81], v[80:81], off
	v_add_co_u32_e32 v29, vcc, 0, v22
	v_addc_co_u32_e32 v31, vcc, v3, v11, vcc
	v_add_co_u32_e32 v82, vcc, 0, v29
	v_addc_co_u32_e32 v83, vcc, v31, v23, vcc
	v_ashrrev_i64 v[82:83], 29, v[82:83]
	v_mov_b32_e32 v29, s5
	v_add_co_u32_e32 v84, vcc, s4, v82
	v_addc_co_u32_e32 v85, vcc, v29, v83, vcc
	v_mov_b32_e32 v29, s41
	v_add_co_u32_e32 v82, vcc, s40, v82
	v_addc_co_u32_e32 v83, vcc, v29, v83, vcc
	global_store_dwordx2 v[84:85], v[74:75], off
	s_waitcnt vmcnt(1)
	global_store_dwordx2 v[82:83], v[80:81], off
	s_or_b64 exec, exec, s[90:91]
	s_and_saveexec_b64 s[90:91], s[62:63]
	s_cbranch_execz .LBB246_89
.LBB246_123:                            ;   in Loop: Header=BB246_21 Depth=1
	v_mov_b32_e32 v29, s43
	v_add_co_u32_e32 v31, vcc, s42, v38
	v_addc_co_u32_e32 v80, vcc, v29, v39, vcc
	v_add_co_u32_e32 v31, vcc, s33, v31
	v_addc_co_u32_e32 v80, vcc, 0, v80, vcc
	;; [unrolled: 2-line block ×4, first 2 shown]
	v_cndmask_b32_e64 v81, v29, v80, s[0:1]
	v_cndmask_b32_e64 v80, v82, v31, s[0:1]
	global_load_dwordx2 v[80:81], v[80:81], off
	v_add_co_u32_e32 v29, vcc, 0, v22
	v_addc_co_u32_e32 v31, vcc, v3, v11, vcc
	v_add_co_u32_e32 v82, vcc, 0, v29
	v_addc_co_u32_e32 v83, vcc, v31, v25, vcc
	v_ashrrev_i64 v[82:83], 29, v[82:83]
	v_mov_b32_e32 v29, s5
	v_add_co_u32_e32 v84, vcc, s4, v82
	v_addc_co_u32_e32 v85, vcc, v29, v83, vcc
	v_mov_b32_e32 v29, s41
	v_add_co_u32_e32 v82, vcc, s40, v82
	v_addc_co_u32_e32 v83, vcc, v29, v83, vcc
	global_store_dwordx2 v[84:85], v[76:77], off
	s_waitcnt vmcnt(1)
	global_store_dwordx2 v[82:83], v[80:81], off
	s_or_b64 exec, exec, s[90:91]
	s_and_saveexec_b64 s[90:91], s[10:11]
	s_cbranch_execz .LBB246_90
.LBB246_124:                            ;   in Loop: Header=BB246_21 Depth=1
	v_mov_b32_e32 v29, s43
	v_add_co_u32_e32 v31, vcc, s42, v38
	v_addc_co_u32_e32 v80, vcc, v29, v39, vcc
	v_add_co_u32_e32 v31, vcc, s39, v31
	v_addc_co_u32_e32 v80, vcc, 0, v80, vcc
	;; [unrolled: 2-line block ×4, first 2 shown]
	v_cndmask_b32_e64 v81, v29, v80, s[0:1]
	v_cndmask_b32_e64 v80, v82, v31, s[0:1]
	global_load_dwordx2 v[80:81], v[80:81], off
	v_add_co_u32_e32 v29, vcc, 0, v22
	v_addc_co_u32_e32 v31, vcc, v3, v11, vcc
	v_add_co_u32_e32 v82, vcc, 0, v29
	v_addc_co_u32_e32 v83, vcc, v31, v27, vcc
	v_ashrrev_i64 v[82:83], 29, v[82:83]
	v_mov_b32_e32 v29, s5
	v_add_co_u32_e32 v84, vcc, s4, v82
	v_addc_co_u32_e32 v85, vcc, v29, v83, vcc
	v_mov_b32_e32 v29, s41
	v_add_co_u32_e32 v82, vcc, s40, v82
	v_addc_co_u32_e32 v83, vcc, v29, v83, vcc
	global_store_dwordx2 v[84:85], v[78:79], off
	s_waitcnt vmcnt(1)
	global_store_dwordx2 v[82:83], v[80:81], off
	s_or_b64 exec, exec, s[90:91]
	s_and_saveexec_b64 s[90:91], s[64:65]
	s_cbranch_execz .LBB246_91
.LBB246_125:                            ;   in Loop: Header=BB246_21 Depth=1
	v_mov_b32_e32 v29, s43
	v_add_co_u32_e32 v31, vcc, s42, v36
	v_addc_co_u32_e32 v80, vcc, v29, v37, vcc
	v_add_co_u32_e32 v81, vcc, s42, v48
	v_addc_co_u32_e32 v29, vcc, v29, v49, vcc
	;; [unrolled: 2-line block ×3, first 2 shown]
	v_cndmask_b32_e64 v81, v29, v80, s[0:1]
	v_cndmask_b32_e64 v80, v82, v31, s[0:1]
	global_load_dwordx2 v[80:81], v[80:81], off
	v_add_co_u32_e32 v82, vcc, 0, v20
	v_addc_co_u32_e32 v83, vcc, v3, v9, vcc
	v_ashrrev_i64 v[82:83], 29, v[82:83]
	v_mov_b32_e32 v29, s5
	v_add_co_u32_e32 v84, vcc, s4, v82
	v_addc_co_u32_e32 v85, vcc, v29, v83, vcc
	v_mov_b32_e32 v29, s41
	v_add_co_u32_e32 v82, vcc, s40, v82
	v_addc_co_u32_e32 v83, vcc, v29, v83, vcc
	global_store_dwordx2 v[84:85], v[68:69], off
	s_waitcnt vmcnt(1)
	global_store_dwordx2 v[82:83], v[80:81], off
	s_or_b64 exec, exec, s[90:91]
	s_and_saveexec_b64 s[90:91], s[66:67]
	s_cbranch_execz .LBB246_92
.LBB246_126:                            ;   in Loop: Header=BB246_21 Depth=1
	v_mov_b32_e32 v29, s43
	v_add_co_u32_e32 v31, vcc, s42, v36
	v_addc_co_u32_e32 v80, vcc, v29, v37, vcc
	v_add_co_u32_e32 v31, vcc, s44, v31
	v_addc_co_u32_e32 v80, vcc, 0, v80, vcc
	;; [unrolled: 2-line block ×4, first 2 shown]
	v_cndmask_b32_e64 v81, v29, v80, s[0:1]
	v_cndmask_b32_e64 v80, v82, v31, s[0:1]
	global_load_dwordx2 v[80:81], v[80:81], off
	v_add_co_u32_e32 v29, vcc, 0, v20
	v_addc_co_u32_e32 v31, vcc, v3, v9, vcc
	v_add_co_u32_e32 v82, vcc, 0, v29
	v_addc_co_u32_e32 v83, vcc, 32, v31, vcc
	v_ashrrev_i64 v[82:83], 29, v[82:83]
	v_mov_b32_e32 v29, s5
	v_add_co_u32_e32 v84, vcc, s4, v82
	v_addc_co_u32_e32 v85, vcc, v29, v83, vcc
	v_mov_b32_e32 v29, s41
	v_add_co_u32_e32 v82, vcc, s40, v82
	v_addc_co_u32_e32 v83, vcc, v29, v83, vcc
	global_store_dwordx2 v[84:85], v[64:65], off
	s_waitcnt vmcnt(1)
	global_store_dwordx2 v[82:83], v[80:81], off
	s_or_b64 exec, exec, s[90:91]
	s_and_saveexec_b64 s[90:91], s[68:69]
	s_cbranch_execz .LBB246_93
.LBB246_127:                            ;   in Loop: Header=BB246_21 Depth=1
	v_mov_b32_e32 v29, s43
	v_add_co_u32_e32 v31, vcc, s42, v36
	v_addc_co_u32_e32 v80, vcc, v29, v37, vcc
	v_add_co_u32_e32 v31, vcc, s95, v31
	v_addc_co_u32_e32 v80, vcc, 0, v80, vcc
	;; [unrolled: 2-line block ×4, first 2 shown]
	v_cndmask_b32_e64 v81, v29, v80, s[0:1]
	v_cndmask_b32_e64 v80, v82, v31, s[0:1]
	global_load_dwordx2 v[80:81], v[80:81], off
	v_add_co_u32_e32 v29, vcc, 0, v20
	v_addc_co_u32_e32 v31, vcc, v3, v9, vcc
	v_add_co_u32_e32 v82, vcc, 0, v29
	v_addc_co_u32_e32 v83, vcc, 64, v31, vcc
	v_ashrrev_i64 v[82:83], 29, v[82:83]
	v_mov_b32_e32 v29, s5
	v_add_co_u32_e32 v84, vcc, s4, v82
	v_addc_co_u32_e32 v85, vcc, v29, v83, vcc
	v_mov_b32_e32 v29, s41
	v_add_co_u32_e32 v82, vcc, s40, v82
	v_addc_co_u32_e32 v83, vcc, v29, v83, vcc
	global_store_dwordx2 v[84:85], v[66:67], off
	s_waitcnt vmcnt(1)
	global_store_dwordx2 v[82:83], v[80:81], off
	s_or_b64 exec, exec, s[90:91]
	s_and_saveexec_b64 s[90:91], s[70:71]
	s_cbranch_execz .LBB246_94
.LBB246_128:                            ;   in Loop: Header=BB246_21 Depth=1
	v_mov_b32_e32 v29, s43
	v_add_co_u32_e32 v31, vcc, s42, v36
	v_addc_co_u32_e32 v80, vcc, v29, v37, vcc
	v_add_co_u32_e32 v31, vcc, s94, v31
	v_addc_co_u32_e32 v80, vcc, 0, v80, vcc
	;; [unrolled: 2-line block ×4, first 2 shown]
	v_cndmask_b32_e64 v81, v29, v80, s[0:1]
	v_cndmask_b32_e64 v80, v82, v31, s[0:1]
	global_load_dwordx2 v[80:81], v[80:81], off
	v_add_co_u32_e32 v29, vcc, 0, v20
	v_addc_co_u32_e32 v31, vcc, v3, v9, vcc
	v_add_co_u32_e32 v82, vcc, 0, v29
	v_addc_co_u32_e32 v83, vcc, v31, v1, vcc
	v_ashrrev_i64 v[82:83], 29, v[82:83]
	v_mov_b32_e32 v29, s5
	v_add_co_u32_e32 v84, vcc, s4, v82
	v_addc_co_u32_e32 v85, vcc, v29, v83, vcc
	v_mov_b32_e32 v29, s41
	v_add_co_u32_e32 v82, vcc, s40, v82
	v_addc_co_u32_e32 v83, vcc, v29, v83, vcc
	global_store_dwordx2 v[84:85], v[70:71], off
	s_waitcnt vmcnt(1)
	global_store_dwordx2 v[82:83], v[80:81], off
	s_or_b64 exec, exec, s[90:91]
	s_and_saveexec_b64 s[90:91], s[72:73]
	s_cbranch_execz .LBB246_95
.LBB246_129:                            ;   in Loop: Header=BB246_21 Depth=1
	v_mov_b32_e32 v29, s43
	v_add_co_u32_e32 v31, vcc, s42, v36
	v_addc_co_u32_e32 v80, vcc, v29, v37, vcc
	v_add_co_u32_e32 v31, vcc, s93, v31
	v_addc_co_u32_e32 v80, vcc, 0, v80, vcc
	;; [unrolled: 2-line block ×4, first 2 shown]
	v_cndmask_b32_e64 v81, v29, v80, s[0:1]
	v_cndmask_b32_e64 v80, v82, v31, s[0:1]
	global_load_dwordx2 v[80:81], v[80:81], off
	v_add_co_u32_e32 v29, vcc, 0, v20
	v_addc_co_u32_e32 v31, vcc, v3, v9, vcc
	v_add_co_u32_e32 v82, vcc, 0, v29
	v_addc_co_u32_e32 v83, vcc, v31, v21, vcc
	v_ashrrev_i64 v[82:83], 29, v[82:83]
	v_mov_b32_e32 v29, s5
	v_add_co_u32_e32 v84, vcc, s4, v82
	v_addc_co_u32_e32 v85, vcc, v29, v83, vcc
	v_mov_b32_e32 v29, s41
	v_add_co_u32_e32 v82, vcc, s40, v82
	v_addc_co_u32_e32 v83, vcc, v29, v83, vcc
	global_store_dwordx2 v[84:85], v[72:73], off
	s_waitcnt vmcnt(1)
	global_store_dwordx2 v[82:83], v[80:81], off
	s_or_b64 exec, exec, s[90:91]
	s_and_saveexec_b64 s[90:91], s[2:3]
	s_cbranch_execz .LBB246_96
.LBB246_130:                            ;   in Loop: Header=BB246_21 Depth=1
	v_cndmask_b32_e64 v31, v58, v36, s[0:1]
	v_cndmask_b32_e64 v29, v59, v37, s[0:1]
	v_mov_b32_e32 v81, s43
	v_add_co_u32_e32 v80, vcc, s42, v31
	v_addc_co_u32_e32 v81, vcc, v81, v29, vcc
	global_load_dwordx2 v[80:81], v[80:81], off offset:1280
	v_add_co_u32_e32 v29, vcc, 0, v20
	v_addc_co_u32_e32 v31, vcc, v3, v9, vcc
	v_add_co_u32_e32 v82, vcc, 0, v29
	v_addc_co_u32_e32 v83, vcc, v31, v23, vcc
	v_ashrrev_i64 v[82:83], 29, v[82:83]
	v_mov_b32_e32 v29, s5
	v_add_co_u32_e32 v84, vcc, s4, v82
	v_addc_co_u32_e32 v85, vcc, v29, v83, vcc
	v_mov_b32_e32 v29, s41
	v_add_co_u32_e32 v82, vcc, s40, v82
	v_addc_co_u32_e32 v83, vcc, v29, v83, vcc
	global_store_dwordx2 v[84:85], v[74:75], off
	s_waitcnt vmcnt(1)
	global_store_dwordx2 v[82:83], v[80:81], off
	s_or_b64 exec, exec, s[90:91]
	s_and_saveexec_b64 s[90:91], s[74:75]
	s_cbranch_execz .LBB246_97
.LBB246_131:                            ;   in Loop: Header=BB246_21 Depth=1
	v_mov_b32_e32 v29, s43
	v_add_co_u32_e32 v31, vcc, s42, v36
	v_addc_co_u32_e32 v80, vcc, v29, v37, vcc
	v_add_co_u32_e32 v31, vcc, s33, v31
	v_addc_co_u32_e32 v80, vcc, 0, v80, vcc
	;; [unrolled: 2-line block ×4, first 2 shown]
	v_cndmask_b32_e64 v81, v29, v80, s[0:1]
	v_cndmask_b32_e64 v80, v82, v31, s[0:1]
	global_load_dwordx2 v[80:81], v[80:81], off
	v_add_co_u32_e32 v29, vcc, 0, v20
	v_addc_co_u32_e32 v31, vcc, v3, v9, vcc
	v_add_co_u32_e32 v82, vcc, 0, v29
	v_addc_co_u32_e32 v83, vcc, v31, v25, vcc
	v_ashrrev_i64 v[82:83], 29, v[82:83]
	v_mov_b32_e32 v29, s5
	v_add_co_u32_e32 v84, vcc, s4, v82
	v_addc_co_u32_e32 v85, vcc, v29, v83, vcc
	v_mov_b32_e32 v29, s41
	v_add_co_u32_e32 v82, vcc, s40, v82
	v_addc_co_u32_e32 v83, vcc, v29, v83, vcc
	global_store_dwordx2 v[84:85], v[76:77], off
	s_waitcnt vmcnt(1)
	global_store_dwordx2 v[82:83], v[80:81], off
	s_or_b64 exec, exec, s[90:91]
	s_and_saveexec_b64 s[90:91], s[12:13]
	s_cbranch_execz .LBB246_98
.LBB246_132:                            ;   in Loop: Header=BB246_21 Depth=1
	v_mov_b32_e32 v29, s43
	v_add_co_u32_e32 v31, vcc, s42, v36
	v_addc_co_u32_e32 v80, vcc, v29, v37, vcc
	v_add_co_u32_e32 v31, vcc, s39, v31
	v_addc_co_u32_e32 v80, vcc, 0, v80, vcc
	;; [unrolled: 2-line block ×4, first 2 shown]
	v_cndmask_b32_e64 v81, v29, v80, s[0:1]
	v_cndmask_b32_e64 v80, v82, v31, s[0:1]
	global_load_dwordx2 v[80:81], v[80:81], off
	v_add_co_u32_e32 v29, vcc, 0, v20
	v_addc_co_u32_e32 v31, vcc, v3, v9, vcc
	v_add_co_u32_e32 v82, vcc, 0, v29
	v_addc_co_u32_e32 v83, vcc, v31, v27, vcc
	v_ashrrev_i64 v[82:83], 29, v[82:83]
	v_mov_b32_e32 v29, s5
	v_add_co_u32_e32 v84, vcc, s4, v82
	v_addc_co_u32_e32 v85, vcc, v29, v83, vcc
	v_mov_b32_e32 v29, s41
	v_add_co_u32_e32 v82, vcc, s40, v82
	v_addc_co_u32_e32 v83, vcc, v29, v83, vcc
	global_store_dwordx2 v[84:85], v[78:79], off
	s_waitcnt vmcnt(1)
	global_store_dwordx2 v[82:83], v[80:81], off
	s_or_b64 exec, exec, s[90:91]
	s_and_saveexec_b64 s[90:91], s[76:77]
	s_cbranch_execz .LBB246_99
.LBB246_133:                            ;   in Loop: Header=BB246_21 Depth=1
	v_mov_b32_e32 v29, s43
	v_add_co_u32_e32 v31, vcc, s42, v34
	v_addc_co_u32_e32 v80, vcc, v29, v35, vcc
	v_add_co_u32_e32 v81, vcc, s42, v48
	v_addc_co_u32_e32 v29, vcc, v29, v49, vcc
	;; [unrolled: 2-line block ×3, first 2 shown]
	v_cndmask_b32_e64 v81, v29, v80, s[0:1]
	v_cndmask_b32_e64 v80, v82, v31, s[0:1]
	global_load_dwordx2 v[80:81], v[80:81], off
	v_add_co_u32_e32 v82, vcc, 0, v18
	v_addc_co_u32_e32 v83, vcc, v3, v7, vcc
	v_ashrrev_i64 v[82:83], 29, v[82:83]
	v_mov_b32_e32 v29, s5
	v_add_co_u32_e32 v84, vcc, s4, v82
	v_addc_co_u32_e32 v85, vcc, v29, v83, vcc
	v_mov_b32_e32 v29, s41
	v_add_co_u32_e32 v82, vcc, s40, v82
	v_addc_co_u32_e32 v83, vcc, v29, v83, vcc
	global_store_dwordx2 v[84:85], v[68:69], off
	s_waitcnt vmcnt(1)
	global_store_dwordx2 v[82:83], v[80:81], off
	s_or_b64 exec, exec, s[90:91]
	s_and_saveexec_b64 s[90:91], s[78:79]
	s_cbranch_execz .LBB246_100
.LBB246_134:                            ;   in Loop: Header=BB246_21 Depth=1
	v_mov_b32_e32 v29, s43
	v_add_co_u32_e32 v31, vcc, s42, v34
	v_addc_co_u32_e32 v80, vcc, v29, v35, vcc
	v_add_co_u32_e32 v31, vcc, s44, v31
	v_addc_co_u32_e32 v80, vcc, 0, v80, vcc
	;; [unrolled: 2-line block ×4, first 2 shown]
	v_cndmask_b32_e64 v81, v29, v80, s[0:1]
	v_cndmask_b32_e64 v80, v82, v31, s[0:1]
	global_load_dwordx2 v[80:81], v[80:81], off
	v_add_co_u32_e32 v29, vcc, 0, v18
	v_addc_co_u32_e32 v31, vcc, v3, v7, vcc
	v_add_co_u32_e32 v82, vcc, 0, v29
	v_addc_co_u32_e32 v83, vcc, 32, v31, vcc
	v_ashrrev_i64 v[82:83], 29, v[82:83]
	v_mov_b32_e32 v29, s5
	v_add_co_u32_e32 v84, vcc, s4, v82
	v_addc_co_u32_e32 v85, vcc, v29, v83, vcc
	v_mov_b32_e32 v29, s41
	v_add_co_u32_e32 v82, vcc, s40, v82
	v_addc_co_u32_e32 v83, vcc, v29, v83, vcc
	global_store_dwordx2 v[84:85], v[64:65], off
	s_waitcnt vmcnt(1)
	global_store_dwordx2 v[82:83], v[80:81], off
	s_or_b64 exec, exec, s[90:91]
	s_and_saveexec_b64 s[90:91], s[80:81]
	s_cbranch_execz .LBB246_101
.LBB246_135:                            ;   in Loop: Header=BB246_21 Depth=1
	v_mov_b32_e32 v29, s43
	v_add_co_u32_e32 v31, vcc, s42, v34
	v_addc_co_u32_e32 v80, vcc, v29, v35, vcc
	v_add_co_u32_e32 v31, vcc, s95, v31
	v_addc_co_u32_e32 v80, vcc, 0, v80, vcc
	;; [unrolled: 2-line block ×4, first 2 shown]
	v_cndmask_b32_e64 v81, v29, v80, s[0:1]
	v_cndmask_b32_e64 v80, v82, v31, s[0:1]
	global_load_dwordx2 v[80:81], v[80:81], off
	v_add_co_u32_e32 v29, vcc, 0, v18
	v_addc_co_u32_e32 v31, vcc, v3, v7, vcc
	v_add_co_u32_e32 v82, vcc, 0, v29
	v_addc_co_u32_e32 v83, vcc, 64, v31, vcc
	v_ashrrev_i64 v[82:83], 29, v[82:83]
	v_mov_b32_e32 v29, s5
	v_add_co_u32_e32 v84, vcc, s4, v82
	v_addc_co_u32_e32 v85, vcc, v29, v83, vcc
	v_mov_b32_e32 v29, s41
	v_add_co_u32_e32 v82, vcc, s40, v82
	v_addc_co_u32_e32 v83, vcc, v29, v83, vcc
	global_store_dwordx2 v[84:85], v[66:67], off
	s_waitcnt vmcnt(1)
	global_store_dwordx2 v[82:83], v[80:81], off
	s_or_b64 exec, exec, s[90:91]
	s_and_saveexec_b64 s[90:91], s[82:83]
	s_cbranch_execz .LBB246_102
.LBB246_136:                            ;   in Loop: Header=BB246_21 Depth=1
	v_mov_b32_e32 v29, s43
	v_add_co_u32_e32 v31, vcc, s42, v34
	v_addc_co_u32_e32 v80, vcc, v29, v35, vcc
	v_add_co_u32_e32 v31, vcc, s94, v31
	v_addc_co_u32_e32 v80, vcc, 0, v80, vcc
	v_add_co_u32_e32 v81, vcc, s42, v54
	v_addc_co_u32_e32 v29, vcc, v29, v55, vcc
	v_add_co_u32_e32 v82, vcc, 0x600, v81
	v_addc_co_u32_e32 v29, vcc, 0, v29, vcc
	v_cndmask_b32_e64 v81, v29, v80, s[0:1]
	v_cndmask_b32_e64 v80, v82, v31, s[0:1]
	global_load_dwordx2 v[80:81], v[80:81], off
	v_add_co_u32_e32 v29, vcc, 0, v18
	v_addc_co_u32_e32 v31, vcc, v3, v7, vcc
	v_add_co_u32_e32 v82, vcc, 0, v29
	v_addc_co_u32_e32 v83, vcc, v31, v1, vcc
	v_ashrrev_i64 v[82:83], 29, v[82:83]
	v_mov_b32_e32 v29, s5
	v_add_co_u32_e32 v84, vcc, s4, v82
	v_addc_co_u32_e32 v85, vcc, v29, v83, vcc
	v_mov_b32_e32 v29, s41
	v_add_co_u32_e32 v82, vcc, s40, v82
	v_addc_co_u32_e32 v83, vcc, v29, v83, vcc
	global_store_dwordx2 v[84:85], v[70:71], off
	s_waitcnt vmcnt(1)
	global_store_dwordx2 v[82:83], v[80:81], off
	s_or_b64 exec, exec, s[90:91]
	s_and_saveexec_b64 s[90:91], s[84:85]
	s_cbranch_execz .LBB246_103
.LBB246_137:                            ;   in Loop: Header=BB246_21 Depth=1
	v_mov_b32_e32 v29, s43
	v_add_co_u32_e32 v31, vcc, s42, v34
	v_addc_co_u32_e32 v80, vcc, v29, v35, vcc
	v_add_co_u32_e32 v31, vcc, s93, v31
	v_addc_co_u32_e32 v80, vcc, 0, v80, vcc
	;; [unrolled: 2-line block ×4, first 2 shown]
	v_cndmask_b32_e64 v81, v29, v80, s[0:1]
	v_cndmask_b32_e64 v80, v82, v31, s[0:1]
	global_load_dwordx2 v[80:81], v[80:81], off
	v_add_co_u32_e32 v29, vcc, 0, v18
	v_addc_co_u32_e32 v31, vcc, v3, v7, vcc
	v_add_co_u32_e32 v82, vcc, 0, v29
	v_addc_co_u32_e32 v83, vcc, v31, v21, vcc
	v_ashrrev_i64 v[82:83], 29, v[82:83]
	v_mov_b32_e32 v29, s5
	v_add_co_u32_e32 v84, vcc, s4, v82
	v_addc_co_u32_e32 v85, vcc, v29, v83, vcc
	v_mov_b32_e32 v29, s41
	v_add_co_u32_e32 v82, vcc, s40, v82
	v_addc_co_u32_e32 v83, vcc, v29, v83, vcc
	global_store_dwordx2 v[84:85], v[72:73], off
	s_waitcnt vmcnt(1)
	global_store_dwordx2 v[82:83], v[80:81], off
	s_or_b64 exec, exec, s[90:91]
	s_and_saveexec_b64 s[90:91], s[86:87]
	s_cbranch_execz .LBB246_104
.LBB246_138:                            ;   in Loop: Header=BB246_21 Depth=1
	v_mov_b32_e32 v29, s43
	v_add_co_u32_e32 v31, vcc, s42, v34
	v_addc_co_u32_e32 v80, vcc, v29, v35, vcc
	v_add_co_u32_e32 v31, vcc, s92, v31
	v_addc_co_u32_e32 v80, vcc, 0, v80, vcc
	v_add_co_u32_e32 v81, vcc, s42, v58
	v_addc_co_u32_e32 v29, vcc, v29, v59, vcc
	v_add_co_u32_e32 v82, vcc, 0x600, v81
	v_addc_co_u32_e32 v29, vcc, 0, v29, vcc
	v_cndmask_b32_e64 v81, v29, v80, s[0:1]
	v_cndmask_b32_e64 v80, v82, v31, s[0:1]
	global_load_dwordx2 v[80:81], v[80:81], off
	v_add_co_u32_e32 v29, vcc, 0, v18
	v_addc_co_u32_e32 v31, vcc, v3, v7, vcc
	v_add_co_u32_e32 v82, vcc, 0, v29
	v_addc_co_u32_e32 v83, vcc, v31, v23, vcc
	v_ashrrev_i64 v[82:83], 29, v[82:83]
	v_mov_b32_e32 v29, s5
	v_add_co_u32_e32 v84, vcc, s4, v82
	v_addc_co_u32_e32 v85, vcc, v29, v83, vcc
	v_mov_b32_e32 v29, s41
	v_add_co_u32_e32 v82, vcc, s40, v82
	v_addc_co_u32_e32 v83, vcc, v29, v83, vcc
	global_store_dwordx2 v[84:85], v[74:75], off
	s_waitcnt vmcnt(1)
	global_store_dwordx2 v[82:83], v[80:81], off
	s_or_b64 exec, exec, s[90:91]
	s_and_saveexec_b64 s[90:91], s[6:7]
	s_cbranch_execz .LBB246_105
.LBB246_139:                            ;   in Loop: Header=BB246_21 Depth=1
	v_cndmask_b32_e64 v31, v60, v34, s[0:1]
	v_cndmask_b32_e64 v29, v61, v35, s[0:1]
	v_mov_b32_e32 v81, s43
	v_add_co_u32_e32 v80, vcc, s42, v31
	v_addc_co_u32_e32 v81, vcc, v81, v29, vcc
	global_load_dwordx2 v[80:81], v[80:81], off offset:1536
	v_add_co_u32_e32 v29, vcc, 0, v18
	v_addc_co_u32_e32 v31, vcc, v3, v7, vcc
	v_add_co_u32_e32 v82, vcc, 0, v29
	v_addc_co_u32_e32 v83, vcc, v31, v25, vcc
	v_ashrrev_i64 v[82:83], 29, v[82:83]
	v_mov_b32_e32 v29, s5
	v_add_co_u32_e32 v84, vcc, s4, v82
	v_addc_co_u32_e32 v85, vcc, v29, v83, vcc
	v_mov_b32_e32 v29, s41
	v_add_co_u32_e32 v82, vcc, s40, v82
	v_addc_co_u32_e32 v83, vcc, v29, v83, vcc
	global_store_dwordx2 v[84:85], v[76:77], off
	s_waitcnt vmcnt(1)
	global_store_dwordx2 v[82:83], v[80:81], off
	s_or_b64 exec, exec, s[90:91]
	s_and_saveexec_b64 s[90:91], s[14:15]
	s_cbranch_execz .LBB246_106
.LBB246_140:                            ;   in Loop: Header=BB246_21 Depth=1
	v_mov_b32_e32 v29, s43
	v_add_co_u32_e32 v31, vcc, s42, v34
	v_addc_co_u32_e32 v80, vcc, v29, v35, vcc
	v_add_co_u32_e32 v31, vcc, s39, v31
	v_addc_co_u32_e32 v80, vcc, 0, v80, vcc
	;; [unrolled: 2-line block ×4, first 2 shown]
	v_cndmask_b32_e64 v81, v29, v80, s[0:1]
	v_cndmask_b32_e64 v80, v82, v31, s[0:1]
	global_load_dwordx2 v[80:81], v[80:81], off
	v_add_co_u32_e32 v29, vcc, 0, v18
	v_addc_co_u32_e32 v31, vcc, v3, v7, vcc
	v_add_co_u32_e32 v82, vcc, 0, v29
	v_addc_co_u32_e32 v83, vcc, v31, v27, vcc
	v_ashrrev_i64 v[82:83], 29, v[82:83]
	v_mov_b32_e32 v29, s5
	v_add_co_u32_e32 v84, vcc, s4, v82
	v_addc_co_u32_e32 v85, vcc, v29, v83, vcc
	v_mov_b32_e32 v29, s41
	v_add_co_u32_e32 v82, vcc, s40, v82
	v_addc_co_u32_e32 v83, vcc, v29, v83, vcc
	global_store_dwordx2 v[84:85], v[78:79], off
	s_waitcnt vmcnt(1)
	global_store_dwordx2 v[82:83], v[80:81], off
	s_or_b64 exec, exec, s[90:91]
	s_and_saveexec_b64 s[90:91], s[18:19]
	s_cbranch_execz .LBB246_107
.LBB246_141:                            ;   in Loop: Header=BB246_21 Depth=1
	v_mov_b32_e32 v29, s43
	v_add_co_u32_e32 v31, vcc, s42, v32
	v_addc_co_u32_e32 v80, vcc, v29, v33, vcc
	v_add_co_u32_e32 v81, vcc, s42, v48
	v_addc_co_u32_e32 v29, vcc, v29, v49, vcc
	;; [unrolled: 2-line block ×3, first 2 shown]
	v_cndmask_b32_e64 v81, v29, v80, s[0:1]
	v_cndmask_b32_e64 v80, v82, v31, s[0:1]
	global_load_dwordx2 v[80:81], v[80:81], off
	v_add_co_u32_e32 v82, vcc, 0, v16
	v_addc_co_u32_e32 v83, vcc, v3, v5, vcc
	v_ashrrev_i64 v[82:83], 29, v[82:83]
	v_mov_b32_e32 v29, s5
	v_add_co_u32_e32 v84, vcc, s4, v82
	v_addc_co_u32_e32 v85, vcc, v29, v83, vcc
	global_store_dwordx2 v[84:85], v[68:69], off
	v_mov_b32_e32 v29, s41
	v_add_co_u32_e32 v68, vcc, s40, v82
	v_addc_co_u32_e32 v69, vcc, v29, v83, vcc
	s_waitcnt vmcnt(1)
	global_store_dwordx2 v[68:69], v[80:81], off
	s_or_b64 exec, exec, s[90:91]
	s_and_saveexec_b64 s[90:91], s[20:21]
	s_cbranch_execz .LBB246_108
.LBB246_142:                            ;   in Loop: Header=BB246_21 Depth=1
	v_mov_b32_e32 v29, s43
	v_add_co_u32_e32 v31, vcc, s42, v32
	v_addc_co_u32_e32 v68, vcc, v29, v33, vcc
	v_add_co_u32_e32 v31, vcc, s44, v31
	v_addc_co_u32_e32 v68, vcc, 0, v68, vcc
	;; [unrolled: 2-line block ×4, first 2 shown]
	v_cndmask_b32_e64 v69, v29, v68, s[0:1]
	v_cndmask_b32_e64 v68, v80, v31, s[0:1]
	global_load_dwordx2 v[68:69], v[68:69], off
	v_add_co_u32_e32 v29, vcc, 0, v16
	v_addc_co_u32_e32 v31, vcc, v3, v5, vcc
	v_add_co_u32_e32 v80, vcc, 0, v29
	v_addc_co_u32_e32 v81, vcc, 32, v31, vcc
	v_ashrrev_i64 v[80:81], 29, v[80:81]
	v_mov_b32_e32 v29, s5
	v_add_co_u32_e32 v82, vcc, s4, v80
	v_addc_co_u32_e32 v83, vcc, v29, v81, vcc
	global_store_dwordx2 v[82:83], v[64:65], off
	v_mov_b32_e32 v29, s41
	v_add_co_u32_e32 v64, vcc, s40, v80
	v_addc_co_u32_e32 v65, vcc, v29, v81, vcc
	s_waitcnt vmcnt(1)
	global_store_dwordx2 v[64:65], v[68:69], off
	s_or_b64 exec, exec, s[90:91]
	s_and_saveexec_b64 s[90:91], s[22:23]
	s_cbranch_execz .LBB246_109
.LBB246_143:                            ;   in Loop: Header=BB246_21 Depth=1
	v_mov_b32_e32 v29, s43
	v_add_co_u32_e32 v31, vcc, s42, v32
	v_addc_co_u32_e32 v64, vcc, v29, v33, vcc
	v_add_co_u32_e32 v31, vcc, s95, v31
	v_addc_co_u32_e32 v64, vcc, 0, v64, vcc
	v_add_co_u32_e32 v65, vcc, s42, v52
	v_addc_co_u32_e32 v29, vcc, v29, v53, vcc
	v_add_co_u32_e32 v68, vcc, 0x700, v65
	v_addc_co_u32_e32 v29, vcc, 0, v29, vcc
	v_cndmask_b32_e64 v65, v29, v64, s[0:1]
	v_cndmask_b32_e64 v64, v68, v31, s[0:1]
	global_load_dwordx2 v[64:65], v[64:65], off
	v_add_co_u32_e32 v29, vcc, 0, v16
	v_addc_co_u32_e32 v31, vcc, v3, v5, vcc
	v_add_co_u32_e32 v68, vcc, 0, v29
	v_addc_co_u32_e32 v69, vcc, 64, v31, vcc
	v_ashrrev_i64 v[68:69], 29, v[68:69]
	v_mov_b32_e32 v29, s5
	v_add_co_u32_e32 v80, vcc, s4, v68
	v_addc_co_u32_e32 v81, vcc, v29, v69, vcc
	global_store_dwordx2 v[80:81], v[66:67], off
	v_mov_b32_e32 v29, s41
	v_add_co_u32_e32 v66, vcc, s40, v68
	v_addc_co_u32_e32 v67, vcc, v29, v69, vcc
	s_waitcnt vmcnt(1)
	global_store_dwordx2 v[66:67], v[64:65], off
	s_or_b64 exec, exec, s[90:91]
	s_and_saveexec_b64 s[90:91], s[24:25]
	s_cbranch_execz .LBB246_110
.LBB246_144:                            ;   in Loop: Header=BB246_21 Depth=1
	v_mov_b32_e32 v29, s43
	v_add_co_u32_e32 v31, vcc, s42, v32
	v_addc_co_u32_e32 v64, vcc, v29, v33, vcc
	v_add_co_u32_e32 v31, vcc, s94, v31
	v_addc_co_u32_e32 v64, vcc, 0, v64, vcc
	;; [unrolled: 2-line block ×4, first 2 shown]
	v_cndmask_b32_e64 v65, v29, v64, s[0:1]
	v_cndmask_b32_e64 v64, v66, v31, s[0:1]
	global_load_dwordx2 v[64:65], v[64:65], off
	v_add_co_u32_e32 v29, vcc, 0, v16
	v_addc_co_u32_e32 v31, vcc, v3, v5, vcc
	v_add_co_u32_e32 v66, vcc, 0, v29
	v_addc_co_u32_e32 v67, vcc, v31, v1, vcc
	v_ashrrev_i64 v[66:67], 29, v[66:67]
	v_mov_b32_e32 v29, s5
	v_add_co_u32_e32 v68, vcc, s4, v66
	v_addc_co_u32_e32 v69, vcc, v29, v67, vcc
	v_mov_b32_e32 v29, s41
	v_add_co_u32_e32 v66, vcc, s40, v66
	v_addc_co_u32_e32 v67, vcc, v29, v67, vcc
	global_store_dwordx2 v[68:69], v[70:71], off
	s_waitcnt vmcnt(1)
	global_store_dwordx2 v[66:67], v[64:65], off
	s_or_b64 exec, exec, s[90:91]
	s_and_saveexec_b64 s[90:91], s[26:27]
	s_cbranch_execz .LBB246_111
.LBB246_145:                            ;   in Loop: Header=BB246_21 Depth=1
	v_mov_b32_e32 v29, s43
	v_add_co_u32_e32 v31, vcc, s42, v32
	v_addc_co_u32_e32 v64, vcc, v29, v33, vcc
	v_add_co_u32_e32 v31, vcc, s93, v31
	v_addc_co_u32_e32 v64, vcc, 0, v64, vcc
	;; [unrolled: 2-line block ×4, first 2 shown]
	v_cndmask_b32_e64 v65, v29, v64, s[0:1]
	v_cndmask_b32_e64 v64, v66, v31, s[0:1]
	global_load_dwordx2 v[64:65], v[64:65], off
	v_add_co_u32_e32 v29, vcc, 0, v16
	v_addc_co_u32_e32 v31, vcc, v3, v5, vcc
	v_add_co_u32_e32 v66, vcc, 0, v29
	v_addc_co_u32_e32 v67, vcc, v31, v21, vcc
	v_ashrrev_i64 v[66:67], 29, v[66:67]
	v_mov_b32_e32 v29, s5
	v_add_co_u32_e32 v68, vcc, s4, v66
	v_addc_co_u32_e32 v69, vcc, v29, v67, vcc
	v_mov_b32_e32 v29, s41
	v_add_co_u32_e32 v66, vcc, s40, v66
	v_addc_co_u32_e32 v67, vcc, v29, v67, vcc
	global_store_dwordx2 v[68:69], v[72:73], off
	s_waitcnt vmcnt(1)
	global_store_dwordx2 v[66:67], v[64:65], off
	s_or_b64 exec, exec, s[90:91]
	s_and_saveexec_b64 s[90:91], s[28:29]
	s_cbranch_execz .LBB246_112
.LBB246_146:                            ;   in Loop: Header=BB246_21 Depth=1
	v_mov_b32_e32 v29, s43
	v_add_co_u32_e32 v31, vcc, s42, v32
	v_addc_co_u32_e32 v64, vcc, v29, v33, vcc
	v_add_co_u32_e32 v31, vcc, s92, v31
	v_addc_co_u32_e32 v64, vcc, 0, v64, vcc
	;; [unrolled: 2-line block ×4, first 2 shown]
	v_cndmask_b32_e64 v65, v29, v64, s[0:1]
	v_cndmask_b32_e64 v64, v66, v31, s[0:1]
	global_load_dwordx2 v[64:65], v[64:65], off
	v_add_co_u32_e32 v29, vcc, 0, v16
	v_addc_co_u32_e32 v31, vcc, v3, v5, vcc
	v_add_co_u32_e32 v66, vcc, 0, v29
	v_addc_co_u32_e32 v67, vcc, v31, v23, vcc
	v_ashrrev_i64 v[66:67], 29, v[66:67]
	v_mov_b32_e32 v29, s5
	v_add_co_u32_e32 v68, vcc, s4, v66
	v_addc_co_u32_e32 v69, vcc, v29, v67, vcc
	v_mov_b32_e32 v29, s41
	v_add_co_u32_e32 v66, vcc, s40, v66
	v_addc_co_u32_e32 v67, vcc, v29, v67, vcc
	global_store_dwordx2 v[68:69], v[74:75], off
	s_waitcnt vmcnt(1)
	global_store_dwordx2 v[66:67], v[64:65], off
	s_or_b64 exec, exec, s[90:91]
	s_and_saveexec_b64 s[90:91], s[30:31]
	s_cbranch_execz .LBB246_113
.LBB246_147:                            ;   in Loop: Header=BB246_21 Depth=1
	v_mov_b32_e32 v29, s43
	v_add_co_u32_e32 v31, vcc, s42, v32
	v_addc_co_u32_e32 v64, vcc, v29, v33, vcc
	v_add_co_u32_e32 v31, vcc, s33, v31
	v_addc_co_u32_e32 v64, vcc, 0, v64, vcc
	;; [unrolled: 2-line block ×4, first 2 shown]
	v_cndmask_b32_e64 v65, v29, v64, s[0:1]
	v_cndmask_b32_e64 v64, v66, v31, s[0:1]
	global_load_dwordx2 v[64:65], v[64:65], off
	v_add_co_u32_e32 v29, vcc, 0, v16
	v_addc_co_u32_e32 v31, vcc, v3, v5, vcc
	v_add_co_u32_e32 v66, vcc, 0, v29
	v_addc_co_u32_e32 v67, vcc, v31, v25, vcc
	v_ashrrev_i64 v[66:67], 29, v[66:67]
	v_mov_b32_e32 v29, s5
	v_add_co_u32_e32 v68, vcc, s4, v66
	v_addc_co_u32_e32 v69, vcc, v29, v67, vcc
	v_mov_b32_e32 v29, s41
	v_add_co_u32_e32 v66, vcc, s40, v66
	v_addc_co_u32_e32 v67, vcc, v29, v67, vcc
	global_store_dwordx2 v[68:69], v[76:77], off
	s_waitcnt vmcnt(1)
	global_store_dwordx2 v[66:67], v[64:65], off
	s_or_b64 exec, exec, s[90:91]
	s_and_saveexec_b64 s[90:91], s[16:17]
	s_cbranch_execz .LBB246_20
.LBB246_148:                            ;   in Loop: Header=BB246_21 Depth=1
	v_cndmask_b32_e64 v31, v62, v32, s[0:1]
	v_cndmask_b32_e64 v29, v63, v33, s[0:1]
	v_mov_b32_e32 v65, s43
	v_add_co_u32_e32 v64, vcc, s42, v31
	v_addc_co_u32_e32 v65, vcc, v65, v29, vcc
	global_load_dwordx2 v[64:65], v[64:65], off offset:1792
	v_add_co_u32_e32 v29, vcc, 0, v16
	v_addc_co_u32_e32 v31, vcc, v3, v5, vcc
	v_add_co_u32_e32 v66, vcc, 0, v29
	v_addc_co_u32_e32 v67, vcc, v31, v27, vcc
	v_ashrrev_i64 v[66:67], 29, v[66:67]
	v_mov_b32_e32 v29, s5
	v_add_co_u32_e32 v68, vcc, s4, v66
	v_addc_co_u32_e32 v69, vcc, v29, v67, vcc
	v_mov_b32_e32 v29, s41
	v_add_co_u32_e32 v66, vcc, s40, v66
	v_addc_co_u32_e32 v67, vcc, v29, v67, vcc
	global_store_dwordx2 v[68:69], v[78:79], off
	s_waitcnt vmcnt(1)
	global_store_dwordx2 v[66:67], v[64:65], off
	s_branch .LBB246_20
.LBB246_149:
	s_endpgm
	.section	.rodata,"a",@progbits
	.p2align	6, 0x0
	.amdhsa_kernel _ZN9rocsparseL35bsr2csr_block_per_row_33_256_kernelILj1024ELj256ELj32EdilEEv20rocsparse_direction_T4_S2_21rocsparse_index_base_PKT2_PKT3_PKS2_S2_S3_PS4_PS7_PS2_
		.amdhsa_group_segment_fixed_size 0
		.amdhsa_private_segment_fixed_size 0
		.amdhsa_kernarg_size 96
		.amdhsa_user_sgpr_count 6
		.amdhsa_user_sgpr_private_segment_buffer 1
		.amdhsa_user_sgpr_dispatch_ptr 0
		.amdhsa_user_sgpr_queue_ptr 0
		.amdhsa_user_sgpr_kernarg_segment_ptr 1
		.amdhsa_user_sgpr_dispatch_id 0
		.amdhsa_user_sgpr_flat_scratch_init 0
		.amdhsa_user_sgpr_kernarg_preload_length 0
		.amdhsa_user_sgpr_kernarg_preload_offset 0
		.amdhsa_user_sgpr_private_segment_size 0
		.amdhsa_uses_dynamic_stack 0
		.amdhsa_system_sgpr_private_segment_wavefront_offset 0
		.amdhsa_system_sgpr_workgroup_id_x 1
		.amdhsa_system_sgpr_workgroup_id_y 0
		.amdhsa_system_sgpr_workgroup_id_z 0
		.amdhsa_system_sgpr_workgroup_info 0
		.amdhsa_system_vgpr_workitem_id 0
		.amdhsa_next_free_vgpr 87
		.amdhsa_next_free_sgpr 96
		.amdhsa_accum_offset 88
		.amdhsa_reserve_vcc 1
		.amdhsa_reserve_flat_scratch 0
		.amdhsa_float_round_mode_32 0
		.amdhsa_float_round_mode_16_64 0
		.amdhsa_float_denorm_mode_32 3
		.amdhsa_float_denorm_mode_16_64 3
		.amdhsa_dx10_clamp 1
		.amdhsa_ieee_mode 1
		.amdhsa_fp16_overflow 0
		.amdhsa_tg_split 0
		.amdhsa_exception_fp_ieee_invalid_op 0
		.amdhsa_exception_fp_denorm_src 0
		.amdhsa_exception_fp_ieee_div_zero 0
		.amdhsa_exception_fp_ieee_overflow 0
		.amdhsa_exception_fp_ieee_underflow 0
		.amdhsa_exception_fp_ieee_inexact 0
		.amdhsa_exception_int_div_zero 0
	.end_amdhsa_kernel
	.section	.text._ZN9rocsparseL35bsr2csr_block_per_row_33_256_kernelILj1024ELj256ELj32EdilEEv20rocsparse_direction_T4_S2_21rocsparse_index_base_PKT2_PKT3_PKS2_S2_S3_PS4_PS7_PS2_,"axG",@progbits,_ZN9rocsparseL35bsr2csr_block_per_row_33_256_kernelILj1024ELj256ELj32EdilEEv20rocsparse_direction_T4_S2_21rocsparse_index_base_PKT2_PKT3_PKS2_S2_S3_PS4_PS7_PS2_,comdat
.Lfunc_end246:
	.size	_ZN9rocsparseL35bsr2csr_block_per_row_33_256_kernelILj1024ELj256ELj32EdilEEv20rocsparse_direction_T4_S2_21rocsparse_index_base_PKT2_PKT3_PKS2_S2_S3_PS4_PS7_PS2_, .Lfunc_end246-_ZN9rocsparseL35bsr2csr_block_per_row_33_256_kernelILj1024ELj256ELj32EdilEEv20rocsparse_direction_T4_S2_21rocsparse_index_base_PKT2_PKT3_PKS2_S2_S3_PS4_PS7_PS2_
                                        ; -- End function
	.section	.AMDGPU.csdata,"",@progbits
; Kernel info:
; codeLenInByte = 12812
; NumSgprs: 100
; NumVgprs: 87
; NumAgprs: 0
; TotalNumVgprs: 87
; ScratchSize: 0
; MemoryBound: 0
; FloatMode: 240
; IeeeMode: 1
; LDSByteSize: 0 bytes/workgroup (compile time only)
; SGPRBlocks: 12
; VGPRBlocks: 10
; NumSGPRsForWavesPerEU: 100
; NumVGPRsForWavesPerEU: 87
; AccumOffset: 88
; Occupancy: 5
; WaveLimiterHint : 1
; COMPUTE_PGM_RSRC2:SCRATCH_EN: 0
; COMPUTE_PGM_RSRC2:USER_SGPR: 6
; COMPUTE_PGM_RSRC2:TRAP_HANDLER: 0
; COMPUTE_PGM_RSRC2:TGID_X_EN: 1
; COMPUTE_PGM_RSRC2:TGID_Y_EN: 0
; COMPUTE_PGM_RSRC2:TGID_Z_EN: 0
; COMPUTE_PGM_RSRC2:TIDIG_COMP_CNT: 0
; COMPUTE_PGM_RSRC3_GFX90A:ACCUM_OFFSET: 21
; COMPUTE_PGM_RSRC3_GFX90A:TG_SPLIT: 0
	.section	.text._ZN9rocsparseL35bsr2csr_block_dim_equals_one_kernelILj1024EdllEEvT2_S1_21rocsparse_index_base_PKT0_PKT1_PKS1_S2_PS3_PS6_PS1_,"axG",@progbits,_ZN9rocsparseL35bsr2csr_block_dim_equals_one_kernelILj1024EdllEEvT2_S1_21rocsparse_index_base_PKT0_PKT1_PKS1_S2_PS3_PS6_PS1_,comdat
	.globl	_ZN9rocsparseL35bsr2csr_block_dim_equals_one_kernelILj1024EdllEEvT2_S1_21rocsparse_index_base_PKT0_PKT1_PKS1_S2_PS3_PS6_PS1_ ; -- Begin function _ZN9rocsparseL35bsr2csr_block_dim_equals_one_kernelILj1024EdllEEvT2_S1_21rocsparse_index_base_PKT0_PKT1_PKS1_S2_PS3_PS6_PS1_
	.p2align	8
	.type	_ZN9rocsparseL35bsr2csr_block_dim_equals_one_kernelILj1024EdllEEvT2_S1_21rocsparse_index_base_PKT0_PKT1_PKS1_S2_PS3_PS6_PS1_,@function
_ZN9rocsparseL35bsr2csr_block_dim_equals_one_kernelILj1024EdllEEvT2_S1_21rocsparse_index_base_PKT0_PKT1_PKS1_S2_PS3_PS6_PS1_: ; @_ZN9rocsparseL35bsr2csr_block_dim_equals_one_kernelILj1024EdllEEvT2_S1_21rocsparse_index_base_PKT0_PKT1_PKS1_S2_PS3_PS6_PS1_
; %bb.0:
	v_lshl_or_b32 v0, s6, 10, v0
	v_mov_b32_e32 v1, 0
	s_load_dwordx2 s[14:15], s[4:5], 0x0
	s_load_dword s22, s[4:5], 0x10
	s_load_dwordx4 s[0:3], s[4:5], 0x18
	s_load_dwordx2 s[8:9], s[4:5], 0x28
	s_load_dword s23, s[4:5], 0x30
	s_load_dwordx2 s[10:11], s[4:5], 0x48
	s_load_dwordx2 s[12:13], s[4:5], 0x38
	s_waitcnt lgkmcnt(0)
	v_cmp_gt_i64_e32 vcc, s[14:15], v[0:1]
	s_and_saveexec_b64 s[6:7], vcc
	s_cbranch_execz .LBB247_6
; %bb.1:
	s_load_dwordx2 s[16:17], s[4:5], 0x40
	v_cmp_ne_u32_e32 vcc, 0, v0
                                        ; implicit-def: $sgpr20_sgpr21
	s_and_saveexec_b64 s[18:19], vcc
	s_xor_b64 s[18:19], exec, s[18:19]
; %bb.2:
	s_sub_u32 s20, s23, s22
	s_subb_u32 s21, 0, 0
; %bb.3:
	s_or_saveexec_b64 s[18:19], s[18:19]
	v_pk_mov_b32 v[2:3], s[20:21], s[20:21] op_sel:[0,1]
	s_xor_b64 exec, exec, s[18:19]
	s_cbranch_execz .LBB247_5
; %bb.4:
	s_load_dwordx2 s[20:21], s[2:3], 0x0
	s_sub_u32 s24, s23, s22
	s_subb_u32 s25, 0, 0
	v_mov_b32_e32 v4, 0
	s_waitcnt lgkmcnt(0)
	s_add_u32 s20, s24, s20
	s_addc_u32 s21, s25, s21
	v_pk_mov_b32 v[2:3], s[20:21], s[20:21] op_sel:[0,1]
	global_store_dwordx2 v4, v[2:3], s[16:17]
	v_pk_mov_b32 v[2:3], s[24:25], s[24:25] op_sel:[0,1]
.LBB247_5:
	s_or_b64 exec, exec, s[18:19]
	v_lshlrev_b64 v[4:5], 3, v[0:1]
	v_mov_b32_e32 v7, s3
	v_add_co_u32_e32 v6, vcc, s2, v4
	v_addc_co_u32_e32 v7, vcc, v7, v5, vcc
	global_load_dwordx2 v[6:7], v[6:7], off offset:8
	s_waitcnt lgkmcnt(0)
	v_mov_b32_e32 v8, s17
	s_waitcnt vmcnt(0)
	v_add_co_u32_e32 v2, vcc, v2, v6
	v_addc_co_u32_e32 v3, vcc, v3, v7, vcc
	v_add_co_u32_e32 v4, vcc, s16, v4
	v_addc_co_u32_e32 v5, vcc, v8, v5, vcc
	global_store_dwordx2 v[4:5], v[2:3], off offset:8
.LBB247_6:
	s_or_b64 exec, exec, s[6:7]
	s_lshl_b64 s[6:7], s[14:15], 3
	s_add_u32 s6, s2, s6
	s_addc_u32 s7, s3, s7
	s_load_dwordx2 s[14:15], s[6:7], 0x0
	s_load_dwordx2 s[16:17], s[2:3], 0x0
	s_waitcnt lgkmcnt(0)
	s_sub_u32 s2, s14, s16
	s_subb_u32 s3, s15, s17
	v_cmp_gt_i64_e32 vcc, s[2:3], v[0:1]
	s_and_saveexec_b64 s[6:7], vcc
	s_cbranch_execz .LBB247_9
; %bb.7:
	s_load_dword s4, s[4:5], 0x50
	s_sub_u32 s16, s23, s22
	s_mov_b32 s5, 0
	s_subb_u32 s17, 0, 0
	v_lshlrev_b64 v[2:3], 3, v[0:1]
	s_waitcnt lgkmcnt(0)
	s_lshl_b32 s4, s4, 10
	s_lshl_b64 s[6:7], s[4:5], 3
	s_mov_b64 s[14:15], 0
	v_mov_b32_e32 v4, s9
	v_mov_b32_e32 v5, s17
	;; [unrolled: 1-line block ×7, first 2 shown]
.LBB247_8:                              ; =>This Inner Loop Header: Depth=1
	v_add_co_u32_e32 v12, vcc, s8, v2
	v_addc_co_u32_e32 v13, vcc, v4, v3, vcc
	v_add_co_u32_e32 v14, vcc, s0, v2
	v_addc_co_u32_e32 v15, vcc, v7, v3, vcc
	global_load_dwordx2 v[16:17], v[12:13], off
	global_load_dwordx2 v[18:19], v[14:15], off
	v_add_co_u32_e32 v12, vcc, s10, v2
	v_addc_co_u32_e32 v13, vcc, v6, v3, vcc
	v_add_co_u32_e32 v14, vcc, s12, v2
	v_addc_co_u32_e32 v15, vcc, v8, v3, vcc
	;; [unrolled: 2-line block ×4, first 2 shown]
	v_cmp_le_i64_e32 vcc, s[2:3], v[0:1]
	s_or_b64 s[14:15], vcc, s[14:15]
	s_waitcnt vmcnt(1)
	v_add_co_u32_e32 v16, vcc, s16, v16
	v_addc_co_u32_e32 v17, vcc, v5, v17, vcc
	s_waitcnt vmcnt(0)
	global_store_dwordx2 v[14:15], v[18:19], off
	global_store_dwordx2 v[12:13], v[16:17], off
	s_andn2_b64 exec, exec, s[14:15]
	s_cbranch_execnz .LBB247_8
.LBB247_9:
	s_endpgm
	.section	.rodata,"a",@progbits
	.p2align	6, 0x0
	.amdhsa_kernel _ZN9rocsparseL35bsr2csr_block_dim_equals_one_kernelILj1024EdllEEvT2_S1_21rocsparse_index_base_PKT0_PKT1_PKS1_S2_PS3_PS6_PS1_
		.amdhsa_group_segment_fixed_size 0
		.amdhsa_private_segment_fixed_size 0
		.amdhsa_kernarg_size 336
		.amdhsa_user_sgpr_count 6
		.amdhsa_user_sgpr_private_segment_buffer 1
		.amdhsa_user_sgpr_dispatch_ptr 0
		.amdhsa_user_sgpr_queue_ptr 0
		.amdhsa_user_sgpr_kernarg_segment_ptr 1
		.amdhsa_user_sgpr_dispatch_id 0
		.amdhsa_user_sgpr_flat_scratch_init 0
		.amdhsa_user_sgpr_kernarg_preload_length 0
		.amdhsa_user_sgpr_kernarg_preload_offset 0
		.amdhsa_user_sgpr_private_segment_size 0
		.amdhsa_uses_dynamic_stack 0
		.amdhsa_system_sgpr_private_segment_wavefront_offset 0
		.amdhsa_system_sgpr_workgroup_id_x 1
		.amdhsa_system_sgpr_workgroup_id_y 0
		.amdhsa_system_sgpr_workgroup_id_z 0
		.amdhsa_system_sgpr_workgroup_info 0
		.amdhsa_system_vgpr_workitem_id 0
		.amdhsa_next_free_vgpr 20
		.amdhsa_next_free_sgpr 26
		.amdhsa_accum_offset 20
		.amdhsa_reserve_vcc 1
		.amdhsa_reserve_flat_scratch 0
		.amdhsa_float_round_mode_32 0
		.amdhsa_float_round_mode_16_64 0
		.amdhsa_float_denorm_mode_32 3
		.amdhsa_float_denorm_mode_16_64 3
		.amdhsa_dx10_clamp 1
		.amdhsa_ieee_mode 1
		.amdhsa_fp16_overflow 0
		.amdhsa_tg_split 0
		.amdhsa_exception_fp_ieee_invalid_op 0
		.amdhsa_exception_fp_denorm_src 0
		.amdhsa_exception_fp_ieee_div_zero 0
		.amdhsa_exception_fp_ieee_overflow 0
		.amdhsa_exception_fp_ieee_underflow 0
		.amdhsa_exception_fp_ieee_inexact 0
		.amdhsa_exception_int_div_zero 0
	.end_amdhsa_kernel
	.section	.text._ZN9rocsparseL35bsr2csr_block_dim_equals_one_kernelILj1024EdllEEvT2_S1_21rocsparse_index_base_PKT0_PKT1_PKS1_S2_PS3_PS6_PS1_,"axG",@progbits,_ZN9rocsparseL35bsr2csr_block_dim_equals_one_kernelILj1024EdllEEvT2_S1_21rocsparse_index_base_PKT0_PKT1_PKS1_S2_PS3_PS6_PS1_,comdat
.Lfunc_end247:
	.size	_ZN9rocsparseL35bsr2csr_block_dim_equals_one_kernelILj1024EdllEEvT2_S1_21rocsparse_index_base_PKT0_PKT1_PKS1_S2_PS3_PS6_PS1_, .Lfunc_end247-_ZN9rocsparseL35bsr2csr_block_dim_equals_one_kernelILj1024EdllEEvT2_S1_21rocsparse_index_base_PKT0_PKT1_PKS1_S2_PS3_PS6_PS1_
                                        ; -- End function
	.section	.AMDGPU.csdata,"",@progbits
; Kernel info:
; codeLenInByte = 500
; NumSgprs: 30
; NumVgprs: 20
; NumAgprs: 0
; TotalNumVgprs: 20
; ScratchSize: 0
; MemoryBound: 0
; FloatMode: 240
; IeeeMode: 1
; LDSByteSize: 0 bytes/workgroup (compile time only)
; SGPRBlocks: 3
; VGPRBlocks: 2
; NumSGPRsForWavesPerEU: 30
; NumVGPRsForWavesPerEU: 20
; AccumOffset: 20
; Occupancy: 8
; WaveLimiterHint : 0
; COMPUTE_PGM_RSRC2:SCRATCH_EN: 0
; COMPUTE_PGM_RSRC2:USER_SGPR: 6
; COMPUTE_PGM_RSRC2:TRAP_HANDLER: 0
; COMPUTE_PGM_RSRC2:TGID_X_EN: 1
; COMPUTE_PGM_RSRC2:TGID_Y_EN: 0
; COMPUTE_PGM_RSRC2:TGID_Z_EN: 0
; COMPUTE_PGM_RSRC2:TIDIG_COMP_CNT: 0
; COMPUTE_PGM_RSRC3_GFX90A:ACCUM_OFFSET: 4
; COMPUTE_PGM_RSRC3_GFX90A:TG_SPLIT: 0
	.section	.text._ZN9rocsparseL32bsr2csr_block_per_row_2_7_kernelILj256ELj2EdllEEv20rocsparse_direction_T3_S2_21rocsparse_index_base_PKT1_PKT2_PKS2_S2_S3_PS4_PS7_PS2_,"axG",@progbits,_ZN9rocsparseL32bsr2csr_block_per_row_2_7_kernelILj256ELj2EdllEEv20rocsparse_direction_T3_S2_21rocsparse_index_base_PKT1_PKT2_PKS2_S2_S3_PS4_PS7_PS2_,comdat
	.globl	_ZN9rocsparseL32bsr2csr_block_per_row_2_7_kernelILj256ELj2EdllEEv20rocsparse_direction_T3_S2_21rocsparse_index_base_PKT1_PKT2_PKS2_S2_S3_PS4_PS7_PS2_ ; -- Begin function _ZN9rocsparseL32bsr2csr_block_per_row_2_7_kernelILj256ELj2EdllEEv20rocsparse_direction_T3_S2_21rocsparse_index_base_PKT1_PKT2_PKS2_S2_S3_PS4_PS7_PS2_
	.p2align	8
	.type	_ZN9rocsparseL32bsr2csr_block_per_row_2_7_kernelILj256ELj2EdllEEv20rocsparse_direction_T3_S2_21rocsparse_index_base_PKT1_PKT2_PKS2_S2_S3_PS4_PS7_PS2_,@function
_ZN9rocsparseL32bsr2csr_block_per_row_2_7_kernelILj256ELj2EdllEEv20rocsparse_direction_T3_S2_21rocsparse_index_base_PKT1_PKT2_PKS2_S2_S3_PS4_PS7_PS2_: ; @_ZN9rocsparseL32bsr2csr_block_per_row_2_7_kernelILj256ELj2EdllEEv20rocsparse_direction_T3_S2_21rocsparse_index_base_PKT1_PKT2_PKS2_S2_S3_PS4_PS7_PS2_
; %bb.0:
	s_load_dwordx2 s[2:3], s[4:5], 0x28
	s_load_dword s12, s[4:5], 0x40
	s_load_dwordx2 s[0:1], s[4:5], 0x50
	s_mov_b32 s15, 0
	s_mov_b32 s7, s15
	s_lshl_b64 s[8:9], s[6:7], 3
	s_waitcnt lgkmcnt(0)
	s_add_u32 s2, s2, s8
	s_addc_u32 s3, s3, s9
	s_load_dwordx4 s[8:11], s[2:3], 0x0
	v_or_b32_e32 v1, s6, v0
	s_mov_b32 s13, s15
	v_cmp_eq_u32_e32 vcc, 0, v1
	s_and_saveexec_b64 s[2:3], vcc
	s_cbranch_execz .LBB248_2
; %bb.1:
	v_mov_b32_e32 v1, 0
	v_pk_mov_b32 v[2:3], s[12:13], s[12:13] op_sel:[0,1]
	global_store_dwordx2 v1, v[2:3], s[0:1]
.LBB248_2:
	s_or_b64 exec, exec, s[2:3]
	s_load_dword s14, s[4:5], 0x18
	v_and_b32_e32 v16, 1, v0
	v_lshrrev_b32_e32 v4, 1, v0
	v_mov_b32_e32 v6, s1
	s_waitcnt lgkmcnt(0)
	s_sub_u32 s16, s8, s14
	s_subb_u32 s17, s9, 0
	s_sub_u32 s10, s10, s14
	s_subb_u32 s11, s11, 0
	s_lshl_b64 s[18:19], s[16:17], 2
	s_sub_u32 s20, s10, s16
	s_subb_u32 s21, s11, s17
	s_lshl_b64 s[2:3], s[20:21], 1
	v_mov_b32_e32 v0, s20
	s_add_u32 s20, s2, s12
	s_addc_u32 s3, s3, 0
	s_add_u32 s18, s20, s18
	v_alignbit_b32 v0, s21, v0, 31
	s_addc_u32 s19, s3, s19
	s_lshl_b64 s[6:7], s[6:7], 4
	v_mul_lo_u32 v5, v0, v16
	v_pk_mov_b32 v[0:1], s[18:19], s[18:19] op_sel:[0,1]
	v_lshl_or_b32 v2, v16, 3, s6
	v_mad_u64_u32 v[0:1], s[18:19], s2, v16, v[0:1]
	v_mov_b32_e32 v3, s7
	v_add_co_u32_e32 v2, vcc, s0, v2
	v_add_u32_e32 v1, v5, v1
	v_addc_co_u32_e32 v3, vcc, v6, v3, vcc
	global_store_dwordx2 v[2:3], v[0:1], off offset:8
	v_mov_b32_e32 v1, s17
	v_add_co_u32_e32 v0, vcc, s16, v4
	v_addc_co_u32_e32 v1, vcc, 0, v1, vcc
	v_cmp_gt_i64_e32 vcc, s[10:11], v[0:1]
	s_and_saveexec_b64 s[0:1], vcc
	s_cbranch_execz .LBB248_7
; %bb.3:
	s_load_dwordx2 s[18:19], s[4:5], 0x30
	s_load_dwordx2 s[20:21], s[4:5], 0x48
	s_load_dword s3, s[4:5], 0x0
	s_load_dwordx2 s[6:7], s[4:5], 0x20
	s_load_dwordx2 s[22:23], s[4:5], 0x58
	v_lshlrev_b64 v[2:3], 3, v[0:1]
	s_waitcnt lgkmcnt(0)
	v_mov_b32_e32 v7, s19
	s_cmp_eq_u32 s3, 0
	s_cselect_b64 s[0:1], -1, 0
	s_cmp_lg_u32 s3, 0
	s_cselect_b64 s[4:5], -1, 0
	s_add_u32 s16, s6, 16
	v_add_co_u32_e32 v2, vcc, s18, v2
	v_mul_lo_u32 v6, s2, v16
	s_addc_u32 s17, s7, 0
	v_addc_co_u32_e32 v3, vcc, v7, v3, vcc
	s_lshl_b64 s[2:3], s[8:9], 2
	v_mov_b32_e32 v7, s3
	v_add_co_u32_e32 v6, vcc, s2, v6
	v_addc_co_u32_e32 v5, vcc, v5, v7, vcc
	v_lshlrev_b32_e32 v4, 1, v4
	v_add_co_u32_e32 v4, vcc, v6, v4
	v_addc_co_u32_e32 v5, vcc, 0, v5, vcc
	s_lshl_b64 s[2:3], s[14:15], 2
	v_mov_b32_e32 v6, s3
	v_subrev_co_u32_e32 v4, vcc, s2, v4
	v_subb_co_u32_e32 v5, vcc, v5, v6, vcc
	v_lshlrev_b64 v[4:5], 3, v[4:5]
	v_add_co_u32_e32 v10, vcc, 8, v4
	v_addc_co_u32_e32 v11, vcc, 0, v5, vcc
	v_mov_b32_e32 v5, s21
	v_add_co_u32_e32 v4, vcc, s20, v10
	v_addc_co_u32_e32 v5, vcc, v5, v11, vcc
	v_mov_b32_e32 v12, s23
	v_add_co_u32_e32 v10, vcc, s22, v10
	v_addc_co_u32_e32 v11, vcc, v12, v11, vcc
	v_lshlrev_b64 v[12:13], 5, v[0:1]
	v_lshl_or_b32 v12, v16, 4, v12
	v_mov_b32_e32 v17, s7
	v_add_co_u32_e32 v12, vcc, s6, v12
	v_addc_co_u32_e32 v13, vcc, v13, v17, vcc
	v_lshlrev_b64 v[6:7], 2, v[0:1]
	v_add_co_u32_e32 v12, vcc, 8, v12
	v_or_b32_e32 v8, v6, v16
	v_mov_b32_e32 v9, v7
	v_addc_co_u32_e32 v13, vcc, 0, v13, vcc
	v_lshl_or_b32 v6, v16, 1, v6
	s_mov_b64 s[8:9], 0
	v_mov_b32_e32 v18, s15
	v_mov_b32_e32 v19, s13
	s_branch .LBB248_5
.LBB248_4:                              ;   in Loop: Header=BB248_5 Depth=1
	global_load_dwordx2 v[14:15], v[14:15], off
	v_add_co_u32_e32 v0, vcc, 0x80, v0
	v_addc_co_u32_e32 v1, vcc, 0, v1, vcc
	v_add_co_u32_e32 v2, vcc, 0x400, v2
	v_addc_co_u32_e32 v3, vcc, 0, v3, vcc
	v_cmp_le_i64_e32 vcc, s[10:11], v[0:1]
	s_or_b64 s[8:9], vcc, s[8:9]
	s_waitcnt vmcnt(0)
	global_store_dwordx2 v[4:5], v[14:15], off
	v_add_co_u32_e32 v4, vcc, 0x800, v4
	v_addc_co_u32_e32 v5, vcc, 0, v5, vcc
	v_add_co_u32_e32 v8, vcc, 0x200, v8
	v_addc_co_u32_e32 v9, vcc, 0, v9, vcc
	;; [unrolled: 2-line block ×5, first 2 shown]
	s_andn2_b64 exec, exec, s[8:9]
	s_cbranch_execz .LBB248_7
.LBB248_5:                              ; =>This Inner Loop Header: Depth=1
	global_load_dwordx2 v[14:15], v[2:3], off
	v_cndmask_b32_e64 v21, v9, v7, s[0:1]
	v_cndmask_b32_e64 v20, v8, v6, s[0:1]
	v_lshlrev_b64 v[20:21], 3, v[20:21]
	v_add_co_u32_e32 v20, vcc, s6, v20
	v_addc_co_u32_e32 v21, vcc, v17, v21, vcc
	global_load_dwordx2 v[22:23], v[20:21], off
	s_andn2_b64 vcc, exec, s[4:5]
	s_waitcnt vmcnt(1)
	v_subrev_co_u32_e64 v14, s[2:3], s14, v14
	v_subb_co_u32_e64 v15, s[2:3], v15, v18, s[2:3]
	v_lshlrev_b64 v[14:15], 1, v[14:15]
	v_add_co_u32_e64 v20, s[2:3], s12, v14
	v_addc_co_u32_e64 v21, s[2:3], v15, v19, s[2:3]
	s_waitcnt vmcnt(0)
	global_store_dwordx2 v[4:5], v[22:23], off offset:-8
	v_add_co_u32_e64 v22, s[2:3], 1, v20
	v_addc_co_u32_e64 v23, s[2:3], 0, v21, s[2:3]
	v_pk_mov_b32 v[14:15], v[12:13], v[12:13] op_sel:[0,1]
	global_store_dwordx4 v[10:11], v[20:23], off offset:-8
	s_cbranch_vccnz .LBB248_4
; %bb.6:                                ;   in Loop: Header=BB248_5 Depth=1
	v_lshlrev_b64 v[14:15], 5, v[0:1]
	v_lshl_or_b32 v14, v16, 3, v14
	v_mov_b32_e32 v20, s17
	v_add_co_u32_e32 v14, vcc, s16, v14
	v_addc_co_u32_e32 v15, vcc, v20, v15, vcc
	s_branch .LBB248_4
.LBB248_7:
	s_endpgm
	.section	.rodata,"a",@progbits
	.p2align	6, 0x0
	.amdhsa_kernel _ZN9rocsparseL32bsr2csr_block_per_row_2_7_kernelILj256ELj2EdllEEv20rocsparse_direction_T3_S2_21rocsparse_index_base_PKT1_PKT2_PKS2_S2_S3_PS4_PS7_PS2_
		.amdhsa_group_segment_fixed_size 0
		.amdhsa_private_segment_fixed_size 0
		.amdhsa_kernarg_size 96
		.amdhsa_user_sgpr_count 6
		.amdhsa_user_sgpr_private_segment_buffer 1
		.amdhsa_user_sgpr_dispatch_ptr 0
		.amdhsa_user_sgpr_queue_ptr 0
		.amdhsa_user_sgpr_kernarg_segment_ptr 1
		.amdhsa_user_sgpr_dispatch_id 0
		.amdhsa_user_sgpr_flat_scratch_init 0
		.amdhsa_user_sgpr_kernarg_preload_length 0
		.amdhsa_user_sgpr_kernarg_preload_offset 0
		.amdhsa_user_sgpr_private_segment_size 0
		.amdhsa_uses_dynamic_stack 0
		.amdhsa_system_sgpr_private_segment_wavefront_offset 0
		.amdhsa_system_sgpr_workgroup_id_x 1
		.amdhsa_system_sgpr_workgroup_id_y 0
		.amdhsa_system_sgpr_workgroup_id_z 0
		.amdhsa_system_sgpr_workgroup_info 0
		.amdhsa_system_vgpr_workitem_id 0
		.amdhsa_next_free_vgpr 24
		.amdhsa_next_free_sgpr 24
		.amdhsa_accum_offset 24
		.amdhsa_reserve_vcc 1
		.amdhsa_reserve_flat_scratch 0
		.amdhsa_float_round_mode_32 0
		.amdhsa_float_round_mode_16_64 0
		.amdhsa_float_denorm_mode_32 3
		.amdhsa_float_denorm_mode_16_64 3
		.amdhsa_dx10_clamp 1
		.amdhsa_ieee_mode 1
		.amdhsa_fp16_overflow 0
		.amdhsa_tg_split 0
		.amdhsa_exception_fp_ieee_invalid_op 0
		.amdhsa_exception_fp_denorm_src 0
		.amdhsa_exception_fp_ieee_div_zero 0
		.amdhsa_exception_fp_ieee_overflow 0
		.amdhsa_exception_fp_ieee_underflow 0
		.amdhsa_exception_fp_ieee_inexact 0
		.amdhsa_exception_int_div_zero 0
	.end_amdhsa_kernel
	.section	.text._ZN9rocsparseL32bsr2csr_block_per_row_2_7_kernelILj256ELj2EdllEEv20rocsparse_direction_T3_S2_21rocsparse_index_base_PKT1_PKT2_PKS2_S2_S3_PS4_PS7_PS2_,"axG",@progbits,_ZN9rocsparseL32bsr2csr_block_per_row_2_7_kernelILj256ELj2EdllEEv20rocsparse_direction_T3_S2_21rocsparse_index_base_PKT1_PKT2_PKS2_S2_S3_PS4_PS7_PS2_,comdat
.Lfunc_end248:
	.size	_ZN9rocsparseL32bsr2csr_block_per_row_2_7_kernelILj256ELj2EdllEEv20rocsparse_direction_T3_S2_21rocsparse_index_base_PKT1_PKT2_PKS2_S2_S3_PS4_PS7_PS2_, .Lfunc_end248-_ZN9rocsparseL32bsr2csr_block_per_row_2_7_kernelILj256ELj2EdllEEv20rocsparse_direction_T3_S2_21rocsparse_index_base_PKT1_PKT2_PKS2_S2_S3_PS4_PS7_PS2_
                                        ; -- End function
	.section	.AMDGPU.csdata,"",@progbits
; Kernel info:
; codeLenInByte = 824
; NumSgprs: 28
; NumVgprs: 24
; NumAgprs: 0
; TotalNumVgprs: 24
; ScratchSize: 0
; MemoryBound: 0
; FloatMode: 240
; IeeeMode: 1
; LDSByteSize: 0 bytes/workgroup (compile time only)
; SGPRBlocks: 3
; VGPRBlocks: 2
; NumSGPRsForWavesPerEU: 28
; NumVGPRsForWavesPerEU: 24
; AccumOffset: 24
; Occupancy: 8
; WaveLimiterHint : 0
; COMPUTE_PGM_RSRC2:SCRATCH_EN: 0
; COMPUTE_PGM_RSRC2:USER_SGPR: 6
; COMPUTE_PGM_RSRC2:TRAP_HANDLER: 0
; COMPUTE_PGM_RSRC2:TGID_X_EN: 1
; COMPUTE_PGM_RSRC2:TGID_Y_EN: 0
; COMPUTE_PGM_RSRC2:TGID_Z_EN: 0
; COMPUTE_PGM_RSRC2:TIDIG_COMP_CNT: 0
; COMPUTE_PGM_RSRC3_GFX90A:ACCUM_OFFSET: 5
; COMPUTE_PGM_RSRC3_GFX90A:TG_SPLIT: 0
	.section	.text._ZN9rocsparseL32bsr2csr_block_per_row_2_7_kernelILj256ELj3EdllEEv20rocsparse_direction_T3_S2_21rocsparse_index_base_PKT1_PKT2_PKS2_S2_S3_PS4_PS7_PS2_,"axG",@progbits,_ZN9rocsparseL32bsr2csr_block_per_row_2_7_kernelILj256ELj3EdllEEv20rocsparse_direction_T3_S2_21rocsparse_index_base_PKT1_PKT2_PKS2_S2_S3_PS4_PS7_PS2_,comdat
	.globl	_ZN9rocsparseL32bsr2csr_block_per_row_2_7_kernelILj256ELj3EdllEEv20rocsparse_direction_T3_S2_21rocsparse_index_base_PKT1_PKT2_PKS2_S2_S3_PS4_PS7_PS2_ ; -- Begin function _ZN9rocsparseL32bsr2csr_block_per_row_2_7_kernelILj256ELj3EdllEEv20rocsparse_direction_T3_S2_21rocsparse_index_base_PKT1_PKT2_PKS2_S2_S3_PS4_PS7_PS2_
	.p2align	8
	.type	_ZN9rocsparseL32bsr2csr_block_per_row_2_7_kernelILj256ELj3EdllEEv20rocsparse_direction_T3_S2_21rocsparse_index_base_PKT1_PKT2_PKS2_S2_S3_PS4_PS7_PS2_,@function
_ZN9rocsparseL32bsr2csr_block_per_row_2_7_kernelILj256ELj3EdllEEv20rocsparse_direction_T3_S2_21rocsparse_index_base_PKT1_PKT2_PKS2_S2_S3_PS4_PS7_PS2_: ; @_ZN9rocsparseL32bsr2csr_block_per_row_2_7_kernelILj256ELj3EdllEEv20rocsparse_direction_T3_S2_21rocsparse_index_base_PKT1_PKT2_PKS2_S2_S3_PS4_PS7_PS2_
; %bb.0:
	s_load_dwordx2 s[2:3], s[4:5], 0x28
	s_load_dword s12, s[4:5], 0x40
	s_load_dwordx2 s[0:1], s[4:5], 0x50
	s_mov_b32 s7, 0
	s_lshl_b64 s[8:9], s[6:7], 3
	s_waitcnt lgkmcnt(0)
	s_add_u32 s2, s2, s8
	v_or_b32_e32 v1, s6, v0
	s_addc_u32 s3, s3, s9
	v_cmp_eq_u32_e32 vcc, 0, v1
	s_and_saveexec_b64 s[8:9], vcc
	s_cbranch_execz .LBB249_2
; %bb.1:
	v_mov_b32_e32 v2, s12
	v_mov_b32_e32 v3, 0
	global_store_dwordx2 v3, v[2:3], s[0:1]
.LBB249_2:
	s_or_b64 exec, exec, s[8:9]
	v_and_b32_e32 v12, 3, v0
	v_cmp_ne_u32_e32 vcc, 3, v12
	s_and_saveexec_b64 s[8:9], vcc
	s_cbranch_execz .LBB249_6
; %bb.3:
	s_load_dwordx4 s[8:11], s[2:3], 0x0
	s_load_dword s7, s[4:5], 0x18
	v_lshrrev_b32_e32 v8, 2, v0
	v_lshlrev_b32_e32 v0, 3, v12
	s_mov_b32 s2, 0
	s_waitcnt lgkmcnt(0)
	s_sub_u32 s16, s8, s7
	s_subb_u32 s17, s9, 0
	s_sub_u32 s10, s10, s7
	s_mul_i32 s3, s17, 9
	s_mul_hi_u32 s13, s16, 9
	s_subb_u32 s11, s11, 0
	s_add_i32 s15, s13, s3
	s_sub_u32 s3, s10, s16
	s_subb_u32 s13, s11, s17
	s_mul_i32 s13, s13, 3
	s_mul_hi_u32 s18, s3, 3
	s_add_i32 s18, s18, s13
	s_mul_i32 s3, s3, 3
	s_add_u32 s19, s3, s12
	s_mul_i32 s14, s16, 9
	v_mul_lo_u32 v1, s18, v12
	s_addc_u32 s18, s18, 0
	s_add_u32 s14, s19, s14
	s_addc_u32 s15, s18, s15
	v_pk_mov_b32 v[2:3], s[14:15], s[14:15] op_sel:[0,1]
	v_mad_u64_u32 v[2:3], s[14:15], s3, v12, v[2:3]
	s_mul_hi_u32 s14, s6, 24
	s_mul_i32 s6, s6, 24
	s_add_u32 s0, s0, s6
	v_add_u32_e32 v3, v1, v3
	s_addc_u32 s1, s1, s14
	global_store_dwordx2 v0, v[2:3], s[0:1] offset:8
	v_mov_b32_e32 v3, s17
	v_add_co_u32_e32 v2, vcc, s16, v8
	v_addc_co_u32_e32 v3, vcc, 0, v3, vcc
	v_cmp_gt_i64_e32 vcc, s[10:11], v[2:3]
	s_and_b64 exec, exec, vcc
	s_cbranch_execz .LBB249_6
; %bb.4:
	s_load_dwordx2 s[14:15], s[4:5], 0x30
	s_load_dwordx2 s[16:17], s[4:5], 0x48
	;; [unrolled: 1-line block ×3, first 2 shown]
	s_load_dword s6, s[4:5], 0x0
	s_load_dwordx2 s[20:21], s[4:5], 0x58
	v_mad_u64_u32 v[10:11], s[0:1], s3, v12, 0
	s_movk_i32 s3, 0x48
	s_waitcnt lgkmcnt(0)
	v_pk_mov_b32 v[6:7], s[18:19], s[18:19] op_sel:[0,1]
	v_mad_u64_u32 v[6:7], s[4:5], v2, s3, v[6:7]
	v_add_u32_e32 v11, v11, v1
	v_lshlrev_b64 v[4:5], 3, v[2:3]
	v_mov_b32_e32 v14, v7
	v_mov_b32_e32 v1, s15
	v_add_co_u32_e32 v4, vcc, s14, v4
	v_mad_u64_u32 v[14:15], s[4:5], v3, s3, v[14:15]
	v_mad_u64_u32 v[10:11], s[4:5], s8, 9, v[10:11]
	v_addc_co_u32_e32 v5, vcc, v1, v5, vcc
	v_mov_b32_e32 v1, v14
	v_mov_b32_e32 v14, v11
	v_mad_u64_u32 v[14:15], s[4:5], s9, 9, v[14:15]
	v_mov_b32_e32 v11, v14
	v_mad_u64_u32 v[8:9], s[4:5], v8, 3, v[10:11]
	s_mul_hi_u32 s3, s7, 9
	s_mul_i32 s4, s7, 9
	v_mov_b32_e32 v7, s3
	v_subrev_co_u32_e32 v8, vcc, s4, v8
	v_subb_co_u32_e32 v9, vcc, v9, v7, vcc
	v_lshlrev_b64 v[8:9], 3, v[8:9]
	v_add_co_u32_e32 v7, vcc, 8, v8
	v_addc_co_u32_e32 v11, vcc, 0, v9, vcc
	v_mov_b32_e32 v9, s17
	v_add_co_u32_e32 v8, vcc, s16, v7
	v_addc_co_u32_e32 v9, vcc, v9, v11, vcc
	s_cmp_eq_u32 s6, 0
	v_mov_b32_e32 v13, s21
	v_add_co_u32_e32 v10, vcc, s20, v7
	s_mov_b32 s13, s2
	s_cselect_b64 s[0:1], -1, 0
	v_addc_co_u32_e32 v11, vcc, v13, v11, vcc
	v_mul_hi_u32_u24_e32 v7, 24, v12
	v_mul_u32_u24_e32 v12, 24, v12
	s_mov_b64 s[4:5], 0
	v_mov_b32_e32 v13, s2
	s_movk_i32 s6, 0x200
	s_movk_i32 s8, 0x1200
.LBB249_5:                              ; =>This Inner Loop Header: Depth=1
	v_add_co_u32_e32 v16, vcc, v6, v0
	v_addc_co_u32_e32 v17, vcc, 0, v1, vcc
	v_add_co_u32_e32 v20, vcc, v6, v12
	v_addc_co_u32_e32 v21, vcc, v1, v7, vcc
	;; [unrolled: 2-line block ×5, first 2 shown]
	global_load_dwordx2 v[18:19], v[4:5], off
	v_cndmask_b32_e64 v14, v16, v20, s[0:1]
	v_add_co_u32_e32 v16, vcc, 48, v16
	v_cndmask_b32_e64 v15, v17, v21, s[0:1]
	v_addc_co_u32_e32 v17, vcc, 0, v17, vcc
	v_cndmask_b32_e64 v21, v25, v23, s[0:1]
	v_cndmask_b32_e64 v20, v24, v22, s[0:1]
	global_load_dwordx2 v[14:15], v[14:15], off
	v_cndmask_b32_e64 v23, v17, v27, s[0:1]
	v_cndmask_b32_e64 v22, v16, v26, s[0:1]
	global_load_dwordx2 v[16:17], v[20:21], off
	global_load_dwordx2 v[24:25], v[22:23], off
	v_add_co_u32_e32 v2, vcc, 64, v2
	v_addc_co_u32_e32 v3, vcc, 0, v3, vcc
	v_add_co_u32_e32 v4, vcc, s6, v4
	v_addc_co_u32_e32 v5, vcc, 0, v5, vcc
	;; [unrolled: 2-line block ×3, first 2 shown]
	v_cmp_le_i64_e64 s[2:3], s[10:11], v[2:3]
	s_or_b64 s[4:5], s[2:3], s[4:5]
	s_waitcnt vmcnt(1)
	global_store_dwordx4 v[8:9], v[14:17], off offset:-8
	s_waitcnt vmcnt(1)
	global_store_dwordx2 v[8:9], v[24:25], off offset:8
	v_subrev_co_u32_e32 v18, vcc, s7, v18
	v_subb_co_u32_e32 v19, vcc, v19, v13, vcc
	v_mad_u64_u32 v[20:21], s[2:3], v18, 3, s[12:13]
	v_mov_b32_e32 v22, v21
	v_add_co_u32_e32 v8, vcc, 0x600, v8
	v_mad_u64_u32 v[22:23], s[2:3], v19, 3, v[22:23]
	v_addc_co_u32_e32 v9, vcc, 0, v9, vcc
	v_mov_b32_e32 v18, v20
	v_mov_b32_e32 v15, v22
	v_add_co_u32_e64 v14, s[2:3], 2, v20
	v_add_co_u32_e32 v20, vcc, 1, v20
	v_mov_b32_e32 v19, v22
	v_addc_co_u32_e32 v21, vcc, 0, v15, vcc
	v_addc_co_u32_e64 v15, vcc, 0, v15, s[2:3]
	global_store_dwordx4 v[10:11], v[18:21], off offset:-8
	global_store_dwordx2 v[10:11], v[14:15], off offset:8
	v_add_co_u32_e32 v10, vcc, 0x600, v10
	v_addc_co_u32_e32 v11, vcc, 0, v11, vcc
	s_andn2_b64 exec, exec, s[4:5]
	s_cbranch_execnz .LBB249_5
.LBB249_6:
	s_endpgm
	.section	.rodata,"a",@progbits
	.p2align	6, 0x0
	.amdhsa_kernel _ZN9rocsparseL32bsr2csr_block_per_row_2_7_kernelILj256ELj3EdllEEv20rocsparse_direction_T3_S2_21rocsparse_index_base_PKT1_PKT2_PKS2_S2_S3_PS4_PS7_PS2_
		.amdhsa_group_segment_fixed_size 0
		.amdhsa_private_segment_fixed_size 0
		.amdhsa_kernarg_size 96
		.amdhsa_user_sgpr_count 6
		.amdhsa_user_sgpr_private_segment_buffer 1
		.amdhsa_user_sgpr_dispatch_ptr 0
		.amdhsa_user_sgpr_queue_ptr 0
		.amdhsa_user_sgpr_kernarg_segment_ptr 1
		.amdhsa_user_sgpr_dispatch_id 0
		.amdhsa_user_sgpr_flat_scratch_init 0
		.amdhsa_user_sgpr_kernarg_preload_length 0
		.amdhsa_user_sgpr_kernarg_preload_offset 0
		.amdhsa_user_sgpr_private_segment_size 0
		.amdhsa_uses_dynamic_stack 0
		.amdhsa_system_sgpr_private_segment_wavefront_offset 0
		.amdhsa_system_sgpr_workgroup_id_x 1
		.amdhsa_system_sgpr_workgroup_id_y 0
		.amdhsa_system_sgpr_workgroup_id_z 0
		.amdhsa_system_sgpr_workgroup_info 0
		.amdhsa_system_vgpr_workitem_id 0
		.amdhsa_next_free_vgpr 28
		.amdhsa_next_free_sgpr 22
		.amdhsa_accum_offset 28
		.amdhsa_reserve_vcc 1
		.amdhsa_reserve_flat_scratch 0
		.amdhsa_float_round_mode_32 0
		.amdhsa_float_round_mode_16_64 0
		.amdhsa_float_denorm_mode_32 3
		.amdhsa_float_denorm_mode_16_64 3
		.amdhsa_dx10_clamp 1
		.amdhsa_ieee_mode 1
		.amdhsa_fp16_overflow 0
		.amdhsa_tg_split 0
		.amdhsa_exception_fp_ieee_invalid_op 0
		.amdhsa_exception_fp_denorm_src 0
		.amdhsa_exception_fp_ieee_div_zero 0
		.amdhsa_exception_fp_ieee_overflow 0
		.amdhsa_exception_fp_ieee_underflow 0
		.amdhsa_exception_fp_ieee_inexact 0
		.amdhsa_exception_int_div_zero 0
	.end_amdhsa_kernel
	.section	.text._ZN9rocsparseL32bsr2csr_block_per_row_2_7_kernelILj256ELj3EdllEEv20rocsparse_direction_T3_S2_21rocsparse_index_base_PKT1_PKT2_PKS2_S2_S3_PS4_PS7_PS2_,"axG",@progbits,_ZN9rocsparseL32bsr2csr_block_per_row_2_7_kernelILj256ELj3EdllEEv20rocsparse_direction_T3_S2_21rocsparse_index_base_PKT1_PKT2_PKS2_S2_S3_PS4_PS7_PS2_,comdat
.Lfunc_end249:
	.size	_ZN9rocsparseL32bsr2csr_block_per_row_2_7_kernelILj256ELj3EdllEEv20rocsparse_direction_T3_S2_21rocsparse_index_base_PKT1_PKT2_PKS2_S2_S3_PS4_PS7_PS2_, .Lfunc_end249-_ZN9rocsparseL32bsr2csr_block_per_row_2_7_kernelILj256ELj3EdllEEv20rocsparse_direction_T3_S2_21rocsparse_index_base_PKT1_PKT2_PKS2_S2_S3_PS4_PS7_PS2_
                                        ; -- End function
	.section	.AMDGPU.csdata,"",@progbits
; Kernel info:
; codeLenInByte = 820
; NumSgprs: 26
; NumVgprs: 28
; NumAgprs: 0
; TotalNumVgprs: 28
; ScratchSize: 0
; MemoryBound: 0
; FloatMode: 240
; IeeeMode: 1
; LDSByteSize: 0 bytes/workgroup (compile time only)
; SGPRBlocks: 3
; VGPRBlocks: 3
; NumSGPRsForWavesPerEU: 26
; NumVGPRsForWavesPerEU: 28
; AccumOffset: 28
; Occupancy: 8
; WaveLimiterHint : 0
; COMPUTE_PGM_RSRC2:SCRATCH_EN: 0
; COMPUTE_PGM_RSRC2:USER_SGPR: 6
; COMPUTE_PGM_RSRC2:TRAP_HANDLER: 0
; COMPUTE_PGM_RSRC2:TGID_X_EN: 1
; COMPUTE_PGM_RSRC2:TGID_Y_EN: 0
; COMPUTE_PGM_RSRC2:TGID_Z_EN: 0
; COMPUTE_PGM_RSRC2:TIDIG_COMP_CNT: 0
; COMPUTE_PGM_RSRC3_GFX90A:ACCUM_OFFSET: 6
; COMPUTE_PGM_RSRC3_GFX90A:TG_SPLIT: 0
	.section	.text._ZN9rocsparseL32bsr2csr_block_per_row_2_7_kernelILj256ELj4EdllEEv20rocsparse_direction_T3_S2_21rocsparse_index_base_PKT1_PKT2_PKS2_S2_S3_PS4_PS7_PS2_,"axG",@progbits,_ZN9rocsparseL32bsr2csr_block_per_row_2_7_kernelILj256ELj4EdllEEv20rocsparse_direction_T3_S2_21rocsparse_index_base_PKT1_PKT2_PKS2_S2_S3_PS4_PS7_PS2_,comdat
	.globl	_ZN9rocsparseL32bsr2csr_block_per_row_2_7_kernelILj256ELj4EdllEEv20rocsparse_direction_T3_S2_21rocsparse_index_base_PKT1_PKT2_PKS2_S2_S3_PS4_PS7_PS2_ ; -- Begin function _ZN9rocsparseL32bsr2csr_block_per_row_2_7_kernelILj256ELj4EdllEEv20rocsparse_direction_T3_S2_21rocsparse_index_base_PKT1_PKT2_PKS2_S2_S3_PS4_PS7_PS2_
	.p2align	8
	.type	_ZN9rocsparseL32bsr2csr_block_per_row_2_7_kernelILj256ELj4EdllEEv20rocsparse_direction_T3_S2_21rocsparse_index_base_PKT1_PKT2_PKS2_S2_S3_PS4_PS7_PS2_,@function
_ZN9rocsparseL32bsr2csr_block_per_row_2_7_kernelILj256ELj4EdllEEv20rocsparse_direction_T3_S2_21rocsparse_index_base_PKT1_PKT2_PKS2_S2_S3_PS4_PS7_PS2_: ; @_ZN9rocsparseL32bsr2csr_block_per_row_2_7_kernelILj256ELj4EdllEEv20rocsparse_direction_T3_S2_21rocsparse_index_base_PKT1_PKT2_PKS2_S2_S3_PS4_PS7_PS2_
; %bb.0:
	s_load_dwordx2 s[2:3], s[4:5], 0x28
	s_load_dword s12, s[4:5], 0x40
	s_load_dwordx2 s[0:1], s[4:5], 0x50
	s_mov_b32 s15, 0
	s_mov_b32 s7, s15
	s_lshl_b64 s[8:9], s[6:7], 3
	s_waitcnt lgkmcnt(0)
	s_add_u32 s2, s2, s8
	s_addc_u32 s3, s3, s9
	s_load_dwordx4 s[8:11], s[2:3], 0x0
	v_or_b32_e32 v1, s6, v0
	s_mov_b32 s13, s15
	v_cmp_eq_u32_e32 vcc, 0, v1
	s_and_saveexec_b64 s[2:3], vcc
	s_cbranch_execz .LBB250_2
; %bb.1:
	v_mov_b32_e32 v1, 0
	v_pk_mov_b32 v[2:3], s[12:13], s[12:13] op_sel:[0,1]
	global_store_dwordx2 v1, v[2:3], s[0:1]
.LBB250_2:
	s_or_b64 exec, exec, s[2:3]
	s_load_dword s14, s[4:5], 0x18
	v_and_b32_e32 v20, 3, v0
	v_mov_b32_e32 v6, s1
	v_lshrrev_b32_e32 v0, 2, v0
	s_waitcnt lgkmcnt(0)
	s_sub_u32 s16, s8, s14
	s_subb_u32 s17, s9, 0
	s_sub_u32 s10, s10, s14
	s_subb_u32 s11, s11, 0
	s_lshl_b64 s[18:19], s[16:17], 4
	s_sub_u32 s20, s10, s16
	s_subb_u32 s21, s11, s17
	s_lshl_b64 s[2:3], s[20:21], 2
	v_mov_b32_e32 v1, s20
	s_add_u32 s20, s2, s12
	s_addc_u32 s3, s3, 0
	s_add_u32 s18, s20, s18
	s_addc_u32 s19, s3, s19
	s_lshl_b64 s[6:7], s[6:7], 5
	v_alignbit_b32 v1, s21, v1, 30
	v_pk_mov_b32 v[2:3], s[18:19], s[18:19] op_sel:[0,1]
	v_lshl_or_b32 v4, v20, 3, s6
	v_mul_lo_u32 v1, v1, v20
	v_mad_u64_u32 v[2:3], s[18:19], s2, v20, v[2:3]
	v_mov_b32_e32 v5, s7
	v_add_co_u32_e32 v4, vcc, s0, v4
	v_add_u32_e32 v3, v1, v3
	v_addc_co_u32_e32 v5, vcc, v6, v5, vcc
	global_store_dwordx2 v[4:5], v[2:3], off offset:8
	v_mov_b32_e32 v2, s17
	v_add_co_u32_e32 v4, vcc, s16, v0
	v_addc_co_u32_e32 v5, vcc, 0, v2, vcc
	v_cmp_gt_i64_e32 vcc, s[10:11], v[4:5]
	s_and_saveexec_b64 s[0:1], vcc
	s_cbranch_execz .LBB250_15
; %bb.3:
	s_load_dwordx2 s[24:25], s[4:5], 0x30
	s_load_dwordx2 s[26:27], s[4:5], 0x48
	;; [unrolled: 1-line block ×3, first 2 shown]
	s_load_dword s3, s[4:5], 0x0
	s_load_dwordx2 s[28:29], s[4:5], 0x58
	v_mad_u64_u32 v[2:3], s[0:1], s2, v20, 0
	v_lshlrev_b64 v[6:7], 3, v[4:5]
	s_waitcnt lgkmcnt(0)
	s_cmp_eq_u32 s3, 0
	s_cselect_b64 s[0:1], -1, 0
	s_cmp_lg_u32 s3, 0
	s_cselect_b64 s[16:17], -1, 0
	s_add_u32 s18, s6, 32
	s_addc_u32 s19, s7, 0
	s_add_u32 s20, s6, 64
	s_addc_u32 s21, s7, 0
	v_add_u32_e32 v1, v3, v1
	s_add_u32 s22, s6, 0x60
	v_mov_b32_e32 v3, s25
	v_add_co_u32_e32 v6, vcc, s24, v6
	s_addc_u32 s23, s7, 0
	v_addc_co_u32_e32 v7, vcc, v3, v7, vcc
	s_lshl_b64 s[2:3], s[8:9], 4
	v_mov_b32_e32 v3, s3
	v_add_co_u32_e32 v2, vcc, s2, v2
	v_addc_co_u32_e32 v1, vcc, v1, v3, vcc
	v_lshlrev_b32_e32 v0, 2, v0
	v_add_co_u32_e32 v0, vcc, v2, v0
	v_addc_co_u32_e32 v1, vcc, 0, v1, vcc
	s_lshl_b64 s[2:3], s[14:15], 4
	v_mov_b32_e32 v2, s3
	v_subrev_co_u32_e32 v0, vcc, s2, v0
	v_subb_co_u32_e32 v1, vcc, v1, v2, vcc
	v_lshlrev_b64 v[0:1], 3, v[0:1]
	v_add_co_u32_e32 v2, vcc, 16, v0
	v_addc_co_u32_e32 v3, vcc, 0, v1, vcc
	v_mov_b32_e32 v0, s27
	v_add_co_u32_e32 v12, vcc, s26, v2
	v_addc_co_u32_e32 v13, vcc, v0, v3, vcc
	v_lshlrev_b64 v[0:1], 7, v[4:5]
	v_lshl_or_b32 v0, v20, 5, v0
	v_mov_b32_e32 v21, s7
	v_add_co_u32_e32 v0, vcc, s6, v0
	v_addc_co_u32_e32 v1, vcc, v1, v21, vcc
	v_add_co_u32_e32 v14, vcc, 24, v0
	v_addc_co_u32_e32 v15, vcc, 0, v1, vcc
	v_lshlrev_b64 v[8:9], 4, v[4:5]
	v_mov_b32_e32 v0, s29
	v_add_co_u32_e32 v16, vcc, s28, v2
	v_or_b32_e32 v10, v8, v20
	v_mov_b32_e32 v11, v9
	v_lshl_or_b32 v8, v20, 2, v8
	v_addc_co_u32_e32 v17, vcc, v0, v3, vcc
	s_mov_b64 s[8:9], 0
	v_mov_b32_e32 v22, s15
	v_mov_b32_e32 v23, s13
	v_cndmask_b32_e64 v24, 0, 1, s[16:17]
	s_branch .LBB250_5
.LBB250_4:                              ;   in Loop: Header=BB250_5 Depth=1
	global_load_dwordx2 v[0:1], v[0:1], off
	v_add_co_u32_e32 v4, vcc, 64, v4
	v_addc_co_u32_e32 v5, vcc, 0, v5, vcc
	v_add_co_u32_e32 v6, vcc, 0x200, v6
	v_addc_co_u32_e32 v7, vcc, 0, v7, vcc
	;; [unrolled: 2-line block ×4, first 2 shown]
	v_cmp_le_i64_e64 s[2:3], s[10:11], v[4:5]
	s_or_b64 s[8:9], s[2:3], s[8:9]
	s_waitcnt vmcnt(0)
	global_store_dwordx2 v[12:13], v[0:1], off offset:8
	v_add_co_u32_e32 v12, vcc, 0x800, v12
	v_addc_co_u32_e32 v13, vcc, 0, v13, vcc
	v_add_co_u32_e32 v14, vcc, 0x2000, v14
	v_addc_co_u32_e32 v15, vcc, 0, v15, vcc
	;; [unrolled: 2-line block ×3, first 2 shown]
	s_andn2_b64 exec, exec, s[8:9]
	s_cbranch_execz .LBB250_15
.LBB250_5:                              ; =>This Inner Loop Header: Depth=1
	global_load_dwordx2 v[0:1], v[6:7], off
	v_cndmask_b32_e64 v3, v11, v9, s[0:1]
	v_cndmask_b32_e64 v2, v10, v8, s[0:1]
	v_lshlrev_b64 v[2:3], 3, v[2:3]
	v_add_co_u32_e32 v2, vcc, s6, v2
	v_addc_co_u32_e32 v3, vcc, v21, v3, vcc
	global_load_dwordx2 v[2:3], v[2:3], off
	v_lshlrev_b64 v[18:19], 4, v[4:5]
	v_or_b32_e32 v18, v18, v20
	v_cmp_ne_u32_e64 s[2:3], 1, v24
	s_andn2_b64 vcc, exec, s[16:17]
	s_waitcnt vmcnt(1)
	v_subrev_co_u32_e64 v0, s[4:5], s14, v0
	v_subb_co_u32_e64 v1, s[4:5], v1, v22, s[4:5]
	v_lshlrev_b64 v[0:1], 2, v[0:1]
	v_add_co_u32_e64 v0, s[4:5], s12, v0
	v_addc_co_u32_e64 v1, s[4:5], v1, v23, s[4:5]
	s_waitcnt vmcnt(0)
	global_store_dwordx2 v[12:13], v[2:3], off offset:-16
	v_add_co_u32_e64 v2, s[4:5], 1, v0
	v_addc_co_u32_e64 v3, s[4:5], 0, v1, s[4:5]
	global_store_dwordx4 v[16:17], v[0:3], off offset:-16
	s_nop 0
	v_lshlrev_b64 v[2:3], 3, v[18:19]
	s_cbranch_vccnz .LBB250_7
; %bb.6:                                ;   in Loop: Header=BB250_5 Depth=1
	v_mov_b32_e32 v19, s19
	v_add_co_u32_e32 v18, vcc, s18, v2
	v_addc_co_u32_e32 v19, vcc, v19, v3, vcc
	s_cbranch_execz .LBB250_8
	s_branch .LBB250_9
.LBB250_7:                              ;   in Loop: Header=BB250_5 Depth=1
                                        ; implicit-def: $vgpr18_vgpr19
.LBB250_8:                              ;   in Loop: Header=BB250_5 Depth=1
	v_add_co_u32_e32 v18, vcc, -16, v14
	v_addc_co_u32_e32 v19, vcc, -1, v15, vcc
.LBB250_9:                              ;   in Loop: Header=BB250_5 Depth=1
	global_load_dwordx2 v[18:19], v[18:19], off
	v_add_co_u32_e32 v26, vcc, 2, v0
	v_addc_co_u32_e32 v27, vcc, 0, v1, vcc
	s_and_b64 vcc, exec, s[2:3]
	s_waitcnt vmcnt(0)
	global_store_dwordx2 v[12:13], v[18:19], off offset:-8
	global_store_dwordx2 v[16:17], v[26:27], off
	s_cbranch_vccnz .LBB250_11
; %bb.10:                               ;   in Loop: Header=BB250_5 Depth=1
	v_mov_b32_e32 v19, s21
	v_add_co_u32_e32 v18, vcc, s20, v2
	v_addc_co_u32_e32 v19, vcc, v19, v3, vcc
	s_cbranch_execz .LBB250_12
	s_branch .LBB250_13
.LBB250_11:                             ;   in Loop: Header=BB250_5 Depth=1
                                        ; implicit-def: $vgpr18_vgpr19
.LBB250_12:                             ;   in Loop: Header=BB250_5 Depth=1
	v_add_co_u32_e32 v18, vcc, -8, v14
	v_addc_co_u32_e32 v19, vcc, -1, v15, vcc
.LBB250_13:                             ;   in Loop: Header=BB250_5 Depth=1
	global_load_dwordx2 v[18:19], v[18:19], off
	v_add_co_u32_e32 v0, vcc, 3, v0
	v_addc_co_u32_e32 v1, vcc, 0, v1, vcc
	s_and_b64 vcc, exec, s[2:3]
	global_store_dwordx2 v[16:17], v[0:1], off offset:8
	s_waitcnt vmcnt(1)
	global_store_dwordx2 v[12:13], v[18:19], off
	v_pk_mov_b32 v[0:1], v[14:15], v[14:15] op_sel:[0,1]
	s_cbranch_vccnz .LBB250_4
; %bb.14:                               ;   in Loop: Header=BB250_5 Depth=1
	v_mov_b32_e32 v1, s23
	v_add_co_u32_e32 v0, vcc, s22, v2
	v_addc_co_u32_e32 v1, vcc, v1, v3, vcc
	s_branch .LBB250_4
.LBB250_15:
	s_endpgm
	.section	.rodata,"a",@progbits
	.p2align	6, 0x0
	.amdhsa_kernel _ZN9rocsparseL32bsr2csr_block_per_row_2_7_kernelILj256ELj4EdllEEv20rocsparse_direction_T3_S2_21rocsparse_index_base_PKT1_PKT2_PKS2_S2_S3_PS4_PS7_PS2_
		.amdhsa_group_segment_fixed_size 0
		.amdhsa_private_segment_fixed_size 0
		.amdhsa_kernarg_size 96
		.amdhsa_user_sgpr_count 6
		.amdhsa_user_sgpr_private_segment_buffer 1
		.amdhsa_user_sgpr_dispatch_ptr 0
		.amdhsa_user_sgpr_queue_ptr 0
		.amdhsa_user_sgpr_kernarg_segment_ptr 1
		.amdhsa_user_sgpr_dispatch_id 0
		.amdhsa_user_sgpr_flat_scratch_init 0
		.amdhsa_user_sgpr_kernarg_preload_length 0
		.amdhsa_user_sgpr_kernarg_preload_offset 0
		.amdhsa_user_sgpr_private_segment_size 0
		.amdhsa_uses_dynamic_stack 0
		.amdhsa_system_sgpr_private_segment_wavefront_offset 0
		.amdhsa_system_sgpr_workgroup_id_x 1
		.amdhsa_system_sgpr_workgroup_id_y 0
		.amdhsa_system_sgpr_workgroup_id_z 0
		.amdhsa_system_sgpr_workgroup_info 0
		.amdhsa_system_vgpr_workitem_id 0
		.amdhsa_next_free_vgpr 28
		.amdhsa_next_free_sgpr 30
		.amdhsa_accum_offset 28
		.amdhsa_reserve_vcc 1
		.amdhsa_reserve_flat_scratch 0
		.amdhsa_float_round_mode_32 0
		.amdhsa_float_round_mode_16_64 0
		.amdhsa_float_denorm_mode_32 3
		.amdhsa_float_denorm_mode_16_64 3
		.amdhsa_dx10_clamp 1
		.amdhsa_ieee_mode 1
		.amdhsa_fp16_overflow 0
		.amdhsa_tg_split 0
		.amdhsa_exception_fp_ieee_invalid_op 0
		.amdhsa_exception_fp_denorm_src 0
		.amdhsa_exception_fp_ieee_div_zero 0
		.amdhsa_exception_fp_ieee_overflow 0
		.amdhsa_exception_fp_ieee_underflow 0
		.amdhsa_exception_fp_ieee_inexact 0
		.amdhsa_exception_int_div_zero 0
	.end_amdhsa_kernel
	.section	.text._ZN9rocsparseL32bsr2csr_block_per_row_2_7_kernelILj256ELj4EdllEEv20rocsparse_direction_T3_S2_21rocsparse_index_base_PKT1_PKT2_PKS2_S2_S3_PS4_PS7_PS2_,"axG",@progbits,_ZN9rocsparseL32bsr2csr_block_per_row_2_7_kernelILj256ELj4EdllEEv20rocsparse_direction_T3_S2_21rocsparse_index_base_PKT1_PKT2_PKS2_S2_S3_PS4_PS7_PS2_,comdat
.Lfunc_end250:
	.size	_ZN9rocsparseL32bsr2csr_block_per_row_2_7_kernelILj256ELj4EdllEEv20rocsparse_direction_T3_S2_21rocsparse_index_base_PKT1_PKT2_PKS2_S2_S3_PS4_PS7_PS2_, .Lfunc_end250-_ZN9rocsparseL32bsr2csr_block_per_row_2_7_kernelILj256ELj4EdllEEv20rocsparse_direction_T3_S2_21rocsparse_index_base_PKT1_PKT2_PKS2_S2_S3_PS4_PS7_PS2_
                                        ; -- End function
	.section	.AMDGPU.csdata,"",@progbits
; Kernel info:
; codeLenInByte = 1016
; NumSgprs: 34
; NumVgprs: 28
; NumAgprs: 0
; TotalNumVgprs: 28
; ScratchSize: 0
; MemoryBound: 0
; FloatMode: 240
; IeeeMode: 1
; LDSByteSize: 0 bytes/workgroup (compile time only)
; SGPRBlocks: 4
; VGPRBlocks: 3
; NumSGPRsForWavesPerEU: 34
; NumVGPRsForWavesPerEU: 28
; AccumOffset: 28
; Occupancy: 8
; WaveLimiterHint : 0
; COMPUTE_PGM_RSRC2:SCRATCH_EN: 0
; COMPUTE_PGM_RSRC2:USER_SGPR: 6
; COMPUTE_PGM_RSRC2:TRAP_HANDLER: 0
; COMPUTE_PGM_RSRC2:TGID_X_EN: 1
; COMPUTE_PGM_RSRC2:TGID_Y_EN: 0
; COMPUTE_PGM_RSRC2:TGID_Z_EN: 0
; COMPUTE_PGM_RSRC2:TIDIG_COMP_CNT: 0
; COMPUTE_PGM_RSRC3_GFX90A:ACCUM_OFFSET: 6
; COMPUTE_PGM_RSRC3_GFX90A:TG_SPLIT: 0
	.section	.text._ZN9rocsparseL32bsr2csr_block_per_row_2_7_kernelILj256ELj5EdllEEv20rocsparse_direction_T3_S2_21rocsparse_index_base_PKT1_PKT2_PKS2_S2_S3_PS4_PS7_PS2_,"axG",@progbits,_ZN9rocsparseL32bsr2csr_block_per_row_2_7_kernelILj256ELj5EdllEEv20rocsparse_direction_T3_S2_21rocsparse_index_base_PKT1_PKT2_PKS2_S2_S3_PS4_PS7_PS2_,comdat
	.globl	_ZN9rocsparseL32bsr2csr_block_per_row_2_7_kernelILj256ELj5EdllEEv20rocsparse_direction_T3_S2_21rocsparse_index_base_PKT1_PKT2_PKS2_S2_S3_PS4_PS7_PS2_ ; -- Begin function _ZN9rocsparseL32bsr2csr_block_per_row_2_7_kernelILj256ELj5EdllEEv20rocsparse_direction_T3_S2_21rocsparse_index_base_PKT1_PKT2_PKS2_S2_S3_PS4_PS7_PS2_
	.p2align	8
	.type	_ZN9rocsparseL32bsr2csr_block_per_row_2_7_kernelILj256ELj5EdllEEv20rocsparse_direction_T3_S2_21rocsparse_index_base_PKT1_PKT2_PKS2_S2_S3_PS4_PS7_PS2_,@function
_ZN9rocsparseL32bsr2csr_block_per_row_2_7_kernelILj256ELj5EdllEEv20rocsparse_direction_T3_S2_21rocsparse_index_base_PKT1_PKT2_PKS2_S2_S3_PS4_PS7_PS2_: ; @_ZN9rocsparseL32bsr2csr_block_per_row_2_7_kernelILj256ELj5EdllEEv20rocsparse_direction_T3_S2_21rocsparse_index_base_PKT1_PKT2_PKS2_S2_S3_PS4_PS7_PS2_
; %bb.0:
	s_load_dwordx2 s[2:3], s[4:5], 0x28
	s_load_dword s12, s[4:5], 0x40
	s_load_dwordx2 s[0:1], s[4:5], 0x50
	s_mov_b32 s7, 0
	s_lshl_b64 s[8:9], s[6:7], 3
	s_waitcnt lgkmcnt(0)
	s_add_u32 s2, s2, s8
	v_or_b32_e32 v1, s6, v0
	s_addc_u32 s3, s3, s9
	v_cmp_eq_u32_e32 vcc, 0, v1
	s_and_saveexec_b64 s[8:9], vcc
	s_cbranch_execz .LBB251_2
; %bb.1:
	v_mov_b32_e32 v2, s12
	v_mov_b32_e32 v3, 0
	global_store_dwordx2 v3, v[2:3], s[0:1]
.LBB251_2:
	s_or_b64 exec, exec, s[8:9]
	v_and_b32_e32 v10, 7, v0
	v_cmp_gt_u32_e32 vcc, 5, v10
	s_and_saveexec_b64 s[8:9], vcc
	s_cbranch_execz .LBB251_6
; %bb.3:
	s_load_dwordx4 s[8:11], s[2:3], 0x0
	s_load_dword s14, s[4:5], 0x18
	v_lshrrev_b32_e32 v8, 3, v0
	v_lshlrev_b32_e32 v0, 3, v10
	s_mov_b32 s2, 0
	s_waitcnt lgkmcnt(0)
	s_sub_u32 s7, s8, s14
	s_subb_u32 s15, s9, 0
	s_sub_u32 s10, s10, s14
	s_mul_i32 s3, s15, 25
	s_mul_hi_u32 s13, s7, 25
	s_subb_u32 s11, s11, 0
	s_add_i32 s17, s13, s3
	s_sub_u32 s3, s10, s7
	s_subb_u32 s13, s11, s15
	s_mul_i32 s13, s13, 5
	s_mul_hi_u32 s18, s3, 5
	s_add_i32 s18, s18, s13
	s_mul_i32 s3, s3, 5
	s_add_u32 s19, s3, s12
	s_mul_i32 s16, s7, 25
	v_mul_lo_u32 v1, s18, v10
	s_addc_u32 s18, s18, 0
	s_add_u32 s16, s19, s16
	s_addc_u32 s17, s18, s17
	v_pk_mov_b32 v[2:3], s[16:17], s[16:17] op_sel:[0,1]
	v_mad_u64_u32 v[2:3], s[16:17], s3, v10, v[2:3]
	s_mul_hi_u32 s16, s6, 40
	s_mul_i32 s6, s6, 40
	s_add_u32 s0, s0, s6
	v_add_u32_e32 v3, v1, v3
	s_addc_u32 s1, s1, s16
	global_store_dwordx2 v0, v[2:3], s[0:1] offset:8
	v_mov_b32_e32 v3, s15
	v_add_co_u32_e32 v2, vcc, s7, v8
	v_addc_co_u32_e32 v3, vcc, 0, v3, vcc
	v_cmp_gt_i64_e32 vcc, s[10:11], v[2:3]
	s_and_b64 exec, exec, vcc
	s_cbranch_execz .LBB251_6
; %bb.4:
	s_load_dwordx2 s[6:7], s[4:5], 0x30
	s_load_dwordx2 s[16:17], s[4:5], 0x48
	;; [unrolled: 1-line block ×3, first 2 shown]
	s_load_dword s15, s[4:5], 0x0
	s_load_dwordx2 s[20:21], s[4:5], 0x58
	v_mad_u64_u32 v[12:13], s[0:1], s3, v10, 0
	s_movk_i32 s3, 0xc8
	s_waitcnt lgkmcnt(0)
	v_pk_mov_b32 v[6:7], s[18:19], s[18:19] op_sel:[0,1]
	v_mad_u64_u32 v[6:7], s[4:5], v2, s3, v[6:7]
	v_add_u32_e32 v13, v13, v1
	v_lshlrev_b64 v[4:5], 3, v[2:3]
	v_mov_b32_e32 v14, v7
	v_mov_b32_e32 v1, s7
	v_add_co_u32_e32 v4, vcc, s6, v4
	v_mad_u64_u32 v[14:15], s[4:5], v3, s3, v[14:15]
	v_mad_u64_u32 v[12:13], s[4:5], s8, 25, v[12:13]
	v_addc_co_u32_e32 v5, vcc, v1, v5, vcc
	v_mov_b32_e32 v1, v14
	v_mov_b32_e32 v14, v13
	v_mad_u64_u32 v[14:15], s[4:5], s9, 25, v[14:15]
	v_mov_b32_e32 v13, v14
	v_mad_u64_u32 v[8:9], s[4:5], v8, 5, v[12:13]
	s_mul_hi_u32 s3, s14, 25
	s_mul_i32 s4, s14, 25
	v_mov_b32_e32 v7, s3
	v_subrev_co_u32_e32 v8, vcc, s4, v8
	v_subb_co_u32_e32 v9, vcc, v9, v7, vcc
	v_lshlrev_b64 v[8:9], 3, v[8:9]
	v_add_co_u32_e32 v11, vcc, 16, v8
	v_addc_co_u32_e32 v13, vcc, 0, v9, vcc
	v_mov_b32_e32 v7, s17
	v_add_co_u32_e32 v8, vcc, s16, v11
	v_addc_co_u32_e32 v9, vcc, v7, v13, vcc
	s_cmp_eq_u32 s15, 0
	v_mov_b32_e32 v14, s21
	v_add_co_u32_e32 v12, vcc, s20, v11
	s_mov_b32 s13, s2
	s_cselect_b64 s[0:1], -1, 0
	v_mul_hi_u32_u24_e32 v7, 40, v10
	v_mul_u32_u24_e32 v10, 40, v10
	v_addc_co_u32_e32 v13, vcc, v14, v13, vcc
	s_mov_b64 s[8:9], 0
	v_mov_b32_e32 v11, s2
	s_movk_i32 s15, 0x50
	s_movk_i32 s16, 0x78
	;; [unrolled: 1-line block ×5, first 2 shown]
.LBB251_5:                              ; =>This Inner Loop Header: Depth=1
	v_add_co_u32_e32 v16, vcc, v6, v0
	v_addc_co_u32_e32 v17, vcc, 0, v1, vcc
	v_add_co_u32_e32 v18, vcc, v6, v10
	v_addc_co_u32_e32 v19, vcc, v1, v7, vcc
	;; [unrolled: 2-line block ×8, first 2 shown]
	v_cndmask_b32_e64 v14, v16, v18, s[0:1]
	v_add_co_u32_e32 v18, vcc, 32, v18
	v_cndmask_b32_e64 v15, v17, v19, s[0:1]
	v_addc_co_u32_e32 v19, vcc, 0, v19, vcc
	global_load_dwordx2 v[22:23], v[4:5], off
	v_add_co_u32_e32 v16, vcc, s17, v16
	v_addc_co_u32_e32 v17, vcc, 0, v17, vcc
	v_cndmask_b32_e64 v25, v25, v21, s[0:1]
	v_cndmask_b32_e64 v24, v24, v20, s[0:1]
	global_load_dwordx2 v[14:15], v[14:15], off
	v_cndmask_b32_e64 v27, v29, v27, s[0:1]
	v_cndmask_b32_e64 v26, v28, v26, s[0:1]
	;; [unrolled: 1-line block ×6, first 2 shown]
	global_load_dwordx2 v[16:17], v[24:25], off
	global_load_dwordx2 v[18:19], v[26:27], off
	global_load_dwordx2 v[20:21], v[28:29], off
	global_load_dwordx2 v[32:33], v[30:31], off
	v_add_co_u32_e32 v2, vcc, 32, v2
	v_addc_co_u32_e32 v3, vcc, 0, v3, vcc
	v_add_co_u32_e32 v4, vcc, s18, v4
	v_addc_co_u32_e32 v5, vcc, 0, v5, vcc
	;; [unrolled: 2-line block ×3, first 2 shown]
	v_cmp_le_i64_e64 s[2:3], s[10:11], v[2:3]
	s_or_b64 s[8:9], s[2:3], s[8:9]
	s_waitcnt vmcnt(3)
	global_store_dwordx4 v[8:9], v[14:17], off offset:-16
	s_waitcnt vmcnt(2)
	global_store_dwordx4 v[8:9], v[18:21], off
	s_waitcnt vmcnt(2)
	global_store_dwordx2 v[8:9], v[32:33], off offset:16
	v_subrev_co_u32_e32 v22, vcc, s14, v22
	v_subb_co_u32_e32 v23, vcc, v23, v11, vcc
	v_mad_u64_u32 v[24:25], s[2:3], v22, 5, s[12:13]
	v_mov_b32_e32 v26, v25
	v_add_co_u32_e32 v8, vcc, 0x500, v8
	v_mad_u64_u32 v[26:27], s[2:3], v23, 5, v[26:27]
	v_addc_co_u32_e32 v9, vcc, 0, v9, vcc
	v_mov_b32_e32 v22, v24
	v_mov_b32_e32 v19, v26
	v_add_co_u32_e64 v14, s[2:3], 2, v24
	v_add_co_u32_e64 v16, s[4:5], 3, v24
	;; [unrolled: 1-line block ×3, first 2 shown]
	v_add_co_u32_e32 v24, vcc, 1, v24
	v_mov_b32_e32 v23, v26
	v_addc_co_u32_e32 v25, vcc, 0, v19, vcc
	v_addc_co_u32_e64 v15, vcc, 0, v19, s[2:3]
	v_addc_co_u32_e64 v17, vcc, 0, v19, s[4:5]
	;; [unrolled: 1-line block ×3, first 2 shown]
	global_store_dwordx4 v[12:13], v[22:25], off offset:-16
	global_store_dwordx4 v[12:13], v[14:17], off
	global_store_dwordx2 v[12:13], v[18:19], off offset:16
	v_add_co_u32_e32 v12, vcc, 0x500, v12
	v_addc_co_u32_e32 v13, vcc, 0, v13, vcc
	s_andn2_b64 exec, exec, s[8:9]
	s_cbranch_execnz .LBB251_5
.LBB251_6:
	s_endpgm
	.section	.rodata,"a",@progbits
	.p2align	6, 0x0
	.amdhsa_kernel _ZN9rocsparseL32bsr2csr_block_per_row_2_7_kernelILj256ELj5EdllEEv20rocsparse_direction_T3_S2_21rocsparse_index_base_PKT1_PKT2_PKS2_S2_S3_PS4_PS7_PS2_
		.amdhsa_group_segment_fixed_size 0
		.amdhsa_private_segment_fixed_size 0
		.amdhsa_kernarg_size 96
		.amdhsa_user_sgpr_count 6
		.amdhsa_user_sgpr_private_segment_buffer 1
		.amdhsa_user_sgpr_dispatch_ptr 0
		.amdhsa_user_sgpr_queue_ptr 0
		.amdhsa_user_sgpr_kernarg_segment_ptr 1
		.amdhsa_user_sgpr_dispatch_id 0
		.amdhsa_user_sgpr_flat_scratch_init 0
		.amdhsa_user_sgpr_kernarg_preload_length 0
		.amdhsa_user_sgpr_kernarg_preload_offset 0
		.amdhsa_user_sgpr_private_segment_size 0
		.amdhsa_uses_dynamic_stack 0
		.amdhsa_system_sgpr_private_segment_wavefront_offset 0
		.amdhsa_system_sgpr_workgroup_id_x 1
		.amdhsa_system_sgpr_workgroup_id_y 0
		.amdhsa_system_sgpr_workgroup_id_z 0
		.amdhsa_system_sgpr_workgroup_info 0
		.amdhsa_system_vgpr_workitem_id 0
		.amdhsa_next_free_vgpr 34
		.amdhsa_next_free_sgpr 22
		.amdhsa_accum_offset 36
		.amdhsa_reserve_vcc 1
		.amdhsa_reserve_flat_scratch 0
		.amdhsa_float_round_mode_32 0
		.amdhsa_float_round_mode_16_64 0
		.amdhsa_float_denorm_mode_32 3
		.amdhsa_float_denorm_mode_16_64 3
		.amdhsa_dx10_clamp 1
		.amdhsa_ieee_mode 1
		.amdhsa_fp16_overflow 0
		.amdhsa_tg_split 0
		.amdhsa_exception_fp_ieee_invalid_op 0
		.amdhsa_exception_fp_denorm_src 0
		.amdhsa_exception_fp_ieee_div_zero 0
		.amdhsa_exception_fp_ieee_overflow 0
		.amdhsa_exception_fp_ieee_underflow 0
		.amdhsa_exception_fp_ieee_inexact 0
		.amdhsa_exception_int_div_zero 0
	.end_amdhsa_kernel
	.section	.text._ZN9rocsparseL32bsr2csr_block_per_row_2_7_kernelILj256ELj5EdllEEv20rocsparse_direction_T3_S2_21rocsparse_index_base_PKT1_PKT2_PKS2_S2_S3_PS4_PS7_PS2_,"axG",@progbits,_ZN9rocsparseL32bsr2csr_block_per_row_2_7_kernelILj256ELj5EdllEEv20rocsparse_direction_T3_S2_21rocsparse_index_base_PKT1_PKT2_PKS2_S2_S3_PS4_PS7_PS2_,comdat
.Lfunc_end251:
	.size	_ZN9rocsparseL32bsr2csr_block_per_row_2_7_kernelILj256ELj5EdllEEv20rocsparse_direction_T3_S2_21rocsparse_index_base_PKT1_PKT2_PKS2_S2_S3_PS4_PS7_PS2_, .Lfunc_end251-_ZN9rocsparseL32bsr2csr_block_per_row_2_7_kernelILj256ELj5EdllEEv20rocsparse_direction_T3_S2_21rocsparse_index_base_PKT1_PKT2_PKS2_S2_S3_PS4_PS7_PS2_
                                        ; -- End function
	.section	.AMDGPU.csdata,"",@progbits
; Kernel info:
; codeLenInByte = 964
; NumSgprs: 26
; NumVgprs: 34
; NumAgprs: 0
; TotalNumVgprs: 34
; ScratchSize: 0
; MemoryBound: 0
; FloatMode: 240
; IeeeMode: 1
; LDSByteSize: 0 bytes/workgroup (compile time only)
; SGPRBlocks: 3
; VGPRBlocks: 4
; NumSGPRsForWavesPerEU: 26
; NumVGPRsForWavesPerEU: 34
; AccumOffset: 36
; Occupancy: 8
; WaveLimiterHint : 0
; COMPUTE_PGM_RSRC2:SCRATCH_EN: 0
; COMPUTE_PGM_RSRC2:USER_SGPR: 6
; COMPUTE_PGM_RSRC2:TRAP_HANDLER: 0
; COMPUTE_PGM_RSRC2:TGID_X_EN: 1
; COMPUTE_PGM_RSRC2:TGID_Y_EN: 0
; COMPUTE_PGM_RSRC2:TGID_Z_EN: 0
; COMPUTE_PGM_RSRC2:TIDIG_COMP_CNT: 0
; COMPUTE_PGM_RSRC3_GFX90A:ACCUM_OFFSET: 8
; COMPUTE_PGM_RSRC3_GFX90A:TG_SPLIT: 0
	.section	.text._ZN9rocsparseL32bsr2csr_block_per_row_2_7_kernelILj256ELj6EdllEEv20rocsparse_direction_T3_S2_21rocsparse_index_base_PKT1_PKT2_PKS2_S2_S3_PS4_PS7_PS2_,"axG",@progbits,_ZN9rocsparseL32bsr2csr_block_per_row_2_7_kernelILj256ELj6EdllEEv20rocsparse_direction_T3_S2_21rocsparse_index_base_PKT1_PKT2_PKS2_S2_S3_PS4_PS7_PS2_,comdat
	.globl	_ZN9rocsparseL32bsr2csr_block_per_row_2_7_kernelILj256ELj6EdllEEv20rocsparse_direction_T3_S2_21rocsparse_index_base_PKT1_PKT2_PKS2_S2_S3_PS4_PS7_PS2_ ; -- Begin function _ZN9rocsparseL32bsr2csr_block_per_row_2_7_kernelILj256ELj6EdllEEv20rocsparse_direction_T3_S2_21rocsparse_index_base_PKT1_PKT2_PKS2_S2_S3_PS4_PS7_PS2_
	.p2align	8
	.type	_ZN9rocsparseL32bsr2csr_block_per_row_2_7_kernelILj256ELj6EdllEEv20rocsparse_direction_T3_S2_21rocsparse_index_base_PKT1_PKT2_PKS2_S2_S3_PS4_PS7_PS2_,@function
_ZN9rocsparseL32bsr2csr_block_per_row_2_7_kernelILj256ELj6EdllEEv20rocsparse_direction_T3_S2_21rocsparse_index_base_PKT1_PKT2_PKS2_S2_S3_PS4_PS7_PS2_: ; @_ZN9rocsparseL32bsr2csr_block_per_row_2_7_kernelILj256ELj6EdllEEv20rocsparse_direction_T3_S2_21rocsparse_index_base_PKT1_PKT2_PKS2_S2_S3_PS4_PS7_PS2_
; %bb.0:
	s_load_dwordx2 s[2:3], s[4:5], 0x28
	s_load_dword s12, s[4:5], 0x40
	s_load_dwordx2 s[0:1], s[4:5], 0x50
	s_mov_b32 s7, 0
	s_lshl_b64 s[8:9], s[6:7], 3
	s_waitcnt lgkmcnt(0)
	s_add_u32 s2, s2, s8
	v_or_b32_e32 v1, s6, v0
	s_addc_u32 s3, s3, s9
	v_cmp_eq_u32_e32 vcc, 0, v1
	s_and_saveexec_b64 s[8:9], vcc
	s_cbranch_execz .LBB252_2
; %bb.1:
	v_mov_b32_e32 v2, s12
	v_mov_b32_e32 v3, 0
	global_store_dwordx2 v3, v[2:3], s[0:1]
.LBB252_2:
	s_or_b64 exec, exec, s[8:9]
	v_and_b32_e32 v2, 7, v0
	v_cmp_gt_u32_e32 vcc, 6, v2
	s_and_saveexec_b64 s[8:9], vcc
	s_cbranch_execz .LBB252_6
; %bb.3:
	s_load_dwordx4 s[8:11], s[2:3], 0x0
	s_load_dword s16, s[4:5], 0x18
	v_lshrrev_b32_e32 v8, 3, v0
	v_lshlrev_b32_e32 v6, 3, v2
	s_mov_b32 s2, 0
	v_mov_b32_e32 v7, 0
	s_waitcnt lgkmcnt(0)
	s_sub_u32 s7, s8, s16
	s_subb_u32 s17, s9, 0
	s_sub_u32 s10, s10, s16
	s_mul_i32 s3, s17, 36
	s_mul_hi_u32 s13, s7, 36
	s_subb_u32 s11, s11, 0
	s_add_i32 s15, s13, s3
	s_sub_u32 s3, s10, s7
	s_subb_u32 s13, s11, s17
	s_mul_i32 s13, s13, 6
	s_mul_hi_u32 s18, s3, 6
	s_add_i32 s18, s18, s13
	s_mul_i32 s3, s3, 6
	s_add_u32 s19, s3, s12
	s_mul_i32 s14, s7, 36
	v_mul_lo_u32 v3, s18, v2
	s_addc_u32 s18, s18, 0
	s_add_u32 s14, s19, s14
	s_addc_u32 s15, s18, s15
	v_pk_mov_b32 v[0:1], s[14:15], s[14:15] op_sel:[0,1]
	v_mad_u64_u32 v[0:1], s[14:15], s3, v2, v[0:1]
	s_mul_hi_u32 s14, s6, 48
	s_mul_i32 s6, s6, 48
	s_add_u32 s0, s0, s6
	v_add_u32_e32 v1, v3, v1
	s_addc_u32 s1, s1, s14
	global_store_dwordx2 v6, v[0:1], s[0:1] offset:8
	v_mov_b32_e32 v1, s17
	v_add_co_u32_e32 v0, vcc, s7, v8
	v_addc_co_u32_e32 v1, vcc, 0, v1, vcc
	v_cmp_gt_i64_e32 vcc, s[10:11], v[0:1]
	s_and_b64 exec, exec, vcc
	s_cbranch_execz .LBB252_6
; %bb.4:
	v_mad_u64_u32 v[10:11], s[0:1], s3, v2, 0
	s_movk_i32 s3, 0x120
	s_load_dwordx2 s[6:7], s[4:5], 0x30
	s_load_dwordx2 s[14:15], s[4:5], 0x48
	;; [unrolled: 1-line block ×3, first 2 shown]
	s_load_dword s17, s[4:5], 0x0
	s_load_dwordx2 s[20:21], s[4:5], 0x58
	v_mad_u64_u32 v[6:7], s[4:5], v0, s3, v[6:7]
	v_add_u32_e32 v11, v11, v3
	v_mov_b32_e32 v12, v7
	v_lshlrev_b64 v[4:5], 3, v[0:1]
	v_mad_u64_u32 v[12:13], s[4:5], v1, s3, v[12:13]
	v_mad_u64_u32 v[10:11], s[4:5], s8, 36, v[10:11]
	s_waitcnt lgkmcnt(0)
	v_mov_b32_e32 v9, s7
	v_add_co_u32_e32 v4, vcc, s6, v4
	v_mov_b32_e32 v7, v12
	v_mov_b32_e32 v12, v11
	v_addc_co_u32_e32 v5, vcc, v9, v5, vcc
	v_mad_u64_u32 v[12:13], s[4:5], s9, 36, v[12:13]
	v_mov_b32_e32 v9, s19
	v_add_co_u32_e32 v6, vcc, s18, v6
	v_mov_b32_e32 v11, v12
	v_addc_co_u32_e32 v7, vcc, v9, v7, vcc
	v_mad_u64_u32 v[8:9], s[4:5], v8, 6, v[10:11]
	s_mul_hi_u32 s3, s16, 36
	s_mul_i32 s4, s16, 36
	v_mov_b32_e32 v10, s3
	v_subrev_co_u32_e32 v8, vcc, s4, v8
	v_subb_co_u32_e32 v9, vcc, v9, v10, vcc
	v_lshlrev_b64 v[8:9], 3, v[8:9]
	v_add_co_u32_e32 v10, vcc, 24, v8
	v_addc_co_u32_e32 v11, vcc, 0, v9, vcc
	v_mov_b32_e32 v9, s15
	v_add_co_u32_e32 v8, vcc, s14, v10
	v_addc_co_u32_e32 v9, vcc, v9, v11, vcc
	s_cmp_eq_u32 s17, 0
	v_mov_b32_e32 v12, s21
	v_add_co_u32_e32 v10, vcc, s20, v10
	s_mov_b32 s13, s2
	s_cselect_b64 s[0:1], -1, 0
	v_mul_hi_u32_u24_e32 v3, 40, v2
	v_mul_u32_u24_e32 v2, 40, v2
	v_addc_co_u32_e32 v11, vcc, v12, v11, vcc
	s_mov_b64 s[14:15], 0
	v_mov_b32_e32 v12, s2
	s_movk_i32 s17, 0x60
	s_movk_i32 s18, 0x90
	;; [unrolled: 1-line block ×6, first 2 shown]
.LBB252_5:                              ; =>This Inner Loop Header: Depth=1
	v_add_co_u32_e32 v13, vcc, v6, v2
	v_addc_co_u32_e32 v16, vcc, v7, v3, vcc
	v_add_co_u32_e32 v17, vcc, 48, v6
	v_addc_co_u32_e32 v18, vcc, 0, v7, vcc
	;; [unrolled: 2-line block ×10, first 2 shown]
	global_load_dwordx2 v[26:27], v[4:5], off
	v_cndmask_b32_e64 v14, v6, v13, s[0:1]
	v_add_co_u32_e32 v13, vcc, 40, v13
	v_cndmask_b32_e64 v15, v7, v16, s[0:1]
	v_addc_co_u32_e32 v16, vcc, 0, v16, vcc
	v_cndmask_b32_e64 v29, v18, v29, s[0:1]
	v_cndmask_b32_e64 v28, v17, v28, s[0:1]
	global_load_dwordx2 v[14:15], v[14:15], off
	v_cndmask_b32_e64 v31, v20, v31, s[0:1]
	v_cndmask_b32_e64 v30, v19, v30, s[0:1]
	;; [unrolled: 1-line block ×8, first 2 shown]
	global_load_dwordx2 v[16:17], v[28:29], off
	global_load_dwordx2 v[18:19], v[30:31], off
	global_load_dwordx2 v[20:21], v[32:33], off
	global_load_dwordx2 v[22:23], v[34:35], off
	global_load_dwordx2 v[24:25], v[36:37], off
	v_add_co_u32_e32 v0, vcc, 32, v0
	v_addc_co_u32_e32 v1, vcc, 0, v1, vcc
	v_add_co_u32_e32 v4, vcc, s21, v4
	v_addc_co_u32_e32 v5, vcc, 0, v5, vcc
	;; [unrolled: 2-line block ×3, first 2 shown]
	v_cmp_le_i64_e64 s[2:3], s[10:11], v[0:1]
	s_or_b64 s[14:15], s[2:3], s[14:15]
	s_waitcnt vmcnt(4)
	global_store_dwordx4 v[8:9], v[14:17], off offset:-24
	s_waitcnt vmcnt(3)
	global_store_dwordx4 v[8:9], v[18:21], off offset:-8
	s_waitcnt vmcnt(2)
	global_store_dwordx4 v[8:9], v[22:25], off offset:8
	v_subrev_co_u32_e32 v13, vcc, s16, v26
	v_subb_co_u32_e32 v27, vcc, v27, v12, vcc
	v_mad_u64_u32 v[28:29], s[2:3], v13, 6, s[12:13]
	v_mov_b32_e32 v30, v29
	v_add_co_u32_e32 v8, vcc, 0x600, v8
	v_mad_u64_u32 v[30:31], s[2:3], v27, 6, v[30:31]
	v_addc_co_u32_e32 v9, vcc, 0, v9, vcc
	v_mov_b32_e32 v26, v28
	v_mov_b32_e32 v13, v30
	v_add_co_u32_e64 v14, s[2:3], 2, v28
	v_add_co_u32_e64 v16, s[4:5], 3, v28
	;; [unrolled: 1-line block ×4, first 2 shown]
	v_add_co_u32_e32 v28, vcc, 1, v28
	v_mov_b32_e32 v27, v30
	v_addc_co_u32_e32 v29, vcc, 0, v13, vcc
	v_addc_co_u32_e64 v15, vcc, 0, v13, s[2:3]
	v_addc_co_u32_e64 v17, vcc, 0, v13, s[4:5]
	;; [unrolled: 1-line block ×4, first 2 shown]
	global_store_dwordx4 v[10:11], v[26:29], off offset:-24
	global_store_dwordx4 v[10:11], v[14:17], off offset:-8
	global_store_dwordx4 v[10:11], v[18:21], off offset:8
	v_add_co_u32_e32 v10, vcc, 0x600, v10
	v_addc_co_u32_e32 v11, vcc, 0, v11, vcc
	s_andn2_b64 exec, exec, s[14:15]
	s_cbranch_execnz .LBB252_5
.LBB252_6:
	s_endpgm
	.section	.rodata,"a",@progbits
	.p2align	6, 0x0
	.amdhsa_kernel _ZN9rocsparseL32bsr2csr_block_per_row_2_7_kernelILj256ELj6EdllEEv20rocsparse_direction_T3_S2_21rocsparse_index_base_PKT1_PKT2_PKS2_S2_S3_PS4_PS7_PS2_
		.amdhsa_group_segment_fixed_size 0
		.amdhsa_private_segment_fixed_size 0
		.amdhsa_kernarg_size 96
		.amdhsa_user_sgpr_count 6
		.amdhsa_user_sgpr_private_segment_buffer 1
		.amdhsa_user_sgpr_dispatch_ptr 0
		.amdhsa_user_sgpr_queue_ptr 0
		.amdhsa_user_sgpr_kernarg_segment_ptr 1
		.amdhsa_user_sgpr_dispatch_id 0
		.amdhsa_user_sgpr_flat_scratch_init 0
		.amdhsa_user_sgpr_kernarg_preload_length 0
		.amdhsa_user_sgpr_kernarg_preload_offset 0
		.amdhsa_user_sgpr_private_segment_size 0
		.amdhsa_uses_dynamic_stack 0
		.amdhsa_system_sgpr_private_segment_wavefront_offset 0
		.amdhsa_system_sgpr_workgroup_id_x 1
		.amdhsa_system_sgpr_workgroup_id_y 0
		.amdhsa_system_sgpr_workgroup_id_z 0
		.amdhsa_system_sgpr_workgroup_info 0
		.amdhsa_system_vgpr_workitem_id 0
		.amdhsa_next_free_vgpr 38
		.amdhsa_next_free_sgpr 23
		.amdhsa_accum_offset 40
		.amdhsa_reserve_vcc 1
		.amdhsa_reserve_flat_scratch 0
		.amdhsa_float_round_mode_32 0
		.amdhsa_float_round_mode_16_64 0
		.amdhsa_float_denorm_mode_32 3
		.amdhsa_float_denorm_mode_16_64 3
		.amdhsa_dx10_clamp 1
		.amdhsa_ieee_mode 1
		.amdhsa_fp16_overflow 0
		.amdhsa_tg_split 0
		.amdhsa_exception_fp_ieee_invalid_op 0
		.amdhsa_exception_fp_denorm_src 0
		.amdhsa_exception_fp_ieee_div_zero 0
		.amdhsa_exception_fp_ieee_overflow 0
		.amdhsa_exception_fp_ieee_underflow 0
		.amdhsa_exception_fp_ieee_inexact 0
		.amdhsa_exception_int_div_zero 0
	.end_amdhsa_kernel
	.section	.text._ZN9rocsparseL32bsr2csr_block_per_row_2_7_kernelILj256ELj6EdllEEv20rocsparse_direction_T3_S2_21rocsparse_index_base_PKT1_PKT2_PKS2_S2_S3_PS4_PS7_PS2_,"axG",@progbits,_ZN9rocsparseL32bsr2csr_block_per_row_2_7_kernelILj256ELj6EdllEEv20rocsparse_direction_T3_S2_21rocsparse_index_base_PKT1_PKT2_PKS2_S2_S3_PS4_PS7_PS2_,comdat
.Lfunc_end252:
	.size	_ZN9rocsparseL32bsr2csr_block_per_row_2_7_kernelILj256ELj6EdllEEv20rocsparse_direction_T3_S2_21rocsparse_index_base_PKT1_PKT2_PKS2_S2_S3_PS4_PS7_PS2_, .Lfunc_end252-_ZN9rocsparseL32bsr2csr_block_per_row_2_7_kernelILj256ELj6EdllEEv20rocsparse_direction_T3_S2_21rocsparse_index_base_PKT1_PKT2_PKS2_S2_S3_PS4_PS7_PS2_
                                        ; -- End function
	.section	.AMDGPU.csdata,"",@progbits
; Kernel info:
; codeLenInByte = 1024
; NumSgprs: 27
; NumVgprs: 38
; NumAgprs: 0
; TotalNumVgprs: 38
; ScratchSize: 0
; MemoryBound: 0
; FloatMode: 240
; IeeeMode: 1
; LDSByteSize: 0 bytes/workgroup (compile time only)
; SGPRBlocks: 3
; VGPRBlocks: 4
; NumSGPRsForWavesPerEU: 27
; NumVGPRsForWavesPerEU: 38
; AccumOffset: 40
; Occupancy: 8
; WaveLimiterHint : 0
; COMPUTE_PGM_RSRC2:SCRATCH_EN: 0
; COMPUTE_PGM_RSRC2:USER_SGPR: 6
; COMPUTE_PGM_RSRC2:TRAP_HANDLER: 0
; COMPUTE_PGM_RSRC2:TGID_X_EN: 1
; COMPUTE_PGM_RSRC2:TGID_Y_EN: 0
; COMPUTE_PGM_RSRC2:TGID_Z_EN: 0
; COMPUTE_PGM_RSRC2:TIDIG_COMP_CNT: 0
; COMPUTE_PGM_RSRC3_GFX90A:ACCUM_OFFSET: 9
; COMPUTE_PGM_RSRC3_GFX90A:TG_SPLIT: 0
	.section	.text._ZN9rocsparseL32bsr2csr_block_per_row_2_7_kernelILj256ELj7EdllEEv20rocsparse_direction_T3_S2_21rocsparse_index_base_PKT1_PKT2_PKS2_S2_S3_PS4_PS7_PS2_,"axG",@progbits,_ZN9rocsparseL32bsr2csr_block_per_row_2_7_kernelILj256ELj7EdllEEv20rocsparse_direction_T3_S2_21rocsparse_index_base_PKT1_PKT2_PKS2_S2_S3_PS4_PS7_PS2_,comdat
	.globl	_ZN9rocsparseL32bsr2csr_block_per_row_2_7_kernelILj256ELj7EdllEEv20rocsparse_direction_T3_S2_21rocsparse_index_base_PKT1_PKT2_PKS2_S2_S3_PS4_PS7_PS2_ ; -- Begin function _ZN9rocsparseL32bsr2csr_block_per_row_2_7_kernelILj256ELj7EdllEEv20rocsparse_direction_T3_S2_21rocsparse_index_base_PKT1_PKT2_PKS2_S2_S3_PS4_PS7_PS2_
	.p2align	8
	.type	_ZN9rocsparseL32bsr2csr_block_per_row_2_7_kernelILj256ELj7EdllEEv20rocsparse_direction_T3_S2_21rocsparse_index_base_PKT1_PKT2_PKS2_S2_S3_PS4_PS7_PS2_,@function
_ZN9rocsparseL32bsr2csr_block_per_row_2_7_kernelILj256ELj7EdllEEv20rocsparse_direction_T3_S2_21rocsparse_index_base_PKT1_PKT2_PKS2_S2_S3_PS4_PS7_PS2_: ; @_ZN9rocsparseL32bsr2csr_block_per_row_2_7_kernelILj256ELj7EdllEEv20rocsparse_direction_T3_S2_21rocsparse_index_base_PKT1_PKT2_PKS2_S2_S3_PS4_PS7_PS2_
; %bb.0:
	s_load_dwordx2 s[2:3], s[4:5], 0x28
	s_load_dword s12, s[4:5], 0x40
	s_load_dwordx2 s[0:1], s[4:5], 0x50
	s_mov_b32 s7, 0
	s_lshl_b64 s[8:9], s[6:7], 3
	s_waitcnt lgkmcnt(0)
	s_add_u32 s2, s2, s8
	v_or_b32_e32 v1, s6, v0
	s_addc_u32 s3, s3, s9
	v_cmp_eq_u32_e32 vcc, 0, v1
	s_and_saveexec_b64 s[8:9], vcc
	s_cbranch_execz .LBB253_2
; %bb.1:
	v_mov_b32_e32 v2, s12
	v_mov_b32_e32 v3, 0
	global_store_dwordx2 v3, v[2:3], s[0:1]
.LBB253_2:
	s_or_b64 exec, exec, s[8:9]
	v_and_b32_e32 v2, 7, v0
	v_cmp_ne_u32_e32 vcc, 7, v2
	s_and_saveexec_b64 s[8:9], vcc
	s_cbranch_execz .LBB253_6
; %bb.3:
	s_load_dwordx4 s[8:11], s[2:3], 0x0
	s_load_dword s18, s[4:5], 0x18
	v_lshrrev_b32_e32 v8, 3, v0
	v_lshlrev_b32_e32 v6, 3, v2
	s_mov_b32 s2, 0
	v_mov_b32_e32 v7, 0
	s_waitcnt lgkmcnt(0)
	s_sub_u32 s7, s8, s18
	s_subb_u32 s16, s9, 0
	s_sub_u32 s14, s10, s18
	s_mul_i32 s3, s16, 49
	s_mul_hi_u32 s10, s7, 49
	s_subb_u32 s15, s11, 0
	s_add_i32 s11, s10, s3
	s_sub_u32 s3, s14, s7
	s_subb_u32 s13, s15, s16
	s_mul_i32 s13, s13, 7
	s_mul_hi_u32 s17, s3, 7
	s_add_i32 s17, s17, s13
	s_mul_i32 s3, s3, 7
	s_add_u32 s19, s3, s12
	s_mul_i32 s10, s7, 49
	v_mul_lo_u32 v3, s17, v2
	s_addc_u32 s17, s17, 0
	s_add_u32 s10, s19, s10
	s_addc_u32 s11, s17, s11
	v_pk_mov_b32 v[0:1], s[10:11], s[10:11] op_sel:[0,1]
	v_mad_u64_u32 v[0:1], s[10:11], s3, v2, v[0:1]
	s_mul_hi_u32 s10, s6, 56
	s_mul_i32 s6, s6, 56
	s_add_u32 s0, s0, s6
	v_add_u32_e32 v1, v3, v1
	s_addc_u32 s1, s1, s10
	global_store_dwordx2 v6, v[0:1], s[0:1] offset:8
	v_mov_b32_e32 v1, s16
	v_add_co_u32_e32 v0, vcc, s7, v8
	v_addc_co_u32_e32 v1, vcc, 0, v1, vcc
	v_cmp_gt_i64_e32 vcc, s[14:15], v[0:1]
	s_and_b64 exec, exec, vcc
	s_cbranch_execz .LBB253_6
; %bb.4:
	v_mad_u64_u32 v[10:11], s[0:1], s3, v2, 0
	s_movk_i32 s3, 0x188
	s_load_dwordx2 s[6:7], s[4:5], 0x30
	s_load_dwordx2 s[10:11], s[4:5], 0x48
	;; [unrolled: 1-line block ×3, first 2 shown]
	s_load_dword s19, s[4:5], 0x0
	s_load_dwordx2 s[20:21], s[4:5], 0x58
	v_mad_u64_u32 v[6:7], s[4:5], v0, s3, v[6:7]
	v_add_u32_e32 v11, v11, v3
	v_mov_b32_e32 v12, v7
	v_lshlrev_b64 v[4:5], 3, v[0:1]
	v_mad_u64_u32 v[12:13], s[4:5], v1, s3, v[12:13]
	v_mad_u64_u32 v[10:11], s[4:5], s8, 49, v[10:11]
	s_waitcnt lgkmcnt(0)
	v_mov_b32_e32 v9, s7
	v_add_co_u32_e32 v4, vcc, s6, v4
	v_mov_b32_e32 v7, v12
	v_mov_b32_e32 v12, v11
	v_addc_co_u32_e32 v5, vcc, v9, v5, vcc
	v_mad_u64_u32 v[12:13], s[4:5], s9, 49, v[12:13]
	v_mov_b32_e32 v9, s17
	v_add_co_u32_e32 v6, vcc, s16, v6
	v_mov_b32_e32 v11, v12
	v_addc_co_u32_e32 v7, vcc, v9, v7, vcc
	v_mad_u64_u32 v[8:9], s[4:5], v8, 7, v[10:11]
	s_mul_hi_u32 s3, s18, 49
	s_mul_i32 s4, s18, 49
	v_mov_b32_e32 v10, s3
	v_subrev_co_u32_e32 v8, vcc, s4, v8
	v_subb_co_u32_e32 v9, vcc, v9, v10, vcc
	v_lshlrev_b64 v[8:9], 3, v[8:9]
	v_add_co_u32_e32 v10, vcc, 24, v8
	v_addc_co_u32_e32 v11, vcc, 0, v9, vcc
	v_mov_b32_e32 v9, s11
	v_add_co_u32_e32 v8, vcc, s10, v10
	v_addc_co_u32_e32 v9, vcc, v9, v11, vcc
	s_cmp_eq_u32 s19, 0
	v_mov_b32_e32 v12, s21
	v_add_co_u32_e32 v10, vcc, s20, v10
	s_mov_b32 s13, s2
	s_cselect_b64 s[0:1], -1, 0
	v_mul_hi_u32_u24_e32 v3, 48, v2
	v_mul_u32_u24_e32 v2, 48, v2
	v_addc_co_u32_e32 v11, vcc, v12, v11, vcc
	s_mov_b64 s[16:17], 0
	v_mov_b32_e32 v12, s2
	s_movk_i32 s19, 0x70
	s_movk_i32 s20, 0xa8
	;; [unrolled: 1-line block ×7, first 2 shown]
.LBB253_5:                              ; =>This Inner Loop Header: Depth=1
	v_add_co_u32_e32 v13, vcc, v6, v2
	v_addc_co_u32_e32 v16, vcc, v7, v3, vcc
	v_add_co_u32_e32 v17, vcc, 56, v6
	v_addc_co_u32_e32 v18, vcc, 0, v7, vcc
	;; [unrolled: 2-line block ×12, first 2 shown]
	global_load_dwordx2 v[26:27], v[4:5], off
	v_cndmask_b32_e64 v14, v6, v13, s[0:1]
	v_add_co_u32_e32 v13, vcc, 48, v13
	v_cndmask_b32_e64 v15, v7, v16, s[0:1]
	v_addc_co_u32_e32 v16, vcc, 0, v16, vcc
	v_cndmask_b32_e64 v29, v18, v29, s[0:1]
	v_cndmask_b32_e64 v28, v17, v28, s[0:1]
	global_load_dwordx2 v[14:15], v[14:15], off
	v_cndmask_b32_e64 v31, v20, v31, s[0:1]
	v_cndmask_b32_e64 v30, v19, v30, s[0:1]
	v_cndmask_b32_e64 v33, v22, v33, s[0:1]
	v_cndmask_b32_e64 v32, v21, v32, s[0:1]
	v_cndmask_b32_e64 v35, v24, v35, s[0:1]
	v_cndmask_b32_e64 v34, v23, v34, s[0:1]
	v_cndmask_b32_e64 v37, v36, v37, s[0:1]
	v_cndmask_b32_e64 v36, v25, v40, s[0:1]
	v_cndmask_b32_e64 v39, v39, v16, s[0:1]
	v_cndmask_b32_e64 v38, v38, v13, s[0:1]
	global_load_dwordx2 v[16:17], v[28:29], off
	global_load_dwordx2 v[18:19], v[30:31], off
	;; [unrolled: 1-line block ×6, first 2 shown]
	v_add_co_u32_e32 v0, vcc, 32, v0
	v_addc_co_u32_e32 v1, vcc, 0, v1, vcc
	v_add_co_u32_e32 v4, vcc, s24, v4
	v_addc_co_u32_e32 v5, vcc, 0, v5, vcc
	;; [unrolled: 2-line block ×3, first 2 shown]
	v_cmp_le_i64_e64 s[2:3], s[14:15], v[0:1]
	s_or_b64 s[16:17], s[2:3], s[16:17]
	s_waitcnt vmcnt(5)
	global_store_dwordx4 v[8:9], v[14:17], off offset:-24
	s_waitcnt vmcnt(4)
	global_store_dwordx4 v[8:9], v[18:21], off offset:-8
	s_waitcnt vmcnt(3)
	global_store_dwordx4 v[8:9], v[22:25], off offset:8
	s_waitcnt vmcnt(3)
	global_store_dwordx2 v[8:9], v[40:41], off offset:24
	v_subrev_co_u32_e32 v13, vcc, s18, v26
	v_subb_co_u32_e32 v27, vcc, v27, v12, vcc
	v_mad_u64_u32 v[28:29], s[2:3], v13, 7, s[12:13]
	v_mov_b32_e32 v30, v29
	v_add_co_u32_e32 v8, vcc, 0x700, v8
	v_mad_u64_u32 v[30:31], s[2:3], v27, 7, v[30:31]
	v_addc_co_u32_e32 v9, vcc, 0, v9, vcc
	v_mov_b32_e32 v26, v28
	v_mov_b32_e32 v13, v30
	v_add_co_u32_e64 v14, s[2:3], 2, v28
	v_add_co_u32_e64 v16, s[4:5], 3, v28
	;; [unrolled: 1-line block ×5, first 2 shown]
	v_add_co_u32_e32 v28, vcc, 1, v28
	v_mov_b32_e32 v27, v30
	v_addc_co_u32_e32 v29, vcc, 0, v13, vcc
	v_addc_co_u32_e64 v15, vcc, 0, v13, s[2:3]
	v_addc_co_u32_e64 v17, vcc, 0, v13, s[4:5]
	;; [unrolled: 1-line block ×5, first 2 shown]
	global_store_dwordx4 v[10:11], v[26:29], off offset:-24
	global_store_dwordx4 v[10:11], v[14:17], off offset:-8
	global_store_dwordx4 v[10:11], v[18:21], off offset:8
	global_store_dwordx2 v[10:11], v[22:23], off offset:24
	v_add_co_u32_e32 v10, vcc, 0x700, v10
	v_addc_co_u32_e32 v11, vcc, 0, v11, vcc
	s_andn2_b64 exec, exec, s[16:17]
	s_cbranch_execnz .LBB253_5
.LBB253_6:
	s_endpgm
	.section	.rodata,"a",@progbits
	.p2align	6, 0x0
	.amdhsa_kernel _ZN9rocsparseL32bsr2csr_block_per_row_2_7_kernelILj256ELj7EdllEEv20rocsparse_direction_T3_S2_21rocsparse_index_base_PKT1_PKT2_PKS2_S2_S3_PS4_PS7_PS2_
		.amdhsa_group_segment_fixed_size 0
		.amdhsa_private_segment_fixed_size 0
		.amdhsa_kernarg_size 96
		.amdhsa_user_sgpr_count 6
		.amdhsa_user_sgpr_private_segment_buffer 1
		.amdhsa_user_sgpr_dispatch_ptr 0
		.amdhsa_user_sgpr_queue_ptr 0
		.amdhsa_user_sgpr_kernarg_segment_ptr 1
		.amdhsa_user_sgpr_dispatch_id 0
		.amdhsa_user_sgpr_flat_scratch_init 0
		.amdhsa_user_sgpr_kernarg_preload_length 0
		.amdhsa_user_sgpr_kernarg_preload_offset 0
		.amdhsa_user_sgpr_private_segment_size 0
		.amdhsa_uses_dynamic_stack 0
		.amdhsa_system_sgpr_private_segment_wavefront_offset 0
		.amdhsa_system_sgpr_workgroup_id_x 1
		.amdhsa_system_sgpr_workgroup_id_y 0
		.amdhsa_system_sgpr_workgroup_id_z 0
		.amdhsa_system_sgpr_workgroup_info 0
		.amdhsa_system_vgpr_workitem_id 0
		.amdhsa_next_free_vgpr 42
		.amdhsa_next_free_sgpr 26
		.amdhsa_accum_offset 44
		.amdhsa_reserve_vcc 1
		.amdhsa_reserve_flat_scratch 0
		.amdhsa_float_round_mode_32 0
		.amdhsa_float_round_mode_16_64 0
		.amdhsa_float_denorm_mode_32 3
		.amdhsa_float_denorm_mode_16_64 3
		.amdhsa_dx10_clamp 1
		.amdhsa_ieee_mode 1
		.amdhsa_fp16_overflow 0
		.amdhsa_tg_split 0
		.amdhsa_exception_fp_ieee_invalid_op 0
		.amdhsa_exception_fp_denorm_src 0
		.amdhsa_exception_fp_ieee_div_zero 0
		.amdhsa_exception_fp_ieee_overflow 0
		.amdhsa_exception_fp_ieee_underflow 0
		.amdhsa_exception_fp_ieee_inexact 0
		.amdhsa_exception_int_div_zero 0
	.end_amdhsa_kernel
	.section	.text._ZN9rocsparseL32bsr2csr_block_per_row_2_7_kernelILj256ELj7EdllEEv20rocsparse_direction_T3_S2_21rocsparse_index_base_PKT1_PKT2_PKS2_S2_S3_PS4_PS7_PS2_,"axG",@progbits,_ZN9rocsparseL32bsr2csr_block_per_row_2_7_kernelILj256ELj7EdllEEv20rocsparse_direction_T3_S2_21rocsparse_index_base_PKT1_PKT2_PKS2_S2_S3_PS4_PS7_PS2_,comdat
.Lfunc_end253:
	.size	_ZN9rocsparseL32bsr2csr_block_per_row_2_7_kernelILj256ELj7EdllEEv20rocsparse_direction_T3_S2_21rocsparse_index_base_PKT1_PKT2_PKS2_S2_S3_PS4_PS7_PS2_, .Lfunc_end253-_ZN9rocsparseL32bsr2csr_block_per_row_2_7_kernelILj256ELj7EdllEEv20rocsparse_direction_T3_S2_21rocsparse_index_base_PKT1_PKT2_PKS2_S2_S3_PS4_PS7_PS2_
                                        ; -- End function
	.section	.AMDGPU.csdata,"",@progbits
; Kernel info:
; codeLenInByte = 1104
; NumSgprs: 30
; NumVgprs: 42
; NumAgprs: 0
; TotalNumVgprs: 42
; ScratchSize: 0
; MemoryBound: 0
; FloatMode: 240
; IeeeMode: 1
; LDSByteSize: 0 bytes/workgroup (compile time only)
; SGPRBlocks: 3
; VGPRBlocks: 5
; NumSGPRsForWavesPerEU: 30
; NumVGPRsForWavesPerEU: 42
; AccumOffset: 44
; Occupancy: 8
; WaveLimiterHint : 0
; COMPUTE_PGM_RSRC2:SCRATCH_EN: 0
; COMPUTE_PGM_RSRC2:USER_SGPR: 6
; COMPUTE_PGM_RSRC2:TRAP_HANDLER: 0
; COMPUTE_PGM_RSRC2:TGID_X_EN: 1
; COMPUTE_PGM_RSRC2:TGID_Y_EN: 0
; COMPUTE_PGM_RSRC2:TGID_Z_EN: 0
; COMPUTE_PGM_RSRC2:TIDIG_COMP_CNT: 0
; COMPUTE_PGM_RSRC3_GFX90A:ACCUM_OFFSET: 10
; COMPUTE_PGM_RSRC3_GFX90A:TG_SPLIT: 0
	.section	.text._ZN9rocsparseL33bsr2csr_block_per_row_8_32_kernelILj1024ELj8EdllEEv20rocsparse_direction_T3_S2_21rocsparse_index_base_PKT1_PKT2_PKS2_S2_S3_PS4_PS7_PS2_,"axG",@progbits,_ZN9rocsparseL33bsr2csr_block_per_row_8_32_kernelILj1024ELj8EdllEEv20rocsparse_direction_T3_S2_21rocsparse_index_base_PKT1_PKT2_PKS2_S2_S3_PS4_PS7_PS2_,comdat
	.globl	_ZN9rocsparseL33bsr2csr_block_per_row_8_32_kernelILj1024ELj8EdllEEv20rocsparse_direction_T3_S2_21rocsparse_index_base_PKT1_PKT2_PKS2_S2_S3_PS4_PS7_PS2_ ; -- Begin function _ZN9rocsparseL33bsr2csr_block_per_row_8_32_kernelILj1024ELj8EdllEEv20rocsparse_direction_T3_S2_21rocsparse_index_base_PKT1_PKT2_PKS2_S2_S3_PS4_PS7_PS2_
	.p2align	8
	.type	_ZN9rocsparseL33bsr2csr_block_per_row_8_32_kernelILj1024ELj8EdllEEv20rocsparse_direction_T3_S2_21rocsparse_index_base_PKT1_PKT2_PKS2_S2_S3_PS4_PS7_PS2_,@function
_ZN9rocsparseL33bsr2csr_block_per_row_8_32_kernelILj1024ELj8EdllEEv20rocsparse_direction_T3_S2_21rocsparse_index_base_PKT1_PKT2_PKS2_S2_S3_PS4_PS7_PS2_: ; @_ZN9rocsparseL33bsr2csr_block_per_row_8_32_kernelILj1024ELj8EdllEEv20rocsparse_direction_T3_S2_21rocsparse_index_base_PKT1_PKT2_PKS2_S2_S3_PS4_PS7_PS2_
; %bb.0:
	s_load_dwordx2 s[0:1], s[4:5], 0x28
	s_load_dword s16, s[4:5], 0x40
	s_load_dwordx2 s[2:3], s[4:5], 0x50
	s_mov_b32 s22, 0
	s_mov_b32 s7, s22
	s_lshl_b64 s[8:9], s[6:7], 3
	s_waitcnt lgkmcnt(0)
	s_add_u32 s10, s0, s8
	v_or_b32_e32 v1, s6, v0
	s_addc_u32 s11, s1, s9
	v_cmp_eq_u32_e32 vcc, 0, v1
	s_and_saveexec_b64 s[0:1], vcc
	s_cbranch_execz .LBB254_2
; %bb.1:
	v_mov_b32_e32 v2, s16
	v_mov_b32_e32 v3, 0
	global_store_dwordx2 v3, v[2:3], s[2:3]
.LBB254_2:
	s_or_b64 exec, exec, s[0:1]
	s_load_dwordx2 s[8:9], s[4:5], 0x38
	v_mov_b32_e32 v7, 0
	v_and_b32_e32 v6, 7, v0
	v_bfe_u32 v2, v0, 3, 3
	v_mov_b32_e32 v3, v7
	s_waitcnt lgkmcnt(0)
	v_cmp_gt_i64_e32 vcc, s[8:9], v[2:3]
	v_cmp_gt_i64_e64 s[0:1], s[8:9], v[6:7]
	s_and_b64 s[0:1], vcc, s[0:1]
	s_and_saveexec_b64 s[12:13], s[0:1]
	s_cbranch_execz .LBB254_6
; %bb.3:
	s_load_dwordx4 s[12:15], s[10:11], 0x0
	s_load_dword s23, s[4:5], 0x18
	s_mul_i32 s0, s8, s9
	s_mul_hi_u32 s1, s8, s8
	v_lshrrev_b32_e32 v8, 6, v0
	v_lshlrev_b32_e32 v3, 3, v2
	s_waitcnt lgkmcnt(0)
	s_sub_u32 s7, s12, s23
	s_subb_u32 s18, s13, 0
	s_sub_u32 s10, s14, s23
	s_subb_u32 s11, s15, 0
	s_add_i32 s1, s1, s0
	s_add_i32 s1, s1, s0
	s_mul_i32 s0, s8, s8
	s_mul_i32 s12, s7, s1
	s_mul_hi_u32 s13, s7, s0
	s_add_i32 s12, s13, s12
	s_mul_i32 s13, s18, s0
	s_add_i32 s13, s12, s13
	s_sub_u32 s20, s10, s7
	s_subb_u32 s19, s11, s18
	s_mul_i32 s14, s20, s9
	s_mul_hi_u32 s15, s20, s8
	s_add_i32 s14, s15, s14
	s_mul_i32 s15, s19, s8
	s_add_i32 s14, s14, s15
	s_mul_i32 s15, s20, s8
	s_add_u32 s21, s15, s16
	s_mul_i32 s12, s7, s0
	s_addc_u32 s24, s14, 0
	s_add_u32 s12, s21, s12
	s_addc_u32 s13, s24, s13
	v_pk_mov_b32 v[0:1], s[12:13], s[12:13] op_sel:[0,1]
	v_mad_u64_u32 v[0:1], s[12:13], s15, v2, v[0:1]
	v_mov_b32_e32 v4, v1
	v_mad_u64_u32 v[4:5], s[12:13], s14, v2, v[4:5]
	s_mul_i32 s12, s6, s9
	s_mul_hi_u32 s13, s6, s8
	s_add_i32 s13, s13, s12
	s_mul_i32 s12, s6, s8
	s_lshl_b64 s[12:13], s[12:13], 3
	s_add_u32 s2, s2, s12
	v_mov_b32_e32 v1, v4
	s_addc_u32 s3, s3, s13
	global_store_dwordx2 v3, v[0:1], s[2:3] offset:8
	v_mov_b32_e32 v1, s18
	v_add_co_u32_e32 v0, vcc, s7, v8
	v_addc_co_u32_e32 v1, vcc, 0, v1, vcc
	v_mov_b32_e32 v9, v7
	v_cmp_gt_i64_e32 vcc, s[10:11], v[0:1]
	s_and_b64 exec, exec, vcc
	s_cbranch_execz .LBB254_6
; %bb.4:
	s_load_dwordx2 s[2:3], s[4:5], 0x30
	s_load_dwordx2 s[12:13], s[4:5], 0x48
	;; [unrolled: 1-line block ×4, first 2 shown]
	s_load_dword s6, s[4:5], 0x0
	v_mad_u64_u32 v[10:11], s[4:5], v6, s8, 0
	v_mov_b32_e32 v12, v11
	v_mad_u64_u32 v[12:13], s[4:5], v6, s9, v[12:13]
	v_mov_b32_e32 v5, s22
	v_add_co_u32_e32 v4, vcc, s16, v6
	v_mov_b32_e32 v11, v12
	v_addc_co_u32_e32 v5, vcc, 0, v5, vcc
	v_lshlrev_b64 v[10:11], 3, v[10:11]
	s_waitcnt lgkmcnt(0)
	v_mov_b32_e32 v7, s25
	v_add_co_u32_e32 v10, vcc, s24, v10
	v_addc_co_u32_e32 v11, vcc, v7, v11, vcc
	v_add_co_u32_e32 v3, vcc, v10, v3
	v_addc_co_u32_e32 v14, vcc, 0, v11, vcc
	v_mad_u64_u32 v[10:11], s[4:5], v2, s8, 0
	v_mov_b32_e32 v12, v11
	v_mad_u64_u32 v[12:13], s[4:5], v2, s9, v[12:13]
	v_mov_b32_e32 v11, v12
	v_lshlrev_b64 v[10:11], 3, v[10:11]
	v_add_co_u32_e32 v10, vcc, s24, v10
	v_addc_co_u32_e32 v7, vcc, v7, v11, vcc
	v_lshlrev_b32_e32 v11, 3, v6
	v_add_co_u32_e32 v6, vcc, v10, v11
	s_cmp_eq_u32 s6, 0
	v_addc_co_u32_e32 v7, vcc, 0, v7, vcc
	s_cselect_b64 vcc, -1, 0
	v_cndmask_b32_e32 v10, v14, v7, vcc
	v_cndmask_b32_e32 v3, v3, v6, vcc
	v_mul_lo_u32 v12, s1, v0
	v_mul_lo_u32 v13, s0, v1
	v_mad_u64_u32 v[6:7], s[4:5], s0, v0, 0
	v_add3_u32 v7, v7, v13, v12
	v_lshlrev_b64 v[6:7], 3, v[6:7]
	v_add_co_u32_e32 v6, vcc, v3, v6
	s_lshl_b64 s[16:17], s[0:1], 7
	s_mul_i32 s0, s9, s7
	s_mul_i32 s1, s8, s18
	v_mov_b32_e32 v3, s7
	s_add_i32 s4, s1, s0
	v_mad_u64_u32 v[8:9], s[0:1], s8, v3, v[8:9]
	v_add_u32_e32 v9, s4, v9
	v_mad_u64_u32 v[8:9], s[0:1], s20, v2, v[8:9]
	v_addc_co_u32_e32 v7, vcc, v10, v7, vcc
	v_mov_b32_e32 v10, v9
	v_mad_u64_u32 v[2:3], s[0:1], s19, v2, v[10:11]
	v_mul_lo_u32 v9, s9, v8
	v_mul_lo_u32 v10, s8, v2
	v_mad_u64_u32 v[2:3], s[0:1], s8, v8, 0
	v_add3_u32 v3, v3, v10, v9
	v_lshlrev_b64 v[2:3], 3, v[2:3]
	v_add_co_u32_e32 v2, vcc, v2, v11
	v_addc_co_u32_e32 v3, vcc, 0, v3, vcc
	v_lshlrev_b64 v[8:9], 3, v[0:1]
	v_mov_b32_e32 v10, s3
	v_add_co_u32_e32 v8, vcc, s2, v8
	s_lshl_b64 s[18:19], s[8:9], 7
	v_addc_co_u32_e32 v9, vcc, v10, v9, vcc
	s_mov_b64 s[20:21], 0
.LBB254_5:                              ; =>This Inner Loop Header: Depth=1
	global_load_dwordx2 v[10:11], v[8:9], off
	global_load_dwordx2 v[12:13], v[6:7], off
	v_add_co_u32_e32 v0, vcc, 16, v0
	v_addc_co_u32_e32 v1, vcc, 0, v1, vcc
	v_add_co_u32_e32 v8, vcc, 0x80, v8
	v_addc_co_u32_e32 v9, vcc, 0, v9, vcc
	v_cmp_le_i64_e32 vcc, s[10:11], v[0:1]
	v_mov_b32_e32 v18, s22
	v_mov_b32_e32 v15, s15
	;; [unrolled: 1-line block ×3, first 2 shown]
	v_add_co_u32_e64 v14, s[0:1], s12, v2
	v_add_co_u32_e64 v16, s[4:5], s14, v2
	s_or_b64 s[20:21], vcc, s[20:21]
	v_addc_co_u32_e64 v17, s[4:5], v15, v3, s[4:5]
	v_addc_co_u32_e64 v15, s[0:1], v19, v3, s[0:1]
	v_mov_b32_e32 v20, s17
	v_add_co_u32_e64 v6, s[2:3], s16, v6
	v_mov_b32_e32 v21, s19
	v_add_co_u32_e64 v2, s[6:7], s18, v2
	v_addc_co_u32_e64 v7, s[0:1], v7, v20, s[2:3]
	v_addc_co_u32_e64 v3, s[0:1], v3, v21, s[6:7]
	s_waitcnt vmcnt(1)
	v_subrev_co_u32_e32 v10, vcc, s23, v10
	v_subb_co_u32_e32 v11, vcc, v11, v18, vcc
	s_waitcnt vmcnt(0)
	global_store_dwordx2 v[14:15], v[12:13], off
	v_mul_lo_u32 v12, v10, s9
	v_mul_lo_u32 v13, v11, s8
	v_mad_u64_u32 v[10:11], s[0:1], v10, s8, v[4:5]
	v_add3_u32 v11, v13, v11, v12
	global_store_dwordx2 v[16:17], v[10:11], off
	s_andn2_b64 exec, exec, s[20:21]
	s_cbranch_execnz .LBB254_5
.LBB254_6:
	s_endpgm
	.section	.rodata,"a",@progbits
	.p2align	6, 0x0
	.amdhsa_kernel _ZN9rocsparseL33bsr2csr_block_per_row_8_32_kernelILj1024ELj8EdllEEv20rocsparse_direction_T3_S2_21rocsparse_index_base_PKT1_PKT2_PKS2_S2_S3_PS4_PS7_PS2_
		.amdhsa_group_segment_fixed_size 0
		.amdhsa_private_segment_fixed_size 0
		.amdhsa_kernarg_size 96
		.amdhsa_user_sgpr_count 6
		.amdhsa_user_sgpr_private_segment_buffer 1
		.amdhsa_user_sgpr_dispatch_ptr 0
		.amdhsa_user_sgpr_queue_ptr 0
		.amdhsa_user_sgpr_kernarg_segment_ptr 1
		.amdhsa_user_sgpr_dispatch_id 0
		.amdhsa_user_sgpr_flat_scratch_init 0
		.amdhsa_user_sgpr_kernarg_preload_length 0
		.amdhsa_user_sgpr_kernarg_preload_offset 0
		.amdhsa_user_sgpr_private_segment_size 0
		.amdhsa_uses_dynamic_stack 0
		.amdhsa_system_sgpr_private_segment_wavefront_offset 0
		.amdhsa_system_sgpr_workgroup_id_x 1
		.amdhsa_system_sgpr_workgroup_id_y 0
		.amdhsa_system_sgpr_workgroup_id_z 0
		.amdhsa_system_sgpr_workgroup_info 0
		.amdhsa_system_vgpr_workitem_id 0
		.amdhsa_next_free_vgpr 22
		.amdhsa_next_free_sgpr 26
		.amdhsa_accum_offset 24
		.amdhsa_reserve_vcc 1
		.amdhsa_reserve_flat_scratch 0
		.amdhsa_float_round_mode_32 0
		.amdhsa_float_round_mode_16_64 0
		.amdhsa_float_denorm_mode_32 3
		.amdhsa_float_denorm_mode_16_64 3
		.amdhsa_dx10_clamp 1
		.amdhsa_ieee_mode 1
		.amdhsa_fp16_overflow 0
		.amdhsa_tg_split 0
		.amdhsa_exception_fp_ieee_invalid_op 0
		.amdhsa_exception_fp_denorm_src 0
		.amdhsa_exception_fp_ieee_div_zero 0
		.amdhsa_exception_fp_ieee_overflow 0
		.amdhsa_exception_fp_ieee_underflow 0
		.amdhsa_exception_fp_ieee_inexact 0
		.amdhsa_exception_int_div_zero 0
	.end_amdhsa_kernel
	.section	.text._ZN9rocsparseL33bsr2csr_block_per_row_8_32_kernelILj1024ELj8EdllEEv20rocsparse_direction_T3_S2_21rocsparse_index_base_PKT1_PKT2_PKS2_S2_S3_PS4_PS7_PS2_,"axG",@progbits,_ZN9rocsparseL33bsr2csr_block_per_row_8_32_kernelILj1024ELj8EdllEEv20rocsparse_direction_T3_S2_21rocsparse_index_base_PKT1_PKT2_PKS2_S2_S3_PS4_PS7_PS2_,comdat
.Lfunc_end254:
	.size	_ZN9rocsparseL33bsr2csr_block_per_row_8_32_kernelILj1024ELj8EdllEEv20rocsparse_direction_T3_S2_21rocsparse_index_base_PKT1_PKT2_PKS2_S2_S3_PS4_PS7_PS2_, .Lfunc_end254-_ZN9rocsparseL33bsr2csr_block_per_row_8_32_kernelILj1024ELj8EdllEEv20rocsparse_direction_T3_S2_21rocsparse_index_base_PKT1_PKT2_PKS2_S2_S3_PS4_PS7_PS2_
                                        ; -- End function
	.section	.AMDGPU.csdata,"",@progbits
; Kernel info:
; codeLenInByte = 928
; NumSgprs: 30
; NumVgprs: 22
; NumAgprs: 0
; TotalNumVgprs: 22
; ScratchSize: 0
; MemoryBound: 0
; FloatMode: 240
; IeeeMode: 1
; LDSByteSize: 0 bytes/workgroup (compile time only)
; SGPRBlocks: 3
; VGPRBlocks: 2
; NumSGPRsForWavesPerEU: 30
; NumVGPRsForWavesPerEU: 22
; AccumOffset: 24
; Occupancy: 8
; WaveLimiterHint : 0
; COMPUTE_PGM_RSRC2:SCRATCH_EN: 0
; COMPUTE_PGM_RSRC2:USER_SGPR: 6
; COMPUTE_PGM_RSRC2:TRAP_HANDLER: 0
; COMPUTE_PGM_RSRC2:TGID_X_EN: 1
; COMPUTE_PGM_RSRC2:TGID_Y_EN: 0
; COMPUTE_PGM_RSRC2:TGID_Z_EN: 0
; COMPUTE_PGM_RSRC2:TIDIG_COMP_CNT: 0
; COMPUTE_PGM_RSRC3_GFX90A:ACCUM_OFFSET: 5
; COMPUTE_PGM_RSRC3_GFX90A:TG_SPLIT: 0
	.section	.text._ZN9rocsparseL33bsr2csr_block_per_row_8_32_kernelILj1024ELj16EdllEEv20rocsparse_direction_T3_S2_21rocsparse_index_base_PKT1_PKT2_PKS2_S2_S3_PS4_PS7_PS2_,"axG",@progbits,_ZN9rocsparseL33bsr2csr_block_per_row_8_32_kernelILj1024ELj16EdllEEv20rocsparse_direction_T3_S2_21rocsparse_index_base_PKT1_PKT2_PKS2_S2_S3_PS4_PS7_PS2_,comdat
	.globl	_ZN9rocsparseL33bsr2csr_block_per_row_8_32_kernelILj1024ELj16EdllEEv20rocsparse_direction_T3_S2_21rocsparse_index_base_PKT1_PKT2_PKS2_S2_S3_PS4_PS7_PS2_ ; -- Begin function _ZN9rocsparseL33bsr2csr_block_per_row_8_32_kernelILj1024ELj16EdllEEv20rocsparse_direction_T3_S2_21rocsparse_index_base_PKT1_PKT2_PKS2_S2_S3_PS4_PS7_PS2_
	.p2align	8
	.type	_ZN9rocsparseL33bsr2csr_block_per_row_8_32_kernelILj1024ELj16EdllEEv20rocsparse_direction_T3_S2_21rocsparse_index_base_PKT1_PKT2_PKS2_S2_S3_PS4_PS7_PS2_,@function
_ZN9rocsparseL33bsr2csr_block_per_row_8_32_kernelILj1024ELj16EdllEEv20rocsparse_direction_T3_S2_21rocsparse_index_base_PKT1_PKT2_PKS2_S2_S3_PS4_PS7_PS2_: ; @_ZN9rocsparseL33bsr2csr_block_per_row_8_32_kernelILj1024ELj16EdllEEv20rocsparse_direction_T3_S2_21rocsparse_index_base_PKT1_PKT2_PKS2_S2_S3_PS4_PS7_PS2_
; %bb.0:
	s_load_dwordx2 s[0:1], s[4:5], 0x28
	s_load_dword s16, s[4:5], 0x40
	s_load_dwordx2 s[2:3], s[4:5], 0x50
	s_mov_b32 s22, 0
	s_mov_b32 s7, s22
	s_lshl_b64 s[8:9], s[6:7], 3
	s_waitcnt lgkmcnt(0)
	s_add_u32 s10, s0, s8
	v_or_b32_e32 v1, s6, v0
	s_addc_u32 s11, s1, s9
	v_cmp_eq_u32_e32 vcc, 0, v1
	s_and_saveexec_b64 s[0:1], vcc
	s_cbranch_execz .LBB255_2
; %bb.1:
	v_mov_b32_e32 v2, s16
	v_mov_b32_e32 v3, 0
	global_store_dwordx2 v3, v[2:3], s[2:3]
.LBB255_2:
	s_or_b64 exec, exec, s[0:1]
	s_load_dwordx2 s[8:9], s[4:5], 0x38
	v_mov_b32_e32 v7, 0
	v_and_b32_e32 v6, 15, v0
	v_bfe_u32 v2, v0, 4, 4
	v_mov_b32_e32 v3, v7
	s_waitcnt lgkmcnt(0)
	v_cmp_gt_i64_e32 vcc, s[8:9], v[2:3]
	v_cmp_gt_i64_e64 s[0:1], s[8:9], v[6:7]
	s_and_b64 s[0:1], vcc, s[0:1]
	s_and_saveexec_b64 s[12:13], s[0:1]
	s_cbranch_execz .LBB255_6
; %bb.3:
	s_load_dwordx4 s[12:15], s[10:11], 0x0
	s_load_dword s23, s[4:5], 0x18
	s_mul_i32 s0, s8, s9
	s_mul_hi_u32 s1, s8, s8
	v_lshrrev_b32_e32 v8, 8, v0
	v_lshlrev_b32_e32 v3, 3, v2
	s_waitcnt lgkmcnt(0)
	s_sub_u32 s7, s12, s23
	s_subb_u32 s18, s13, 0
	s_sub_u32 s10, s14, s23
	s_subb_u32 s11, s15, 0
	s_add_i32 s1, s1, s0
	s_add_i32 s1, s1, s0
	s_mul_i32 s0, s8, s8
	s_mul_i32 s12, s7, s1
	s_mul_hi_u32 s13, s7, s0
	s_add_i32 s12, s13, s12
	s_mul_i32 s13, s18, s0
	s_add_i32 s13, s12, s13
	s_sub_u32 s20, s10, s7
	s_subb_u32 s19, s11, s18
	s_mul_i32 s14, s20, s9
	s_mul_hi_u32 s15, s20, s8
	s_add_i32 s14, s15, s14
	s_mul_i32 s15, s19, s8
	s_add_i32 s14, s14, s15
	s_mul_i32 s15, s20, s8
	s_add_u32 s21, s15, s16
	s_mul_i32 s12, s7, s0
	s_addc_u32 s24, s14, 0
	s_add_u32 s12, s21, s12
	s_addc_u32 s13, s24, s13
	v_pk_mov_b32 v[0:1], s[12:13], s[12:13] op_sel:[0,1]
	v_mad_u64_u32 v[0:1], s[12:13], s15, v2, v[0:1]
	v_mov_b32_e32 v4, v1
	v_mad_u64_u32 v[4:5], s[12:13], s14, v2, v[4:5]
	s_mul_i32 s12, s6, s9
	s_mul_hi_u32 s13, s6, s8
	s_add_i32 s13, s13, s12
	s_mul_i32 s12, s6, s8
	s_lshl_b64 s[12:13], s[12:13], 3
	s_add_u32 s2, s2, s12
	v_mov_b32_e32 v1, v4
	s_addc_u32 s3, s3, s13
	global_store_dwordx2 v3, v[0:1], s[2:3] offset:8
	v_mov_b32_e32 v1, s18
	v_add_co_u32_e32 v0, vcc, s7, v8
	v_addc_co_u32_e32 v1, vcc, 0, v1, vcc
	v_mov_b32_e32 v9, v7
	v_cmp_gt_i64_e32 vcc, s[10:11], v[0:1]
	s_and_b64 exec, exec, vcc
	s_cbranch_execz .LBB255_6
; %bb.4:
	s_load_dwordx2 s[2:3], s[4:5], 0x30
	s_load_dwordx2 s[12:13], s[4:5], 0x48
	;; [unrolled: 1-line block ×4, first 2 shown]
	s_load_dword s6, s[4:5], 0x0
	v_mad_u64_u32 v[10:11], s[4:5], v6, s8, 0
	v_mov_b32_e32 v12, v11
	v_mad_u64_u32 v[12:13], s[4:5], v6, s9, v[12:13]
	v_mov_b32_e32 v5, s22
	v_add_co_u32_e32 v4, vcc, s16, v6
	v_mov_b32_e32 v11, v12
	v_addc_co_u32_e32 v5, vcc, 0, v5, vcc
	v_lshlrev_b64 v[10:11], 3, v[10:11]
	s_waitcnt lgkmcnt(0)
	v_mov_b32_e32 v7, s25
	v_add_co_u32_e32 v10, vcc, s24, v10
	v_addc_co_u32_e32 v11, vcc, v7, v11, vcc
	v_add_co_u32_e32 v3, vcc, v10, v3
	v_addc_co_u32_e32 v14, vcc, 0, v11, vcc
	v_mad_u64_u32 v[10:11], s[4:5], v2, s8, 0
	v_mov_b32_e32 v12, v11
	v_mad_u64_u32 v[12:13], s[4:5], v2, s9, v[12:13]
	v_mov_b32_e32 v11, v12
	v_lshlrev_b64 v[10:11], 3, v[10:11]
	v_add_co_u32_e32 v10, vcc, s24, v10
	v_addc_co_u32_e32 v7, vcc, v7, v11, vcc
	v_lshlrev_b32_e32 v11, 3, v6
	v_add_co_u32_e32 v6, vcc, v10, v11
	s_cmp_eq_u32 s6, 0
	v_addc_co_u32_e32 v7, vcc, 0, v7, vcc
	s_cselect_b64 vcc, -1, 0
	v_cndmask_b32_e32 v10, v14, v7, vcc
	v_cndmask_b32_e32 v3, v3, v6, vcc
	v_mul_lo_u32 v12, s1, v0
	v_mul_lo_u32 v13, s0, v1
	v_mad_u64_u32 v[6:7], s[4:5], s0, v0, 0
	v_add3_u32 v7, v7, v13, v12
	v_lshlrev_b64 v[6:7], 3, v[6:7]
	v_add_co_u32_e32 v6, vcc, v3, v6
	s_lshl_b64 s[16:17], s[0:1], 5
	s_mul_i32 s0, s9, s7
	s_mul_i32 s1, s8, s18
	v_mov_b32_e32 v3, s7
	s_add_i32 s4, s1, s0
	v_mad_u64_u32 v[8:9], s[0:1], s8, v3, v[8:9]
	v_add_u32_e32 v9, s4, v9
	v_mad_u64_u32 v[8:9], s[0:1], s20, v2, v[8:9]
	v_addc_co_u32_e32 v7, vcc, v10, v7, vcc
	v_mov_b32_e32 v10, v9
	v_mad_u64_u32 v[2:3], s[0:1], s19, v2, v[10:11]
	v_mul_lo_u32 v9, s9, v8
	v_mul_lo_u32 v10, s8, v2
	v_mad_u64_u32 v[2:3], s[0:1], s8, v8, 0
	v_add3_u32 v3, v3, v10, v9
	v_lshlrev_b64 v[2:3], 3, v[2:3]
	v_add_co_u32_e32 v2, vcc, v2, v11
	v_addc_co_u32_e32 v3, vcc, 0, v3, vcc
	v_lshlrev_b64 v[8:9], 3, v[0:1]
	v_mov_b32_e32 v10, s3
	v_add_co_u32_e32 v8, vcc, s2, v8
	s_lshl_b64 s[18:19], s[8:9], 5
	v_addc_co_u32_e32 v9, vcc, v10, v9, vcc
	s_mov_b64 s[20:21], 0
.LBB255_5:                              ; =>This Inner Loop Header: Depth=1
	global_load_dwordx2 v[10:11], v[8:9], off
	global_load_dwordx2 v[12:13], v[6:7], off
	v_add_co_u32_e64 v0, s[2:3], 4, v0
	v_addc_co_u32_e64 v1, s[2:3], 0, v1, s[2:3]
	v_mov_b32_e32 v15, s15
	v_add_co_u32_e32 v14, vcc, s14, v2
	v_mov_b32_e32 v17, s13
	v_add_co_u32_e64 v16, s[0:1], s12, v2
	v_mov_b32_e32 v19, s17
	v_add_co_u32_e64 v6, s[2:3], s16, v6
	;; [unrolled: 2-line block ×3, first 2 shown]
	v_addc_co_u32_e32 v15, vcc, v15, v3, vcc
	v_addc_co_u32_e64 v17, vcc, v17, v3, s[0:1]
	v_addc_co_u32_e64 v7, vcc, v7, v19, s[2:3]
	;; [unrolled: 1-line block ×3, first 2 shown]
	v_cmp_le_i64_e32 vcc, s[10:11], v[0:1]
	v_mov_b32_e32 v18, s22
	s_or_b64 s[20:21], vcc, s[20:21]
	v_add_co_u32_e64 v8, s[6:7], 32, v8
	v_addc_co_u32_e64 v9, s[6:7], 0, v9, s[6:7]
	s_waitcnt vmcnt(1)
	v_subrev_co_u32_e32 v10, vcc, s23, v10
	v_subb_co_u32_e32 v11, vcc, v11, v18, vcc
	s_waitcnt vmcnt(0)
	global_store_dwordx2 v[16:17], v[12:13], off
	v_mul_lo_u32 v12, v10, s9
	v_mul_lo_u32 v13, v11, s8
	v_mad_u64_u32 v[10:11], s[0:1], v10, s8, v[4:5]
	v_add3_u32 v11, v13, v11, v12
	global_store_dwordx2 v[14:15], v[10:11], off
	s_andn2_b64 exec, exec, s[20:21]
	s_cbranch_execnz .LBB255_5
.LBB255_6:
	s_endpgm
	.section	.rodata,"a",@progbits
	.p2align	6, 0x0
	.amdhsa_kernel _ZN9rocsparseL33bsr2csr_block_per_row_8_32_kernelILj1024ELj16EdllEEv20rocsparse_direction_T3_S2_21rocsparse_index_base_PKT1_PKT2_PKS2_S2_S3_PS4_PS7_PS2_
		.amdhsa_group_segment_fixed_size 0
		.amdhsa_private_segment_fixed_size 0
		.amdhsa_kernarg_size 96
		.amdhsa_user_sgpr_count 6
		.amdhsa_user_sgpr_private_segment_buffer 1
		.amdhsa_user_sgpr_dispatch_ptr 0
		.amdhsa_user_sgpr_queue_ptr 0
		.amdhsa_user_sgpr_kernarg_segment_ptr 1
		.amdhsa_user_sgpr_dispatch_id 0
		.amdhsa_user_sgpr_flat_scratch_init 0
		.amdhsa_user_sgpr_kernarg_preload_length 0
		.amdhsa_user_sgpr_kernarg_preload_offset 0
		.amdhsa_user_sgpr_private_segment_size 0
		.amdhsa_uses_dynamic_stack 0
		.amdhsa_system_sgpr_private_segment_wavefront_offset 0
		.amdhsa_system_sgpr_workgroup_id_x 1
		.amdhsa_system_sgpr_workgroup_id_y 0
		.amdhsa_system_sgpr_workgroup_id_z 0
		.amdhsa_system_sgpr_workgroup_info 0
		.amdhsa_system_vgpr_workitem_id 0
		.amdhsa_next_free_vgpr 21
		.amdhsa_next_free_sgpr 26
		.amdhsa_accum_offset 24
		.amdhsa_reserve_vcc 1
		.amdhsa_reserve_flat_scratch 0
		.amdhsa_float_round_mode_32 0
		.amdhsa_float_round_mode_16_64 0
		.amdhsa_float_denorm_mode_32 3
		.amdhsa_float_denorm_mode_16_64 3
		.amdhsa_dx10_clamp 1
		.amdhsa_ieee_mode 1
		.amdhsa_fp16_overflow 0
		.amdhsa_tg_split 0
		.amdhsa_exception_fp_ieee_invalid_op 0
		.amdhsa_exception_fp_denorm_src 0
		.amdhsa_exception_fp_ieee_div_zero 0
		.amdhsa_exception_fp_ieee_overflow 0
		.amdhsa_exception_fp_ieee_underflow 0
		.amdhsa_exception_fp_ieee_inexact 0
		.amdhsa_exception_int_div_zero 0
	.end_amdhsa_kernel
	.section	.text._ZN9rocsparseL33bsr2csr_block_per_row_8_32_kernelILj1024ELj16EdllEEv20rocsparse_direction_T3_S2_21rocsparse_index_base_PKT1_PKT2_PKS2_S2_S3_PS4_PS7_PS2_,"axG",@progbits,_ZN9rocsparseL33bsr2csr_block_per_row_8_32_kernelILj1024ELj16EdllEEv20rocsparse_direction_T3_S2_21rocsparse_index_base_PKT1_PKT2_PKS2_S2_S3_PS4_PS7_PS2_,comdat
.Lfunc_end255:
	.size	_ZN9rocsparseL33bsr2csr_block_per_row_8_32_kernelILj1024ELj16EdllEEv20rocsparse_direction_T3_S2_21rocsparse_index_base_PKT1_PKT2_PKS2_S2_S3_PS4_PS7_PS2_, .Lfunc_end255-_ZN9rocsparseL33bsr2csr_block_per_row_8_32_kernelILj1024ELj16EdllEEv20rocsparse_direction_T3_S2_21rocsparse_index_base_PKT1_PKT2_PKS2_S2_S3_PS4_PS7_PS2_
                                        ; -- End function
	.section	.AMDGPU.csdata,"",@progbits
; Kernel info:
; codeLenInByte = 932
; NumSgprs: 30
; NumVgprs: 21
; NumAgprs: 0
; TotalNumVgprs: 21
; ScratchSize: 0
; MemoryBound: 0
; FloatMode: 240
; IeeeMode: 1
; LDSByteSize: 0 bytes/workgroup (compile time only)
; SGPRBlocks: 3
; VGPRBlocks: 2
; NumSGPRsForWavesPerEU: 30
; NumVGPRsForWavesPerEU: 21
; AccumOffset: 24
; Occupancy: 8
; WaveLimiterHint : 0
; COMPUTE_PGM_RSRC2:SCRATCH_EN: 0
; COMPUTE_PGM_RSRC2:USER_SGPR: 6
; COMPUTE_PGM_RSRC2:TRAP_HANDLER: 0
; COMPUTE_PGM_RSRC2:TGID_X_EN: 1
; COMPUTE_PGM_RSRC2:TGID_Y_EN: 0
; COMPUTE_PGM_RSRC2:TGID_Z_EN: 0
; COMPUTE_PGM_RSRC2:TIDIG_COMP_CNT: 0
; COMPUTE_PGM_RSRC3_GFX90A:ACCUM_OFFSET: 5
; COMPUTE_PGM_RSRC3_GFX90A:TG_SPLIT: 0
	.section	.text._ZN9rocsparseL33bsr2csr_block_per_row_8_32_kernelILj1024ELj32EdllEEv20rocsparse_direction_T3_S2_21rocsparse_index_base_PKT1_PKT2_PKS2_S2_S3_PS4_PS7_PS2_,"axG",@progbits,_ZN9rocsparseL33bsr2csr_block_per_row_8_32_kernelILj1024ELj32EdllEEv20rocsparse_direction_T3_S2_21rocsparse_index_base_PKT1_PKT2_PKS2_S2_S3_PS4_PS7_PS2_,comdat
	.globl	_ZN9rocsparseL33bsr2csr_block_per_row_8_32_kernelILj1024ELj32EdllEEv20rocsparse_direction_T3_S2_21rocsparse_index_base_PKT1_PKT2_PKS2_S2_S3_PS4_PS7_PS2_ ; -- Begin function _ZN9rocsparseL33bsr2csr_block_per_row_8_32_kernelILj1024ELj32EdllEEv20rocsparse_direction_T3_S2_21rocsparse_index_base_PKT1_PKT2_PKS2_S2_S3_PS4_PS7_PS2_
	.p2align	8
	.type	_ZN9rocsparseL33bsr2csr_block_per_row_8_32_kernelILj1024ELj32EdllEEv20rocsparse_direction_T3_S2_21rocsparse_index_base_PKT1_PKT2_PKS2_S2_S3_PS4_PS7_PS2_,@function
_ZN9rocsparseL33bsr2csr_block_per_row_8_32_kernelILj1024ELj32EdllEEv20rocsparse_direction_T3_S2_21rocsparse_index_base_PKT1_PKT2_PKS2_S2_S3_PS4_PS7_PS2_: ; @_ZN9rocsparseL33bsr2csr_block_per_row_8_32_kernelILj1024ELj32EdllEEv20rocsparse_direction_T3_S2_21rocsparse_index_base_PKT1_PKT2_PKS2_S2_S3_PS4_PS7_PS2_
; %bb.0:
	s_load_dwordx2 s[0:1], s[4:5], 0x28
	s_load_dword s22, s[4:5], 0x40
	s_load_dwordx2 s[16:17], s[4:5], 0x50
	s_mov_b32 s9, 0
	s_mov_b32 s7, s9
	s_lshl_b64 s[2:3], s[6:7], 3
	s_waitcnt lgkmcnt(0)
	s_add_u32 s12, s0, s2
	v_or_b32_e32 v1, s6, v0
	s_addc_u32 s13, s1, s3
	v_cmp_eq_u32_e32 vcc, 0, v1
	s_and_saveexec_b64 s[0:1], vcc
	s_cbranch_execz .LBB256_2
; %bb.1:
	v_mov_b32_e32 v2, s22
	v_mov_b32_e32 v3, 0
	global_store_dwordx2 v3, v[2:3], s[16:17]
.LBB256_2:
	s_or_b64 exec, exec, s[0:1]
	s_load_dwordx2 s[10:11], s[4:5], 0x38
	v_mov_b32_e32 v5, 0
	v_and_b32_e32 v4, 31, v0
	v_lshrrev_b32_e32 v0, 5, v0
	v_mov_b32_e32 v1, v5
	s_waitcnt lgkmcnt(0)
	v_cmp_gt_i64_e32 vcc, s[10:11], v[0:1]
	v_cmp_gt_i64_e64 s[0:1], s[10:11], v[4:5]
	s_and_b64 s[0:1], vcc, s[0:1]
	s_and_saveexec_b64 s[2:3], s[0:1]
	s_cbranch_execz .LBB256_6
; %bb.3:
	s_load_dwordx4 s[0:3], s[12:13], 0x0
	s_load_dword s8, s[4:5], 0x18
	s_mul_i32 s7, s10, s11
	s_mul_hi_u32 s18, s10, s10
	v_lshlrev_b32_e32 v1, 3, v0
	s_waitcnt lgkmcnt(0)
	s_sub_u32 s12, s0, s8
	s_subb_u32 s13, s1, 0
	s_sub_u32 s14, s2, s8
	s_subb_u32 s15, s3, 0
	s_add_i32 s18, s18, s7
	s_add_i32 s19, s18, s7
	s_mul_i32 s18, s10, s10
	s_mul_i32 s7, s12, s19
	s_mul_hi_u32 s20, s12, s18
	s_add_i32 s7, s20, s7
	s_mul_i32 s20, s13, s18
	s_add_i32 s21, s7, s20
	s_sub_u32 s24, s14, s12
	s_subb_u32 s23, s15, s13
	s_mul_i32 s7, s24, s11
	s_mul_hi_u32 s25, s24, s10
	s_add_i32 s7, s25, s7
	s_mul_i32 s25, s23, s10
	s_add_i32 s7, s7, s25
	s_mul_i32 s28, s24, s10
	s_add_u32 s26, s28, s22
	s_mul_i32 s20, s12, s18
	s_addc_u32 s27, s7, 0
	s_add_u32 s26, s26, s20
	s_addc_u32 s27, s27, s21
	v_pk_mov_b32 v[2:3], s[26:27], s[26:27] op_sel:[0,1]
	v_mad_u64_u32 v[2:3], s[26:27], s28, v0, v[2:3]
	v_mov_b32_e32 v6, v3
	v_mad_u64_u32 v[6:7], s[26:27], s7, v0, v[6:7]
	s_mul_i32 s7, s6, s11
	s_mul_hi_u32 s26, s6, s10
	s_add_i32 s7, s26, s7
	s_mul_i32 s6, s6, s10
	s_lshl_b64 s[6:7], s[6:7], 3
	s_add_u32 s6, s16, s6
	v_mov_b32_e32 v3, v6
	s_addc_u32 s7, s17, s7
	global_store_dwordx2 v1, v[2:3], s[6:7] offset:8
	v_pk_mov_b32 v[2:3], s[2:3], s[2:3] op_sel:[0,1]
	v_cmp_ge_i64_e32 vcc, s[0:1], v[2:3]
	s_cbranch_vccnz .LBB256_6
; %bb.4:
	s_load_dwordx2 s[26:27], s[4:5], 0x30
	s_load_dwordx2 s[2:3], s[4:5], 0x48
	;; [unrolled: 1-line block ×4, first 2 shown]
	s_load_dword s28, s[4:5], 0x0
	v_mad_u64_u32 v[6:7], s[4:5], v4, s10, 0
	v_mov_b32_e32 v8, v7
	v_mad_u64_u32 v[8:9], s[4:5], v4, s11, v[8:9]
	v_mov_b32_e32 v3, s9
	v_add_co_u32_e32 v2, vcc, s22, v4
	v_mov_b32_e32 v7, v8
	v_addc_co_u32_e32 v3, vcc, 0, v3, vcc
	v_lshlrev_b64 v[6:7], 3, v[6:7]
	s_waitcnt lgkmcnt(0)
	v_mov_b32_e32 v5, s17
	v_add_co_u32_e32 v6, vcc, s16, v6
	v_addc_co_u32_e32 v7, vcc, v5, v7, vcc
	v_add_co_u32_e32 v1, vcc, v6, v1
	v_addc_co_u32_e32 v10, vcc, 0, v7, vcc
	v_mad_u64_u32 v[6:7], s[4:5], v0, s10, 0
	v_mov_b32_e32 v8, v7
	v_mad_u64_u32 v[8:9], s[4:5], v0, s11, v[8:9]
	v_mov_b32_e32 v7, v8
	v_lshlrev_b64 v[6:7], 3, v[6:7]
	v_add_co_u32_e32 v6, vcc, s16, v6
	v_addc_co_u32_e32 v5, vcc, v5, v7, vcc
	v_lshlrev_b32_e32 v9, 3, v4
	v_add_co_u32_e32 v4, vcc, v6, v9
	s_cmp_eq_u32 s28, 0
	v_addc_co_u32_e32 v5, vcc, 0, v5, vcc
	s_cselect_b64 vcc, -1, 0
	s_mul_i32 s16, s10, s13
	s_mul_hi_u32 s17, s10, s12
	v_cndmask_b32_e32 v1, v1, v4, vcc
	s_lshl_b64 s[4:5], s[20:21], 3
	s_add_i32 s16, s17, s16
	s_mul_i32 s17, s11, s12
	v_cndmask_b32_e32 v5, v10, v5, vcc
	v_mov_b32_e32 v6, s5
	v_add_co_u32_e32 v4, vcc, s4, v1
	s_add_i32 s16, s16, s17
	s_mul_i32 s17, s10, s12
	v_addc_co_u32_e32 v5, vcc, v5, v6, vcc
	v_mov_b32_e32 v6, s17
	v_mov_b32_e32 v7, s16
	v_mad_u64_u32 v[6:7], s[16:17], v0, s24, v[6:7]
	v_mov_b32_e32 v8, v7
	v_mad_u64_u32 v[0:1], s[16:17], v0, s23, v[8:9]
	v_mul_lo_u32 v8, s10, v0
	v_mad_u64_u32 v[0:1], s[16:17], s10, v6, 0
	s_lshl_b64 s[4:5], s[18:19], 3
	v_mul_lo_u32 v7, s11, v6
	s_lshl_b64 s[16:17], s[10:11], 3
	s_lshl_b64 s[0:1], s[0:1], 3
	;; [unrolled: 1-line block ×3, first 2 shown]
	v_add3_u32 v1, v1, v8, v7
	s_sub_u32 s0, s0, s18
	v_lshlrev_b64 v[0:1], 3, v[0:1]
	s_subb_u32 s1, s1, s19
	v_add_co_u32_e32 v0, vcc, v0, v9
	s_add_u32 s0, s26, s0
	v_addc_co_u32_e32 v1, vcc, 0, v1, vcc
	s_addc_u32 s1, s27, s1
	v_mov_b32_e32 v8, s10
	v_mov_b32_e32 v9, s7
	;; [unrolled: 1-line block ×5, first 2 shown]
	v_pk_mov_b32 v[6:7], s[14:15], s[14:15] op_sel:[0,1]
.LBB256_5:                              ; =>This Inner Loop Header: Depth=1
	global_load_dwordx2 v[14:15], v[4:5], off
	s_load_dwordx2 s[14:15], s[0:1], 0x0
	v_add_co_u32_e32 v16, vcc, s6, v0
	v_addc_co_u32_e32 v17, vcc, v9, v1, vcc
	v_add_co_u32_e32 v18, vcc, s2, v0
	s_waitcnt lgkmcnt(0)
	s_sub_u32 s3, s14, s8
	v_addc_co_u32_e32 v19, vcc, v10, v1, vcc
	s_subb_u32 s5, s15, 0
	v_add_co_u32_e32 v4, vcc, s4, v4
	s_mul_i32 s7, s3, s11
	s_mul_i32 s5, s5, s10
	v_addc_co_u32_e32 v5, vcc, v5, v11, vcc
	s_add_i32 s7, s7, s5
	v_add_co_u32_e32 v0, vcc, s16, v0
	s_add_u32 s12, s12, 1
	v_addc_co_u32_e32 v1, vcc, v1, v12, vcc
	s_addc_u32 s13, s13, 0
	v_mad_u64_u32 v[20:21], s[14:15], s3, v8, v[2:3]
	s_add_u32 s0, s0, 8
	v_cmp_lt_i64_e32 vcc, s[12:13], v[6:7]
	v_add_u32_e32 v21, s7, v21
	s_addc_u32 s1, s1, 0
	global_store_dwordx2 v[16:17], v[20:21], off
	s_waitcnt vmcnt(1)
	global_store_dwordx2 v[18:19], v[14:15], off
	s_cbranch_vccnz .LBB256_5
.LBB256_6:
	s_endpgm
	.section	.rodata,"a",@progbits
	.p2align	6, 0x0
	.amdhsa_kernel _ZN9rocsparseL33bsr2csr_block_per_row_8_32_kernelILj1024ELj32EdllEEv20rocsparse_direction_T3_S2_21rocsparse_index_base_PKT1_PKT2_PKS2_S2_S3_PS4_PS7_PS2_
		.amdhsa_group_segment_fixed_size 0
		.amdhsa_private_segment_fixed_size 0
		.amdhsa_kernarg_size 96
		.amdhsa_user_sgpr_count 6
		.amdhsa_user_sgpr_private_segment_buffer 1
		.amdhsa_user_sgpr_dispatch_ptr 0
		.amdhsa_user_sgpr_queue_ptr 0
		.amdhsa_user_sgpr_kernarg_segment_ptr 1
		.amdhsa_user_sgpr_dispatch_id 0
		.amdhsa_user_sgpr_flat_scratch_init 0
		.amdhsa_user_sgpr_kernarg_preload_length 0
		.amdhsa_user_sgpr_kernarg_preload_offset 0
		.amdhsa_user_sgpr_private_segment_size 0
		.amdhsa_uses_dynamic_stack 0
		.amdhsa_system_sgpr_private_segment_wavefront_offset 0
		.amdhsa_system_sgpr_workgroup_id_x 1
		.amdhsa_system_sgpr_workgroup_id_y 0
		.amdhsa_system_sgpr_workgroup_id_z 0
		.amdhsa_system_sgpr_workgroup_info 0
		.amdhsa_system_vgpr_workitem_id 0
		.amdhsa_next_free_vgpr 22
		.amdhsa_next_free_sgpr 29
		.amdhsa_accum_offset 24
		.amdhsa_reserve_vcc 1
		.amdhsa_reserve_flat_scratch 0
		.amdhsa_float_round_mode_32 0
		.amdhsa_float_round_mode_16_64 0
		.amdhsa_float_denorm_mode_32 3
		.amdhsa_float_denorm_mode_16_64 3
		.amdhsa_dx10_clamp 1
		.amdhsa_ieee_mode 1
		.amdhsa_fp16_overflow 0
		.amdhsa_tg_split 0
		.amdhsa_exception_fp_ieee_invalid_op 0
		.amdhsa_exception_fp_denorm_src 0
		.amdhsa_exception_fp_ieee_div_zero 0
		.amdhsa_exception_fp_ieee_overflow 0
		.amdhsa_exception_fp_ieee_underflow 0
		.amdhsa_exception_fp_ieee_inexact 0
		.amdhsa_exception_int_div_zero 0
	.end_amdhsa_kernel
	.section	.text._ZN9rocsparseL33bsr2csr_block_per_row_8_32_kernelILj1024ELj32EdllEEv20rocsparse_direction_T3_S2_21rocsparse_index_base_PKT1_PKT2_PKS2_S2_S3_PS4_PS7_PS2_,"axG",@progbits,_ZN9rocsparseL33bsr2csr_block_per_row_8_32_kernelILj1024ELj32EdllEEv20rocsparse_direction_T3_S2_21rocsparse_index_base_PKT1_PKT2_PKS2_S2_S3_PS4_PS7_PS2_,comdat
.Lfunc_end256:
	.size	_ZN9rocsparseL33bsr2csr_block_per_row_8_32_kernelILj1024ELj32EdllEEv20rocsparse_direction_T3_S2_21rocsparse_index_base_PKT1_PKT2_PKS2_S2_S3_PS4_PS7_PS2_, .Lfunc_end256-_ZN9rocsparseL33bsr2csr_block_per_row_8_32_kernelILj1024ELj32EdllEEv20rocsparse_direction_T3_S2_21rocsparse_index_base_PKT1_PKT2_PKS2_S2_S3_PS4_PS7_PS2_
                                        ; -- End function
	.section	.AMDGPU.csdata,"",@progbits
; Kernel info:
; codeLenInByte = 836
; NumSgprs: 33
; NumVgprs: 22
; NumAgprs: 0
; TotalNumVgprs: 22
; ScratchSize: 0
; MemoryBound: 0
; FloatMode: 240
; IeeeMode: 1
; LDSByteSize: 0 bytes/workgroup (compile time only)
; SGPRBlocks: 4
; VGPRBlocks: 2
; NumSGPRsForWavesPerEU: 33
; NumVGPRsForWavesPerEU: 22
; AccumOffset: 24
; Occupancy: 8
; WaveLimiterHint : 0
; COMPUTE_PGM_RSRC2:SCRATCH_EN: 0
; COMPUTE_PGM_RSRC2:USER_SGPR: 6
; COMPUTE_PGM_RSRC2:TRAP_HANDLER: 0
; COMPUTE_PGM_RSRC2:TGID_X_EN: 1
; COMPUTE_PGM_RSRC2:TGID_Y_EN: 0
; COMPUTE_PGM_RSRC2:TGID_Z_EN: 0
; COMPUTE_PGM_RSRC2:TIDIG_COMP_CNT: 0
; COMPUTE_PGM_RSRC3_GFX90A:ACCUM_OFFSET: 5
; COMPUTE_PGM_RSRC3_GFX90A:TG_SPLIT: 0
	.section	.text._ZN9rocsparseL35bsr2csr_block_per_row_33_256_kernelILj1024ELj64ELj32EdllEEv20rocsparse_direction_T4_S2_21rocsparse_index_base_PKT2_PKT3_PKS2_S2_S3_PS4_PS7_PS2_,"axG",@progbits,_ZN9rocsparseL35bsr2csr_block_per_row_33_256_kernelILj1024ELj64ELj32EdllEEv20rocsparse_direction_T4_S2_21rocsparse_index_base_PKT2_PKT3_PKS2_S2_S3_PS4_PS7_PS2_,comdat
	.globl	_ZN9rocsparseL35bsr2csr_block_per_row_33_256_kernelILj1024ELj64ELj32EdllEEv20rocsparse_direction_T4_S2_21rocsparse_index_base_PKT2_PKT3_PKS2_S2_S3_PS4_PS7_PS2_ ; -- Begin function _ZN9rocsparseL35bsr2csr_block_per_row_33_256_kernelILj1024ELj64ELj32EdllEEv20rocsparse_direction_T4_S2_21rocsparse_index_base_PKT2_PKT3_PKS2_S2_S3_PS4_PS7_PS2_
	.p2align	8
	.type	_ZN9rocsparseL35bsr2csr_block_per_row_33_256_kernelILj1024ELj64ELj32EdllEEv20rocsparse_direction_T4_S2_21rocsparse_index_base_PKT2_PKT3_PKS2_S2_S3_PS4_PS7_PS2_,@function
_ZN9rocsparseL35bsr2csr_block_per_row_33_256_kernelILj1024ELj64ELj32EdllEEv20rocsparse_direction_T4_S2_21rocsparse_index_base_PKT2_PKT3_PKS2_S2_S3_PS4_PS7_PS2_: ; @_ZN9rocsparseL35bsr2csr_block_per_row_33_256_kernelILj1024ELj64ELj32EdllEEv20rocsparse_direction_T4_S2_21rocsparse_index_base_PKT2_PKT3_PKS2_S2_S3_PS4_PS7_PS2_
; %bb.0:
	s_load_dwordx2 s[2:3], s[4:5], 0x28
	s_load_dword s12, s[4:5], 0x40
	s_load_dwordx2 s[0:1], s[4:5], 0x50
	s_mov_b32 s15, 0
	s_mov_b32 s7, s15
	s_lshl_b64 s[8:9], s[6:7], 3
	s_waitcnt lgkmcnt(0)
	s_add_u32 s2, s2, s8
	s_addc_u32 s3, s3, s9
	s_load_dwordx4 s[8:11], s[2:3], 0x0
	v_or_b32_e32 v1, s6, v0
	v_cmp_eq_u32_e32 vcc, 0, v1
	s_and_saveexec_b64 s[2:3], vcc
	s_cbranch_execz .LBB257_2
; %bb.1:
	s_mov_b32 s13, s15
	v_mov_b32_e32 v1, 0
	v_pk_mov_b32 v[2:3], s[12:13], s[12:13] op_sel:[0,1]
	global_store_dwordx2 v1, v[2:3], s[0:1]
.LBB257_2:
	s_or_b64 exec, exec, s[2:3]
	s_load_dword s14, s[4:5], 0x18
	s_load_dwordx2 s[16:17], s[4:5], 0x38
	v_mov_b32_e32 v15, 0
	v_lshrrev_b32_e32 v14, 5, v0
	v_lshlrev_b32_e32 v12, 3, v14
	s_waitcnt lgkmcnt(0)
	s_sub_u32 s18, s8, s14
	s_subb_u32 s19, s9, 0
	s_mul_i32 s2, s18, s17
	s_sub_u32 s20, s10, s14
	s_mul_hi_u32 s3, s18, s16
	s_subb_u32 s21, s11, 0
	s_add_i32 s2, s3, s2
	s_mul_i32 s3, s19, s16
	s_mul_i32 s30, s18, s16
	s_add_i32 s31, s2, s3
	s_mul_i32 s2, s30, s17
	s_mul_hi_u32 s3, s30, s16
	s_add_i32 s2, s3, s2
	s_mul_i32 s3, s31, s16
	s_add_i32 s2, s2, s3
	s_sub_u32 s33, s20, s18
	s_subb_u32 s13, s21, s19
	s_mul_i32 s7, s33, s17
	s_mul_hi_u32 s22, s33, s16
	s_add_i32 s7, s22, s7
	s_mul_i32 s22, s13, s16
	s_mul_i32 s3, s30, s16
	s_add_i32 s26, s7, s22
	s_add_u32 s3, s3, s12
	s_mul_i32 s27, s33, s16
	s_addc_u32 s2, s2, 0
	s_add_u32 s22, s3, s27
	s_addc_u32 s23, s2, s26
	s_mul_i32 s2, s6, s17
	s_mul_hi_u32 s3, s6, s16
	s_add_i32 s3, s3, s2
	s_mul_i32 s2, s6, s16
	s_lshl_b64 s[2:3], s[2:3], 3
	s_add_u32 s0, s0, s2
	s_addc_u32 s1, s1, s3
	v_cmp_gt_i64_e64 s[2:3], s[16:17], v[14:15]
	s_and_saveexec_b64 s[6:7], s[2:3]
	s_cbranch_execz .LBB257_4
; %bb.3:
	v_pk_mov_b32 v[2:3], s[22:23], s[22:23] op_sel:[0,1]
	v_mad_u64_u32 v[2:3], s[24:25], v14, s27, v[2:3]
	v_mov_b32_e32 v4, v3
	v_mad_u64_u32 v[4:5], s[24:25], v14, s26, v[4:5]
	v_mov_b32_e32 v3, v4
	global_store_dwordx2 v12, v[2:3], s[0:1] offset:8
.LBB257_4:
	s_or_b64 exec, exec, s[6:7]
	v_or_b32_e32 v2, 32, v14
	v_mov_b32_e32 v3, v15
	v_cmp_gt_i64_e64 s[6:7], s[16:17], v[2:3]
	s_and_saveexec_b64 s[24:25], s[6:7]
	s_cbranch_execz .LBB257_6
; %bb.5:
	v_pk_mov_b32 v[4:5], s[22:23], s[22:23] op_sel:[0,1]
	v_mad_u64_u32 v[4:5], s[22:23], v2, s27, v[4:5]
	v_mov_b32_e32 v6, v5
	s_add_u32 s0, s0, 8
	v_mad_u64_u32 v[2:3], s[22:23], v2, s26, v[6:7]
	s_addc_u32 s1, s1, 0
	v_mov_b32_e32 v5, v2
	global_store_dwordx2 v12, v[4:5], s[0:1] offset:256
.LBB257_6:
	s_or_b64 exec, exec, s[24:25]
	v_pk_mov_b32 v[2:3], s[10:11], s[10:11] op_sel:[0,1]
	v_cmp_lt_i64_e32 vcc, s[8:9], v[2:3]
	s_cbranch_vccz .LBB257_17
; %bb.7:
	s_load_dwordx2 s[28:29], s[4:5], 0x30
	s_load_dwordx2 s[34:35], s[4:5], 0x48
	s_load_dword s0, s[4:5], 0x0
	s_load_dwordx2 s[22:23], s[4:5], 0x20
	s_load_dwordx2 s[36:37], s[4:5], 0x58
	v_and_b32_e32 v0, 31, v0
	v_mov_b32_e32 v1, 0
	s_waitcnt lgkmcnt(0)
	s_cmp_eq_u32 s0, 0
	s_cselect_b64 s[0:1], -1, 0
	v_cmp_gt_i64_e32 vcc, s[16:17], v[0:1]
	v_or_b32_e32 v2, 32, v0
	v_mov_b32_e32 v3, v1
	s_lshl_b64 s[38:39], s[30:31], 3
	s_and_b64 s[24:25], s[2:3], vcc
	v_cmp_gt_i64_e64 s[4:5], s[16:17], v[2:3]
	s_and_b64 s[26:27], s[6:7], vcc
	v_mov_b32_e32 v13, v1
	v_mov_b32_e32 v1, s39
	v_add_co_u32_e32 v3, vcc, s38, v12
	v_addc_co_u32_e32 v5, vcc, 0, v1, vcc
	s_movk_i32 s42, 0x100
	v_add_co_u32_e32 v6, vcc, s42, v3
	v_addc_co_u32_e32 v7, vcc, 0, v5, vcc
	v_pk_mov_b32 v[8:9], s[22:23], s[22:23] op_sel:[0,1]
	s_and_b64 s[2:3], s[2:3], s[4:5]
	s_and_b64 s[4:5], s[6:7], s[4:5]
	v_lshlrev_b32_e32 v4, 3, v0
	v_mul_lo_u32 v10, s16, v7
	v_mul_lo_u32 v11, s17, v6
	v_mad_u64_u32 v[6:7], s[6:7], s16, v6, v[8:9]
	v_add3_u32 v7, v11, v7, v10
	v_mul_lo_u32 v10, s17, v3
	v_mad_u64_u32 v[8:9], s[40:41], s16, v3, v[8:9]
	v_add_co_u32_e32 v3, vcc, s38, v4
	v_mul_lo_u32 v5, s16, v5
	v_addc_co_u32_e32 v1, vcc, 0, v1, vcc
	v_add3_u32 v9, v10, v9, v5
	v_add_co_u32_e32 v5, vcc, s42, v3
	v_addc_co_u32_e32 v10, vcc, 0, v1, vcc
	v_mul_lo_u32 v15, s16, v10
	v_mul_lo_u32 v16, s17, v5
	v_mad_u64_u32 v[10:11], s[38:39], s16, v5, v[12:13]
	v_add3_u32 v11, v16, v11, v15
	v_pk_mov_b32 v[16:17], s[30:31], s[30:31] op_sel:[0,1]
	v_mad_u64_u32 v[16:17], s[30:31], v14, s33, v[16:17]
	v_mov_b32_e32 v18, v17
	s_mul_i32 s6, s16, s17
	s_mul_hi_u32 s7, s16, s16
	v_mul_lo_u32 v1, s16, v1
	v_mul_lo_u32 v5, s17, v3
	v_mad_u64_u32 v[12:13], s[38:39], s16, v3, v[12:13]
	v_mad_u64_u32 v[14:15], s[30:31], v14, s13, v[18:19]
	s_add_i32 s7, s7, s6
	v_add3_u32 v13, v5, v13, v1
	v_mov_b32_e32 v3, v14
	v_mul_lo_u32 v1, s17, v16
	v_mul_lo_u32 v5, s16, v14
	v_mad_u64_u32 v[14:15], s[30:31], s16, v16, 0
	s_add_i32 s7, s7, s6
	s_mul_i32 s6, s16, s16
	v_add3_u32 v15, v15, v5, v1
	s_lshl_b64 s[6:7], s[6:7], 3
	s_lshl_b64 s[38:39], s[8:9], 3
	;; [unrolled: 1-line block ×3, first 2 shown]
	v_lshlrev_b64 v[14:15], 3, v[14:15]
	s_sub_u32 s15, s38, s40
	v_add_co_u32_e32 v20, vcc, s42, v14
	s_subb_u32 s38, s39, s41
	v_addc_co_u32_e32 v15, vcc, 0, v15, vcc
	s_add_u32 s28, s28, s15
	v_mov_b32_e32 v5, s37
	v_add_co_u32_e32 v14, vcc, s36, v20
	s_addc_u32 s29, s29, s38
	v_addc_co_u32_e32 v1, vcc, v5, v15, vcc
	s_lshl_b64 s[10:11], s[10:11], 5
	v_mov_b32_e32 v17, s11
	v_add_co_u32_e32 v16, vcc, s10, v16
	v_addc_co_u32_e32 v3, vcc, v3, v17, vcc
	s_lshl_b64 s[8:9], s[8:9], 5
	v_mov_b32_e32 v17, s9
	v_subrev_co_u32_e32 v16, vcc, s8, v16
	v_subb_co_u32_e32 v3, vcc, v3, v17, vcc
	v_mul_lo_u32 v18, s17, v16
	v_mul_lo_u32 v3, s16, v3
	v_mad_u64_u32 v[16:17], s[8:9], s16, v16, 0
	v_add3_u32 v17, v17, v3, v18
	v_lshlrev_b64 v[18:19], 3, v[16:17]
	v_mov_b32_e32 v17, s35
	v_add_co_u32_e32 v16, vcc, s34, v18
	v_addc_co_u32_e32 v3, vcc, v17, v19, vcc
	v_add_co_u32_e32 v18, vcc, s36, v18
	v_addc_co_u32_e32 v5, vcc, v5, v19, vcc
	v_add_co_u32_e32 v20, vcc, s34, v20
	s_lshl_b64 s[30:31], s[16:17], 3
	v_addc_co_u32_e32 v15, vcc, v17, v15, vcc
	s_branch .LBB257_9
.LBB257_8:                              ;   in Loop: Header=BB257_9 Depth=1
	s_or_b64 exec, exec, s[8:9]
	v_mov_b32_e32 v17, s7
	v_add_co_u32_e32 v6, vcc, s6, v6
	v_addc_co_u32_e32 v7, vcc, v7, v17, vcc
	v_add_co_u32_e32 v8, vcc, s6, v8
	v_addc_co_u32_e32 v9, vcc, v9, v17, vcc
	v_mov_b32_e32 v17, s31
	v_add_co_u32_e32 v14, vcc, s30, v14
	v_addc_co_u32_e32 v1, vcc, v1, v17, vcc
	v_add_co_u32_e32 v16, vcc, s30, v16
	v_addc_co_u32_e32 v3, vcc, v3, v17, vcc
	s_add_u32 s18, s18, 1
	v_add_co_u32_e32 v18, vcc, s30, v18
	s_addc_u32 s19, s19, 0
	v_addc_co_u32_e32 v5, vcc, v5, v17, vcc
	s_add_u32 s22, s22, s6
	v_add_co_u32_e32 v20, vcc, s30, v20
	s_addc_u32 s23, s23, s7
	v_addc_co_u32_e32 v15, vcc, v15, v17, vcc
	v_pk_mov_b32 v[22:23], s[20:21], s[20:21] op_sel:[0,1]
	s_add_u32 s28, s28, 8
	v_cmp_ge_i64_e32 vcc, s[18:19], v[22:23]
	s_addc_u32 s29, s29, 0
	s_cbranch_vccnz .LBB257_17
.LBB257_9:                              ; =>This Inner Loop Header: Depth=1
	s_load_dwordx2 s[8:9], s[28:29], 0x0
	s_waitcnt lgkmcnt(0)
	s_sub_u32 s8, s8, s14
	s_subb_u32 s9, s9, 0
	s_mul_i32 s10, s8, s17
	s_mul_hi_u32 s11, s8, s16
	s_add_i32 s10, s11, s10
	s_mul_i32 s9, s9, s16
	s_add_i32 s9, s10, s9
	s_mul_i32 s8, s8, s16
	s_add_u32 s10, s8, s12
	s_addc_u32 s11, s9, 0
	s_and_saveexec_b64 s[8:9], s[24:25]
	s_cbranch_execnz .LBB257_13
; %bb.10:                               ;   in Loop: Header=BB257_9 Depth=1
	s_or_b64 exec, exec, s[8:9]
	s_and_saveexec_b64 s[8:9], s[2:3]
	s_cbranch_execnz .LBB257_14
.LBB257_11:                             ;   in Loop: Header=BB257_9 Depth=1
	s_or_b64 exec, exec, s[8:9]
	s_and_saveexec_b64 s[8:9], s[26:27]
	s_cbranch_execnz .LBB257_15
.LBB257_12:                             ;   in Loop: Header=BB257_9 Depth=1
	s_or_b64 exec, exec, s[8:9]
	s_and_saveexec_b64 s[8:9], s[4:5]
	s_cbranch_execz .LBB257_8
	s_branch .LBB257_16
.LBB257_13:                             ;   in Loop: Header=BB257_9 Depth=1
	v_add_co_u32_e32 v17, vcc, v8, v4
	v_addc_co_u32_e32 v19, vcc, 0, v9, vcc
	v_mov_b32_e32 v21, s23
	v_add_co_u32_e32 v22, vcc, s22, v12
	v_addc_co_u32_e32 v21, vcc, v21, v13, vcc
	v_cndmask_b32_e64 v23, v21, v19, s[0:1]
	v_cndmask_b32_e64 v22, v22, v17, s[0:1]
	global_load_dwordx2 v[22:23], v[22:23], off
	v_mov_b32_e32 v17, s11
	v_add_co_u32_e32 v24, vcc, s10, v0
	v_addc_co_u32_e32 v25, vcc, 0, v17, vcc
	v_add_co_u32_e32 v26, vcc, v14, v4
	v_addc_co_u32_e32 v27, vcc, 0, v1, vcc
	global_store_dwordx2 v[26:27], v[24:25], off offset:-256
	v_add_co_u32_e32 v24, vcc, v20, v4
	v_addc_co_u32_e32 v25, vcc, 0, v15, vcc
	s_waitcnt vmcnt(1)
	global_store_dwordx2 v[24:25], v[22:23], off offset:-256
	s_or_b64 exec, exec, s[8:9]
	s_and_saveexec_b64 s[8:9], s[2:3]
	s_cbranch_execz .LBB257_11
.LBB257_14:                             ;   in Loop: Header=BB257_9 Depth=1
	v_add_co_u32_e32 v17, vcc, v8, v4
	v_addc_co_u32_e32 v19, vcc, 0, v9, vcc
	v_add_co_u32_e32 v17, vcc, 0x100, v17
	v_addc_co_u32_e32 v19, vcc, 0, v19, vcc
	v_mov_b32_e32 v21, s23
	v_add_co_u32_e32 v22, vcc, s22, v10
	v_addc_co_u32_e32 v21, vcc, v21, v11, vcc
	v_cndmask_b32_e64 v23, v21, v19, s[0:1]
	v_cndmask_b32_e64 v22, v22, v17, s[0:1]
	global_load_dwordx2 v[22:23], v[22:23], off
	v_mov_b32_e32 v17, s11
	v_add_co_u32_e32 v24, vcc, s10, v2
	v_addc_co_u32_e32 v25, vcc, 0, v17, vcc
	v_add_co_u32_e32 v26, vcc, v14, v4
	v_addc_co_u32_e32 v27, vcc, 0, v1, vcc
	global_store_dwordx2 v[26:27], v[24:25], off
	v_add_co_u32_e32 v24, vcc, v20, v4
	v_addc_co_u32_e32 v25, vcc, 0, v15, vcc
	s_waitcnt vmcnt(1)
	global_store_dwordx2 v[24:25], v[22:23], off
	s_or_b64 exec, exec, s[8:9]
	s_and_saveexec_b64 s[8:9], s[26:27]
	s_cbranch_execz .LBB257_12
.LBB257_15:                             ;   in Loop: Header=BB257_9 Depth=1
	v_add_co_u32_e32 v17, vcc, v6, v4
	v_addc_co_u32_e32 v19, vcc, 0, v7, vcc
	v_mov_b32_e32 v21, s23
	v_add_co_u32_e32 v22, vcc, s22, v12
	v_addc_co_u32_e32 v21, vcc, v21, v13, vcc
	v_add_co_u32_e32 v22, vcc, 0x100, v22
	v_addc_co_u32_e32 v21, vcc, 0, v21, vcc
	v_cndmask_b32_e64 v23, v21, v19, s[0:1]
	v_cndmask_b32_e64 v22, v22, v17, s[0:1]
	global_load_dwordx2 v[22:23], v[22:23], off
	v_mov_b32_e32 v17, s11
	v_add_co_u32_e32 v24, vcc, s10, v0
	v_addc_co_u32_e32 v25, vcc, 0, v17, vcc
	v_add_co_u32_e32 v26, vcc, v18, v4
	v_addc_co_u32_e32 v27, vcc, 0, v5, vcc
	global_store_dwordx2 v[26:27], v[24:25], off
	v_add_co_u32_e32 v24, vcc, v16, v4
	v_addc_co_u32_e32 v25, vcc, 0, v3, vcc
	s_waitcnt vmcnt(1)
	global_store_dwordx2 v[24:25], v[22:23], off
	s_or_b64 exec, exec, s[8:9]
	s_and_saveexec_b64 s[8:9], s[4:5]
	s_cbranch_execz .LBB257_8
.LBB257_16:                             ;   in Loop: Header=BB257_9 Depth=1
	v_add_co_u32_e32 v17, vcc, v6, v4
	v_addc_co_u32_e32 v19, vcc, 0, v7, vcc
	v_mov_b32_e32 v21, s23
	v_add_co_u32_e32 v22, vcc, s22, v10
	v_addc_co_u32_e32 v21, vcc, v21, v11, vcc
	v_cndmask_b32_e64 v23, v21, v19, s[0:1]
	v_cndmask_b32_e64 v22, v22, v17, s[0:1]
	global_load_dwordx2 v[22:23], v[22:23], off offset:256
	v_mov_b32_e32 v17, s11
	v_add_co_u32_e32 v24, vcc, s10, v2
	v_addc_co_u32_e32 v25, vcc, 0, v17, vcc
	v_add_co_u32_e32 v26, vcc, v18, v4
	v_addc_co_u32_e32 v27, vcc, 0, v5, vcc
	global_store_dwordx2 v[26:27], v[24:25], off offset:256
	v_add_co_u32_e32 v24, vcc, v16, v4
	v_addc_co_u32_e32 v25, vcc, 0, v3, vcc
	s_waitcnt vmcnt(1)
	global_store_dwordx2 v[24:25], v[22:23], off offset:256
	s_branch .LBB257_8
.LBB257_17:
	s_endpgm
	.section	.rodata,"a",@progbits
	.p2align	6, 0x0
	.amdhsa_kernel _ZN9rocsparseL35bsr2csr_block_per_row_33_256_kernelILj1024ELj64ELj32EdllEEv20rocsparse_direction_T4_S2_21rocsparse_index_base_PKT2_PKT3_PKS2_S2_S3_PS4_PS7_PS2_
		.amdhsa_group_segment_fixed_size 0
		.amdhsa_private_segment_fixed_size 0
		.amdhsa_kernarg_size 96
		.amdhsa_user_sgpr_count 6
		.amdhsa_user_sgpr_private_segment_buffer 1
		.amdhsa_user_sgpr_dispatch_ptr 0
		.amdhsa_user_sgpr_queue_ptr 0
		.amdhsa_user_sgpr_kernarg_segment_ptr 1
		.amdhsa_user_sgpr_dispatch_id 0
		.amdhsa_user_sgpr_flat_scratch_init 0
		.amdhsa_user_sgpr_kernarg_preload_length 0
		.amdhsa_user_sgpr_kernarg_preload_offset 0
		.amdhsa_user_sgpr_private_segment_size 0
		.amdhsa_uses_dynamic_stack 0
		.amdhsa_system_sgpr_private_segment_wavefront_offset 0
		.amdhsa_system_sgpr_workgroup_id_x 1
		.amdhsa_system_sgpr_workgroup_id_y 0
		.amdhsa_system_sgpr_workgroup_id_z 0
		.amdhsa_system_sgpr_workgroup_info 0
		.amdhsa_system_vgpr_workitem_id 0
		.amdhsa_next_free_vgpr 28
		.amdhsa_next_free_sgpr 43
		.amdhsa_accum_offset 28
		.amdhsa_reserve_vcc 1
		.amdhsa_reserve_flat_scratch 0
		.amdhsa_float_round_mode_32 0
		.amdhsa_float_round_mode_16_64 0
		.amdhsa_float_denorm_mode_32 3
		.amdhsa_float_denorm_mode_16_64 3
		.amdhsa_dx10_clamp 1
		.amdhsa_ieee_mode 1
		.amdhsa_fp16_overflow 0
		.amdhsa_tg_split 0
		.amdhsa_exception_fp_ieee_invalid_op 0
		.amdhsa_exception_fp_denorm_src 0
		.amdhsa_exception_fp_ieee_div_zero 0
		.amdhsa_exception_fp_ieee_overflow 0
		.amdhsa_exception_fp_ieee_underflow 0
		.amdhsa_exception_fp_ieee_inexact 0
		.amdhsa_exception_int_div_zero 0
	.end_amdhsa_kernel
	.section	.text._ZN9rocsparseL35bsr2csr_block_per_row_33_256_kernelILj1024ELj64ELj32EdllEEv20rocsparse_direction_T4_S2_21rocsparse_index_base_PKT2_PKT3_PKS2_S2_S3_PS4_PS7_PS2_,"axG",@progbits,_ZN9rocsparseL35bsr2csr_block_per_row_33_256_kernelILj1024ELj64ELj32EdllEEv20rocsparse_direction_T4_S2_21rocsparse_index_base_PKT2_PKT3_PKS2_S2_S3_PS4_PS7_PS2_,comdat
.Lfunc_end257:
	.size	_ZN9rocsparseL35bsr2csr_block_per_row_33_256_kernelILj1024ELj64ELj32EdllEEv20rocsparse_direction_T4_S2_21rocsparse_index_base_PKT2_PKT3_PKS2_S2_S3_PS4_PS7_PS2_, .Lfunc_end257-_ZN9rocsparseL35bsr2csr_block_per_row_33_256_kernelILj1024ELj64ELj32EdllEEv20rocsparse_direction_T4_S2_21rocsparse_index_base_PKT2_PKT3_PKS2_S2_S3_PS4_PS7_PS2_
                                        ; -- End function
	.section	.AMDGPU.csdata,"",@progbits
; Kernel info:
; codeLenInByte = 1592
; NumSgprs: 47
; NumVgprs: 28
; NumAgprs: 0
; TotalNumVgprs: 28
; ScratchSize: 0
; MemoryBound: 0
; FloatMode: 240
; IeeeMode: 1
; LDSByteSize: 0 bytes/workgroup (compile time only)
; SGPRBlocks: 5
; VGPRBlocks: 3
; NumSGPRsForWavesPerEU: 47
; NumVGPRsForWavesPerEU: 28
; AccumOffset: 28
; Occupancy: 8
; WaveLimiterHint : 1
; COMPUTE_PGM_RSRC2:SCRATCH_EN: 0
; COMPUTE_PGM_RSRC2:USER_SGPR: 6
; COMPUTE_PGM_RSRC2:TRAP_HANDLER: 0
; COMPUTE_PGM_RSRC2:TGID_X_EN: 1
; COMPUTE_PGM_RSRC2:TGID_Y_EN: 0
; COMPUTE_PGM_RSRC2:TGID_Z_EN: 0
; COMPUTE_PGM_RSRC2:TIDIG_COMP_CNT: 0
; COMPUTE_PGM_RSRC3_GFX90A:ACCUM_OFFSET: 6
; COMPUTE_PGM_RSRC3_GFX90A:TG_SPLIT: 0
	.section	.text._ZN9rocsparseL35bsr2csr_block_per_row_33_256_kernelILj1024ELj128ELj32EdllEEv20rocsparse_direction_T4_S2_21rocsparse_index_base_PKT2_PKT3_PKS2_S2_S3_PS4_PS7_PS2_,"axG",@progbits,_ZN9rocsparseL35bsr2csr_block_per_row_33_256_kernelILj1024ELj128ELj32EdllEEv20rocsparse_direction_T4_S2_21rocsparse_index_base_PKT2_PKT3_PKS2_S2_S3_PS4_PS7_PS2_,comdat
	.globl	_ZN9rocsparseL35bsr2csr_block_per_row_33_256_kernelILj1024ELj128ELj32EdllEEv20rocsparse_direction_T4_S2_21rocsparse_index_base_PKT2_PKT3_PKS2_S2_S3_PS4_PS7_PS2_ ; -- Begin function _ZN9rocsparseL35bsr2csr_block_per_row_33_256_kernelILj1024ELj128ELj32EdllEEv20rocsparse_direction_T4_S2_21rocsparse_index_base_PKT2_PKT3_PKS2_S2_S3_PS4_PS7_PS2_
	.p2align	8
	.type	_ZN9rocsparseL35bsr2csr_block_per_row_33_256_kernelILj1024ELj128ELj32EdllEEv20rocsparse_direction_T4_S2_21rocsparse_index_base_PKT2_PKT3_PKS2_S2_S3_PS4_PS7_PS2_,@function
_ZN9rocsparseL35bsr2csr_block_per_row_33_256_kernelILj1024ELj128ELj32EdllEEv20rocsparse_direction_T4_S2_21rocsparse_index_base_PKT2_PKT3_PKS2_S2_S3_PS4_PS7_PS2_: ; @_ZN9rocsparseL35bsr2csr_block_per_row_33_256_kernelILj1024ELj128ELj32EdllEEv20rocsparse_direction_T4_S2_21rocsparse_index_base_PKT2_PKT3_PKS2_S2_S3_PS4_PS7_PS2_
; %bb.0:
	s_load_dwordx2 s[2:3], s[4:5], 0x28
	s_load_dword s20, s[4:5], 0x40
	s_load_dwordx2 s[0:1], s[4:5], 0x50
	s_mov_b32 s23, 0
	s_mov_b32 s7, s23
	s_lshl_b64 s[8:9], s[6:7], 3
	s_waitcnt lgkmcnt(0)
	s_add_u32 s2, s2, s8
	s_addc_u32 s3, s3, s9
	s_load_dwordx4 s[16:19], s[2:3], 0x0
	v_or_b32_e32 v1, s6, v0
	v_cmp_eq_u32_e32 vcc, 0, v1
	s_and_saveexec_b64 s[2:3], vcc
	s_cbranch_execz .LBB258_2
; %bb.1:
	s_mov_b32 s21, s23
	v_mov_b32_e32 v1, 0
	v_pk_mov_b32 v[2:3], s[20:21], s[20:21] op_sel:[0,1]
	global_store_dwordx2 v1, v[2:3], s[0:1]
.LBB258_2:
	s_or_b64 exec, exec, s[2:3]
	s_load_dword s22, s[4:5], 0x18
	s_load_dwordx2 s[24:25], s[4:5], 0x38
	v_mov_b32_e32 v27, 0
	v_lshrrev_b32_e32 v26, 5, v0
	v_lshlrev_b32_e32 v24, 3, v26
	s_waitcnt lgkmcnt(0)
	s_sub_u32 s26, s16, s22
	s_subb_u32 s27, s17, 0
	s_mul_i32 s2, s26, s25
	s_sub_u32 s28, s18, s22
	s_mul_hi_u32 s3, s26, s24
	s_subb_u32 s29, s19, 0
	s_add_i32 s2, s3, s2
	s_mul_i32 s3, s27, s24
	s_mul_i32 s56, s26, s24
	s_add_i32 s57, s2, s3
	s_mul_i32 s2, s56, s25
	s_mul_hi_u32 s3, s56, s24
	s_add_i32 s2, s3, s2
	s_mul_i32 s3, s57, s24
	s_add_i32 s2, s2, s3
	s_sub_u32 s33, s28, s26
	s_subb_u32 s21, s29, s27
	s_mul_i32 s7, s33, s25
	s_mul_hi_u32 s8, s33, s24
	s_add_i32 s7, s8, s7
	s_mul_i32 s8, s21, s24
	s_mul_i32 s3, s56, s24
	s_add_i32 s30, s7, s8
	s_add_u32 s3, s3, s20
	s_mul_i32 s31, s33, s24
	s_addc_u32 s2, s2, 0
	s_add_u32 s12, s3, s31
	s_addc_u32 s13, s2, s30
	s_mul_i32 s2, s6, s25
	s_mul_hi_u32 s3, s6, s24
	s_add_i32 s3, s3, s2
	s_mul_i32 s2, s6, s24
	s_lshl_b64 s[2:3], s[2:3], 3
	s_add_u32 s0, s0, s2
	s_addc_u32 s1, s1, s3
	v_cmp_gt_i64_e64 s[2:3], s[24:25], v[26:27]
	s_and_saveexec_b64 s[6:7], s[2:3]
	s_cbranch_execz .LBB258_4
; %bb.3:
	v_pk_mov_b32 v[2:3], s[12:13], s[12:13] op_sel:[0,1]
	v_mad_u64_u32 v[2:3], s[8:9], v26, s31, v[2:3]
	v_mov_b32_e32 v4, v3
	v_mad_u64_u32 v[4:5], s[8:9], v26, s30, v[4:5]
	v_mov_b32_e32 v3, v4
	global_store_dwordx2 v24, v[2:3], s[0:1] offset:8
.LBB258_4:
	s_or_b64 exec, exec, s[6:7]
	s_add_u32 s0, s0, 8
	v_or_b32_e32 v2, 32, v26
	v_mov_b32_e32 v3, v27
	s_addc_u32 s1, s1, 0
	v_cmp_gt_i64_e64 s[6:7], s[24:25], v[2:3]
	s_and_saveexec_b64 s[8:9], s[6:7]
	s_cbranch_execz .LBB258_6
; %bb.5:
	v_pk_mov_b32 v[4:5], s[12:13], s[12:13] op_sel:[0,1]
	v_mad_u64_u32 v[4:5], s[10:11], v2, s31, v[4:5]
	v_mov_b32_e32 v6, v5
	v_mad_u64_u32 v[2:3], s[10:11], v2, s30, v[6:7]
	v_mov_b32_e32 v5, v2
	global_store_dwordx2 v24, v[4:5], s[0:1] offset:256
.LBB258_6:
	s_or_b64 exec, exec, s[8:9]
	v_or_b32_e32 v2, 64, v26
	v_mov_b32_e32 v3, v27
	v_cmp_gt_i64_e64 s[8:9], s[24:25], v[2:3]
	s_and_saveexec_b64 s[10:11], s[8:9]
	s_cbranch_execz .LBB258_8
; %bb.7:
	v_pk_mov_b32 v[4:5], s[12:13], s[12:13] op_sel:[0,1]
	v_mad_u64_u32 v[4:5], s[14:15], v2, s31, v[4:5]
	v_mov_b32_e32 v6, v5
	v_mad_u64_u32 v[2:3], s[14:15], v2, s30, v[6:7]
	v_mov_b32_e32 v5, v2
	global_store_dwordx2 v24, v[4:5], s[0:1] offset:512
.LBB258_8:
	s_or_b64 exec, exec, s[10:11]
	v_or_b32_e32 v2, 0x60, v26
	v_mov_b32_e32 v3, v27
	v_cmp_gt_i64_e64 s[10:11], s[24:25], v[2:3]
	s_and_saveexec_b64 s[14:15], s[10:11]
	s_cbranch_execz .LBB258_10
; %bb.9:
	v_pk_mov_b32 v[4:5], s[12:13], s[12:13] op_sel:[0,1]
	v_mad_u64_u32 v[4:5], s[12:13], v2, s31, v[4:5]
	v_mov_b32_e32 v6, v5
	v_mad_u64_u32 v[2:3], s[12:13], v2, s30, v[6:7]
	v_mov_b32_e32 v5, v2
	global_store_dwordx2 v24, v[4:5], s[0:1] offset:768
.LBB258_10:
	s_or_b64 exec, exec, s[14:15]
	v_pk_mov_b32 v[2:3], s[18:19], s[18:19] op_sel:[0,1]
	v_cmp_lt_i64_e32 vcc, s[16:17], v[2:3]
	s_cbranch_vccz .LBB258_45
; %bb.11:
	s_load_dwordx2 s[54:55], s[4:5], 0x30
	s_load_dwordx2 s[58:59], s[4:5], 0x48
	s_load_dword s0, s[4:5], 0x0
	s_load_dwordx2 s[30:31], s[4:5], 0x20
	s_load_dwordx2 s[60:61], s[4:5], 0x58
	v_and_b32_e32 v0, 31, v0
	v_mov_b32_e32 v1, 0
	s_waitcnt lgkmcnt(0)
	s_cmp_eq_u32 s0, 0
	s_cselect_b64 s[0:1], -1, 0
	v_cmp_gt_i64_e32 vcc, s[24:25], v[0:1]
	v_or_b32_e32 v2, 32, v0
	v_mov_b32_e32 v3, v1
	s_lshl_b64 s[62:63], s[56:57], 3
	s_and_b64 s[34:35], s[2:3], vcc
	v_cmp_gt_i64_e64 s[4:5], s[24:25], v[2:3]
	v_or_b32_e32 v4, 64, v0
	v_mov_b32_e32 v5, v1
	v_mov_b32_e32 v7, v1
	s_and_b64 s[40:41], s[6:7], vcc
	s_and_b64 s[46:47], s[8:9], vcc
	s_and_b64 s[52:53], s[10:11], vcc
	v_mov_b32_e32 v25, v1
	v_mov_b32_e32 v1, s63
	v_add_co_u32_e32 v3, vcc, s62, v24
	v_cmp_gt_i64_e64 s[12:13], s[24:25], v[4:5]
	v_or_b32_e32 v6, 0x60, v0
	v_addc_co_u32_e32 v5, vcc, 0, v1, vcc
	s_movk_i32 s66, 0x300
	v_cmp_gt_i64_e64 s[14:15], s[24:25], v[6:7]
	v_add_co_u32_e32 v7, vcc, s66, v3
	v_addc_co_u32_e32 v9, vcc, 0, v5, vcc
	v_pk_mov_b32 v[16:17], s[30:31], s[30:31] op_sel:[0,1]
	s_movk_i32 s67, 0x200
	s_and_b64 s[36:37], s[2:3], s[4:5]
	s_and_b64 s[38:39], s[2:3], s[12:13]
	;; [unrolled: 1-line block ×12, first 2 shown]
	v_mul_lo_u32 v9, s24, v9
	v_mul_lo_u32 v12, s25, v7
	v_mad_u64_u32 v[10:11], s[14:15], s24, v7, v[16:17]
	v_add_co_u32_e32 v7, vcc, s67, v3
	v_add3_u32 v11, v12, v11, v9
	v_addc_co_u32_e32 v9, vcc, 0, v5, vcc
	s_movk_i32 s68, 0x100
	v_mul_lo_u32 v9, s24, v9
	v_mul_lo_u32 v14, s25, v7
	v_mad_u64_u32 v[12:13], s[64:65], s24, v7, v[16:17]
	v_add_co_u32_e32 v7, vcc, s68, v3
	v_lshlrev_b32_e32 v8, 3, v0
	v_add3_u32 v13, v14, v13, v9
	v_addc_co_u32_e32 v9, vcc, 0, v5, vcc
	v_mul_lo_u32 v18, s25, v7
	v_mad_u64_u32 v[14:15], s[64:65], s24, v7, v[16:17]
	v_mul_lo_u32 v7, s25, v3
	v_mad_u64_u32 v[16:17], s[64:65], s24, v3, v[16:17]
	v_add_co_u32_e32 v3, vcc, s62, v8
	v_mul_lo_u32 v9, s24, v9
	v_mul_lo_u32 v5, s24, v5
	v_addc_co_u32_e32 v1, vcc, 0, v1, vcc
	v_add3_u32 v15, v18, v15, v9
	v_add3_u32 v17, v7, v17, v5
	v_mul_lo_u32 v5, s24, v1
	v_mul_lo_u32 v7, s25, v3
	v_mad_u64_u32 v[18:19], s[62:63], s24, v3, v[24:25]
	v_add3_u32 v19, v7, v19, v5
	v_add_co_u32_e32 v5, vcc, s68, v3
	v_addc_co_u32_e32 v7, vcc, 0, v1, vcc
	v_mul_lo_u32 v7, s24, v7
	v_mul_lo_u32 v9, s25, v5
	v_mad_u64_u32 v[20:21], s[62:63], s24, v5, v[24:25]
	v_add_co_u32_e32 v5, vcc, s67, v3
	v_add3_u32 v21, v9, v21, v7
	v_addc_co_u32_e32 v7, vcc, 0, v1, vcc
	v_pk_mov_b32 v[28:29], s[56:57], s[56:57] op_sel:[0,1]
	v_add_co_u32_e32 v3, vcc, s66, v3
	v_mad_u64_u32 v[38:39], s[56:57], v26, s33, v[28:29]
	v_addc_co_u32_e32 v1, vcc, 0, v1, vcc
	v_mov_b32_e32 v28, v39
	s_mul_i32 s14, s24, s25
	s_mul_hi_u32 s15, s24, s24
	v_mul_lo_u32 v9, s25, v5
	v_mad_u64_u32 v[22:23], s[62:63], s24, v5, v[24:25]
	v_mul_lo_u32 v1, s24, v1
	v_mul_lo_u32 v5, s25, v3
	v_mad_u64_u32 v[24:25], s[62:63], s24, v3, v[24:25]
	v_mad_u64_u32 v[26:27], s[56:57], v26, s21, v[28:29]
	s_add_i32 s15, s15, s14
	v_add3_u32 v25, v5, v25, v1
	v_mov_b32_e32 v39, v26
	v_mul_lo_u32 v1, s25, v38
	v_mul_lo_u32 v3, s24, v26
	v_mad_u64_u32 v[26:27], s[56:57], s24, v38, 0
	s_add_i32 s15, s15, s14
	s_mul_i32 s14, s24, s24
	v_add3_u32 v27, v27, v3, v1
	s_lshl_b64 s[14:15], s[14:15], 3
	s_lshl_b64 s[62:63], s[16:17], 3
	;; [unrolled: 1-line block ×3, first 2 shown]
	v_lshlrev_b64 v[28:29], 3, v[26:27]
	s_sub_u32 s23, s62, s64
	v_mov_b32_e32 v42, s61
	v_add_co_u32_e32 v26, vcc, s60, v28
	s_subb_u32 s62, s63, s65
	v_addc_co_u32_e32 v1, vcc, v42, v29, vcc
	s_add_u32 s54, s54, s23
	v_mov_b32_e32 v43, s59
	v_add_co_u32_e32 v28, vcc, s58, v28
	v_mul_lo_u32 v7, s24, v7
	s_addc_u32 s55, s55, s62
	v_addc_co_u32_e32 v3, vcc, v43, v29, vcc
	s_lshl_b64 s[62:63], s[18:19], 5
	v_add3_u32 v23, v9, v23, v7
	v_mov_b32_e32 v5, s63
	v_add_co_u32_e32 v7, vcc, s62, v38
	v_addc_co_u32_e32 v5, vcc, v39, v5, vcc
	s_lshl_b64 s[62:63], s[16:17], 5
	v_mov_b32_e32 v9, s63
	v_subrev_co_u32_e32 v7, vcc, s62, v7
	v_subb_co_u32_e32 v5, vcc, v5, v9, vcc
	v_mul_lo_u32 v9, s25, v7
	v_mul_lo_u32 v5, s24, v5
	v_mad_u64_u32 v[30:31], s[62:63], s24, v7, 0
	v_add3_u32 v31, v31, v5, v9
	v_lshlrev_b64 v[32:33], 3, v[30:31]
	v_add_co_u32_e32 v30, vcc, s58, v32
	v_mov_b32_e32 v9, 0x60
	v_addc_co_u32_e32 v5, vcc, v43, v33, vcc
	v_mad_u64_u32 v[34:35], s[62:63], s18, v9, v[38:39]
	s_mul_i32 s21, s19, 0x60
	v_add_co_u32_e32 v32, vcc, s60, v32
	v_add_u32_e32 v9, s21, v35
	s_mul_i32 s21, s17, 0x60
	s_mul_hi_u32 s23, s16, 0x60
	v_addc_co_u32_e32 v7, vcc, v42, v33, vcc
	s_add_i32 s21, s23, s21
	s_mul_i32 s23, s16, 0x60
	v_mov_b32_e32 v27, s21
	v_subrev_co_u32_e32 v29, vcc, s23, v34
	v_subb_co_u32_e32 v9, vcc, v9, v27, vcc
	v_mul_lo_u32 v27, s25, v29
	v_mul_lo_u32 v9, s24, v9
	v_mad_u64_u32 v[34:35], s[62:63], s24, v29, 0
	v_add3_u32 v35, v35, v9, v27
	v_lshlrev_b64 v[36:37], 3, v[34:35]
	v_add_co_u32_e32 v34, vcc, s60, v36
	v_addc_co_u32_e32 v9, vcc, v42, v37, vcc
	v_add_co_u32_e32 v36, vcc, s58, v36
	v_addc_co_u32_e32 v27, vcc, v43, v37, vcc
	s_lshl_b64 s[18:19], s[18:19], 6
	v_mov_b32_e32 v29, s19
	v_add_co_u32_e32 v31, vcc, s18, v38
	v_addc_co_u32_e32 v29, vcc, v39, v29, vcc
	s_lshl_b64 s[16:17], s[16:17], 6
	v_mov_b32_e32 v33, s17
	v_subrev_co_u32_e32 v31, vcc, s16, v31
	v_subb_co_u32_e32 v29, vcc, v29, v33, vcc
	v_mul_lo_u32 v33, s25, v31
	v_mul_lo_u32 v29, s24, v29
	v_mad_u64_u32 v[38:39], s[16:17], s24, v31, 0
	v_add3_u32 v39, v39, v29, v33
	v_lshlrev_b64 v[40:41], 3, v[38:39]
	v_add_co_u32_e32 v38, vcc, s58, v40
	v_addc_co_u32_e32 v29, vcc, v43, v41, vcc
	v_add_co_u32_e32 v40, vcc, s60, v40
	s_lshl_b64 s[56:57], s[24:25], 3
	v_addc_co_u32_e32 v31, vcc, v42, v41, vcc
	s_branch .LBB258_13
.LBB258_12:                             ;   in Loop: Header=BB258_13 Depth=1
	s_or_b64 exec, exec, s[16:17]
	v_mov_b32_e32 v33, s15
	v_add_co_u32_e32 v10, vcc, s14, v10
	v_addc_co_u32_e32 v11, vcc, v11, v33, vcc
	v_add_co_u32_e32 v12, vcc, s14, v12
	v_addc_co_u32_e32 v13, vcc, v13, v33, vcc
	;; [unrolled: 2-line block ×4, first 2 shown]
	v_mov_b32_e32 v33, s57
	v_add_co_u32_e32 v26, vcc, s56, v26
	v_addc_co_u32_e32 v1, vcc, v1, v33, vcc
	v_add_co_u32_e32 v28, vcc, s56, v28
	v_addc_co_u32_e32 v3, vcc, v3, v33, vcc
	v_add_co_u32_e32 v30, vcc, s56, v30
	v_addc_co_u32_e32 v5, vcc, v5, v33, vcc
	v_add_co_u32_e32 v32, vcc, s56, v32
	v_addc_co_u32_e32 v7, vcc, v7, v33, vcc
	v_add_co_u32_e32 v34, vcc, s56, v34
	v_addc_co_u32_e32 v9, vcc, v9, v33, vcc
	v_add_co_u32_e32 v36, vcc, s56, v36
	v_addc_co_u32_e32 v27, vcc, v27, v33, vcc
	s_add_u32 s26, s26, 1
	v_add_co_u32_e32 v38, vcc, s56, v38
	s_addc_u32 s27, s27, 0
	v_addc_co_u32_e32 v29, vcc, v29, v33, vcc
	s_add_u32 s30, s30, s14
	v_add_co_u32_e32 v40, vcc, s56, v40
	s_addc_u32 s31, s31, s15
	v_addc_co_u32_e32 v31, vcc, v31, v33, vcc
	v_pk_mov_b32 v[42:43], s[28:29], s[28:29] op_sel:[0,1]
	s_add_u32 s54, s54, 8
	v_cmp_ge_i64_e32 vcc, s[26:27], v[42:43]
	s_addc_u32 s55, s55, 0
	s_cbranch_vccnz .LBB258_45
.LBB258_13:                             ; =>This Inner Loop Header: Depth=1
	s_load_dwordx2 s[16:17], s[54:55], 0x0
	s_waitcnt lgkmcnt(0)
	s_sub_u32 s16, s16, s22
	s_subb_u32 s17, s17, 0
	s_mul_i32 s18, s16, s25
	s_mul_hi_u32 s19, s16, s24
	s_add_i32 s18, s19, s18
	s_mul_i32 s17, s17, s24
	s_add_i32 s17, s18, s17
	s_mul_i32 s16, s16, s24
	s_add_u32 s18, s16, s20
	s_addc_u32 s19, s17, 0
	s_and_saveexec_b64 s[16:17], s[34:35]
	s_cbranch_execnz .LBB258_29
; %bb.14:                               ;   in Loop: Header=BB258_13 Depth=1
	s_or_b64 exec, exec, s[16:17]
	s_and_saveexec_b64 s[16:17], s[36:37]
	s_cbranch_execnz .LBB258_30
.LBB258_15:                             ;   in Loop: Header=BB258_13 Depth=1
	s_or_b64 exec, exec, s[16:17]
	s_and_saveexec_b64 s[16:17], s[38:39]
	s_cbranch_execnz .LBB258_31
.LBB258_16:                             ;   in Loop: Header=BB258_13 Depth=1
	s_or_b64 exec, exec, s[16:17]
	s_and_saveexec_b64 s[16:17], s[2:3]
	s_cbranch_execnz .LBB258_32
.LBB258_17:                             ;   in Loop: Header=BB258_13 Depth=1
	s_or_b64 exec, exec, s[16:17]
	s_and_saveexec_b64 s[16:17], s[40:41]
	s_cbranch_execnz .LBB258_33
.LBB258_18:                             ;   in Loop: Header=BB258_13 Depth=1
	s_or_b64 exec, exec, s[16:17]
	s_and_saveexec_b64 s[16:17], s[42:43]
	s_cbranch_execnz .LBB258_34
.LBB258_19:                             ;   in Loop: Header=BB258_13 Depth=1
	s_or_b64 exec, exec, s[16:17]
	s_and_saveexec_b64 s[16:17], s[44:45]
	s_cbranch_execnz .LBB258_35
.LBB258_20:                             ;   in Loop: Header=BB258_13 Depth=1
	s_or_b64 exec, exec, s[16:17]
	s_and_saveexec_b64 s[16:17], s[6:7]
	s_cbranch_execnz .LBB258_36
.LBB258_21:                             ;   in Loop: Header=BB258_13 Depth=1
	s_or_b64 exec, exec, s[16:17]
	s_and_saveexec_b64 s[16:17], s[46:47]
	s_cbranch_execnz .LBB258_37
.LBB258_22:                             ;   in Loop: Header=BB258_13 Depth=1
	s_or_b64 exec, exec, s[16:17]
	s_and_saveexec_b64 s[16:17], s[48:49]
	s_cbranch_execnz .LBB258_38
.LBB258_23:                             ;   in Loop: Header=BB258_13 Depth=1
	s_or_b64 exec, exec, s[16:17]
	s_and_saveexec_b64 s[16:17], s[50:51]
	s_cbranch_execnz .LBB258_39
.LBB258_24:                             ;   in Loop: Header=BB258_13 Depth=1
	s_or_b64 exec, exec, s[16:17]
	s_and_saveexec_b64 s[16:17], s[8:9]
	s_cbranch_execnz .LBB258_40
.LBB258_25:                             ;   in Loop: Header=BB258_13 Depth=1
	s_or_b64 exec, exec, s[16:17]
	s_and_saveexec_b64 s[16:17], s[52:53]
	s_cbranch_execnz .LBB258_41
.LBB258_26:                             ;   in Loop: Header=BB258_13 Depth=1
	s_or_b64 exec, exec, s[16:17]
	s_and_saveexec_b64 s[16:17], s[4:5]
	s_cbranch_execnz .LBB258_42
.LBB258_27:                             ;   in Loop: Header=BB258_13 Depth=1
	s_or_b64 exec, exec, s[16:17]
	s_and_saveexec_b64 s[16:17], s[12:13]
	s_cbranch_execnz .LBB258_43
.LBB258_28:                             ;   in Loop: Header=BB258_13 Depth=1
	s_or_b64 exec, exec, s[16:17]
	s_and_saveexec_b64 s[16:17], s[10:11]
	s_cbranch_execz .LBB258_12
	s_branch .LBB258_44
.LBB258_29:                             ;   in Loop: Header=BB258_13 Depth=1
	v_add_co_u32_e32 v33, vcc, v16, v8
	v_addc_co_u32_e32 v35, vcc, 0, v17, vcc
	v_mov_b32_e32 v37, s31
	v_add_co_u32_e32 v39, vcc, s30, v18
	v_addc_co_u32_e32 v37, vcc, v37, v19, vcc
	v_cndmask_b32_e64 v43, v37, v35, s[0:1]
	v_cndmask_b32_e64 v42, v39, v33, s[0:1]
	global_load_dwordx2 v[42:43], v[42:43], off
	v_mov_b32_e32 v33, s19
	v_add_co_u32_e32 v44, vcc, s18, v0
	v_addc_co_u32_e32 v45, vcc, 0, v33, vcc
	v_add_co_u32_e32 v46, vcc, v26, v8
	v_addc_co_u32_e32 v47, vcc, 0, v1, vcc
	global_store_dwordx2 v[46:47], v[44:45], off
	v_add_co_u32_e32 v44, vcc, v28, v8
	v_addc_co_u32_e32 v45, vcc, 0, v3, vcc
	s_waitcnt vmcnt(1)
	global_store_dwordx2 v[44:45], v[42:43], off
	s_or_b64 exec, exec, s[16:17]
	s_and_saveexec_b64 s[16:17], s[36:37]
	s_cbranch_execz .LBB258_15
.LBB258_30:                             ;   in Loop: Header=BB258_13 Depth=1
	v_add_co_u32_e32 v33, vcc, v16, v8
	v_addc_co_u32_e32 v35, vcc, 0, v17, vcc
	v_add_co_u32_e32 v33, vcc, 0x100, v33
	v_addc_co_u32_e32 v35, vcc, 0, v35, vcc
	v_mov_b32_e32 v37, s31
	v_add_co_u32_e32 v39, vcc, s30, v20
	v_addc_co_u32_e32 v37, vcc, v37, v21, vcc
	v_cndmask_b32_e64 v43, v37, v35, s[0:1]
	v_cndmask_b32_e64 v42, v39, v33, s[0:1]
	global_load_dwordx2 v[42:43], v[42:43], off
	v_mov_b32_e32 v33, s19
	v_add_co_u32_e32 v44, vcc, s18, v2
	v_addc_co_u32_e32 v45, vcc, 0, v33, vcc
	v_add_co_u32_e32 v46, vcc, v26, v8
	v_addc_co_u32_e32 v47, vcc, 0, v1, vcc
	global_store_dwordx2 v[46:47], v[44:45], off offset:256
	v_add_co_u32_e32 v44, vcc, v28, v8
	v_addc_co_u32_e32 v45, vcc, 0, v3, vcc
	s_waitcnt vmcnt(1)
	global_store_dwordx2 v[44:45], v[42:43], off offset:256
	s_or_b64 exec, exec, s[16:17]
	s_and_saveexec_b64 s[16:17], s[38:39]
	s_cbranch_execz .LBB258_16
.LBB258_31:                             ;   in Loop: Header=BB258_13 Depth=1
	v_add_co_u32_e32 v33, vcc, v16, v8
	v_addc_co_u32_e32 v35, vcc, 0, v17, vcc
	v_add_co_u32_e32 v33, vcc, 0x200, v33
	v_addc_co_u32_e32 v35, vcc, 0, v35, vcc
	v_mov_b32_e32 v37, s31
	v_add_co_u32_e32 v39, vcc, s30, v22
	v_addc_co_u32_e32 v37, vcc, v37, v23, vcc
	v_cndmask_b32_e64 v43, v37, v35, s[0:1]
	v_cndmask_b32_e64 v42, v39, v33, s[0:1]
	global_load_dwordx2 v[42:43], v[42:43], off
	v_mov_b32_e32 v33, s19
	v_add_co_u32_e32 v44, vcc, s18, v4
	v_addc_co_u32_e32 v45, vcc, 0, v33, vcc
	v_add_co_u32_e32 v46, vcc, v26, v8
	v_addc_co_u32_e32 v47, vcc, 0, v1, vcc
	global_store_dwordx2 v[46:47], v[44:45], off offset:512
	v_add_co_u32_e32 v44, vcc, v28, v8
	v_addc_co_u32_e32 v45, vcc, 0, v3, vcc
	s_waitcnt vmcnt(1)
	global_store_dwordx2 v[44:45], v[42:43], off offset:512
	s_or_b64 exec, exec, s[16:17]
	s_and_saveexec_b64 s[16:17], s[2:3]
	s_cbranch_execz .LBB258_17
.LBB258_32:                             ;   in Loop: Header=BB258_13 Depth=1
	v_add_co_u32_e32 v33, vcc, v16, v8
	v_addc_co_u32_e32 v35, vcc, 0, v17, vcc
	v_add_co_u32_e32 v33, vcc, 0x300, v33
	v_addc_co_u32_e32 v35, vcc, 0, v35, vcc
	v_mov_b32_e32 v37, s31
	v_add_co_u32_e32 v39, vcc, s30, v24
	v_addc_co_u32_e32 v37, vcc, v37, v25, vcc
	v_cndmask_b32_e64 v43, v37, v35, s[0:1]
	v_cndmask_b32_e64 v42, v39, v33, s[0:1]
	global_load_dwordx2 v[42:43], v[42:43], off
	v_mov_b32_e32 v33, s19
	v_add_co_u32_e32 v44, vcc, s18, v6
	v_addc_co_u32_e32 v45, vcc, 0, v33, vcc
	v_add_co_u32_e32 v46, vcc, v26, v8
	v_addc_co_u32_e32 v47, vcc, 0, v1, vcc
	global_store_dwordx2 v[46:47], v[44:45], off offset:768
	v_add_co_u32_e32 v44, vcc, v28, v8
	v_addc_co_u32_e32 v45, vcc, 0, v3, vcc
	s_waitcnt vmcnt(1)
	global_store_dwordx2 v[44:45], v[42:43], off offset:768
	s_or_b64 exec, exec, s[16:17]
	s_and_saveexec_b64 s[16:17], s[40:41]
	s_cbranch_execz .LBB258_18
.LBB258_33:                             ;   in Loop: Header=BB258_13 Depth=1
	v_add_co_u32_e32 v33, vcc, v14, v8
	v_addc_co_u32_e32 v35, vcc, 0, v15, vcc
	v_mov_b32_e32 v37, s31
	v_add_co_u32_e32 v39, vcc, s30, v18
	v_addc_co_u32_e32 v37, vcc, v37, v19, vcc
	v_add_co_u32_e32 v39, vcc, 0x100, v39
	v_addc_co_u32_e32 v37, vcc, 0, v37, vcc
	v_cndmask_b32_e64 v43, v37, v35, s[0:1]
	v_cndmask_b32_e64 v42, v39, v33, s[0:1]
	global_load_dwordx2 v[42:43], v[42:43], off
	v_mov_b32_e32 v33, s19
	v_add_co_u32_e32 v44, vcc, s18, v0
	v_addc_co_u32_e32 v45, vcc, 0, v33, vcc
	v_add_co_u32_e32 v46, vcc, v32, v8
	v_addc_co_u32_e32 v47, vcc, 0, v7, vcc
	global_store_dwordx2 v[46:47], v[44:45], off
	v_add_co_u32_e32 v44, vcc, v30, v8
	v_addc_co_u32_e32 v45, vcc, 0, v5, vcc
	s_waitcnt vmcnt(1)
	global_store_dwordx2 v[44:45], v[42:43], off
	s_or_b64 exec, exec, s[16:17]
	s_and_saveexec_b64 s[16:17], s[42:43]
	s_cbranch_execz .LBB258_19
.LBB258_34:                             ;   in Loop: Header=BB258_13 Depth=1
	v_add_co_u32_e32 v33, vcc, v14, v8
	v_addc_co_u32_e32 v35, vcc, 0, v15, vcc
	v_mov_b32_e32 v37, s31
	v_add_co_u32_e32 v39, vcc, s30, v20
	v_addc_co_u32_e32 v37, vcc, v37, v21, vcc
	v_cndmask_b32_e64 v43, v37, v35, s[0:1]
	v_cndmask_b32_e64 v42, v39, v33, s[0:1]
	global_load_dwordx2 v[42:43], v[42:43], off offset:256
	v_mov_b32_e32 v33, s19
	v_add_co_u32_e32 v44, vcc, s18, v2
	v_addc_co_u32_e32 v45, vcc, 0, v33, vcc
	v_add_co_u32_e32 v46, vcc, v32, v8
	v_addc_co_u32_e32 v47, vcc, 0, v7, vcc
	global_store_dwordx2 v[46:47], v[44:45], off offset:256
	v_add_co_u32_e32 v44, vcc, v30, v8
	v_addc_co_u32_e32 v45, vcc, 0, v5, vcc
	s_waitcnt vmcnt(1)
	global_store_dwordx2 v[44:45], v[42:43], off offset:256
	s_or_b64 exec, exec, s[16:17]
	s_and_saveexec_b64 s[16:17], s[44:45]
	s_cbranch_execz .LBB258_20
.LBB258_35:                             ;   in Loop: Header=BB258_13 Depth=1
	v_add_co_u32_e32 v33, vcc, v14, v8
	v_addc_co_u32_e32 v35, vcc, 0, v15, vcc
	v_add_co_u32_e32 v33, vcc, 0x200, v33
	v_addc_co_u32_e32 v35, vcc, 0, v35, vcc
	v_mov_b32_e32 v37, s31
	v_add_co_u32_e32 v39, vcc, s30, v22
	v_addc_co_u32_e32 v37, vcc, v37, v23, vcc
	v_add_co_u32_e32 v39, vcc, 0x100, v39
	v_addc_co_u32_e32 v37, vcc, 0, v37, vcc
	v_cndmask_b32_e64 v43, v37, v35, s[0:1]
	v_cndmask_b32_e64 v42, v39, v33, s[0:1]
	global_load_dwordx2 v[42:43], v[42:43], off
	v_mov_b32_e32 v33, s19
	v_add_co_u32_e32 v44, vcc, s18, v4
	v_addc_co_u32_e32 v45, vcc, 0, v33, vcc
	v_add_co_u32_e32 v46, vcc, v32, v8
	v_addc_co_u32_e32 v47, vcc, 0, v7, vcc
	global_store_dwordx2 v[46:47], v[44:45], off offset:512
	v_add_co_u32_e32 v44, vcc, v30, v8
	v_addc_co_u32_e32 v45, vcc, 0, v5, vcc
	s_waitcnt vmcnt(1)
	global_store_dwordx2 v[44:45], v[42:43], off offset:512
	s_or_b64 exec, exec, s[16:17]
	s_and_saveexec_b64 s[16:17], s[6:7]
	s_cbranch_execz .LBB258_21
.LBB258_36:                             ;   in Loop: Header=BB258_13 Depth=1
	v_add_co_u32_e32 v33, vcc, v14, v8
	v_addc_co_u32_e32 v35, vcc, 0, v15, vcc
	v_add_co_u32_e32 v33, vcc, 0x300, v33
	v_addc_co_u32_e32 v35, vcc, 0, v35, vcc
	v_mov_b32_e32 v37, s31
	v_add_co_u32_e32 v39, vcc, s30, v24
	v_addc_co_u32_e32 v37, vcc, v37, v25, vcc
	v_add_co_u32_e32 v39, vcc, 0x100, v39
	v_addc_co_u32_e32 v37, vcc, 0, v37, vcc
	v_cndmask_b32_e64 v43, v37, v35, s[0:1]
	v_cndmask_b32_e64 v42, v39, v33, s[0:1]
	global_load_dwordx2 v[42:43], v[42:43], off
	v_mov_b32_e32 v33, s19
	v_add_co_u32_e32 v44, vcc, s18, v6
	v_addc_co_u32_e32 v45, vcc, 0, v33, vcc
	v_add_co_u32_e32 v46, vcc, v32, v8
	v_addc_co_u32_e32 v47, vcc, 0, v7, vcc
	global_store_dwordx2 v[46:47], v[44:45], off offset:768
	v_add_co_u32_e32 v44, vcc, v30, v8
	v_addc_co_u32_e32 v45, vcc, 0, v5, vcc
	s_waitcnt vmcnt(1)
	global_store_dwordx2 v[44:45], v[42:43], off offset:768
	s_or_b64 exec, exec, s[16:17]
	s_and_saveexec_b64 s[16:17], s[46:47]
	s_cbranch_execz .LBB258_22
.LBB258_37:                             ;   in Loop: Header=BB258_13 Depth=1
	v_add_co_u32_e32 v33, vcc, v12, v8
	v_addc_co_u32_e32 v35, vcc, 0, v13, vcc
	v_mov_b32_e32 v37, s31
	v_add_co_u32_e32 v39, vcc, s30, v18
	v_addc_co_u32_e32 v37, vcc, v37, v19, vcc
	v_add_co_u32_e32 v39, vcc, 0x200, v39
	v_addc_co_u32_e32 v37, vcc, 0, v37, vcc
	v_cndmask_b32_e64 v43, v37, v35, s[0:1]
	v_cndmask_b32_e64 v42, v39, v33, s[0:1]
	global_load_dwordx2 v[42:43], v[42:43], off
	v_mov_b32_e32 v33, s19
	v_add_co_u32_e32 v44, vcc, s18, v0
	v_addc_co_u32_e32 v45, vcc, 0, v33, vcc
	v_add_co_u32_e32 v46, vcc, v40, v8
	v_addc_co_u32_e32 v47, vcc, 0, v31, vcc
	global_store_dwordx2 v[46:47], v[44:45], off
	v_add_co_u32_e32 v44, vcc, v38, v8
	v_addc_co_u32_e32 v45, vcc, 0, v29, vcc
	s_waitcnt vmcnt(1)
	global_store_dwordx2 v[44:45], v[42:43], off
	s_or_b64 exec, exec, s[16:17]
	s_and_saveexec_b64 s[16:17], s[48:49]
	s_cbranch_execz .LBB258_23
.LBB258_38:                             ;   in Loop: Header=BB258_13 Depth=1
	v_add_co_u32_e32 v33, vcc, v12, v8
	v_addc_co_u32_e32 v35, vcc, 0, v13, vcc
	v_add_co_u32_e32 v33, vcc, 0x100, v33
	v_addc_co_u32_e32 v35, vcc, 0, v35, vcc
	v_mov_b32_e32 v37, s31
	v_add_co_u32_e32 v39, vcc, s30, v20
	v_addc_co_u32_e32 v37, vcc, v37, v21, vcc
	v_add_co_u32_e32 v39, vcc, 0x200, v39
	v_addc_co_u32_e32 v37, vcc, 0, v37, vcc
	v_cndmask_b32_e64 v43, v37, v35, s[0:1]
	v_cndmask_b32_e64 v42, v39, v33, s[0:1]
	global_load_dwordx2 v[42:43], v[42:43], off
	v_mov_b32_e32 v33, s19
	v_add_co_u32_e32 v44, vcc, s18, v2
	v_addc_co_u32_e32 v45, vcc, 0, v33, vcc
	v_add_co_u32_e32 v46, vcc, v40, v8
	v_addc_co_u32_e32 v47, vcc, 0, v31, vcc
	global_store_dwordx2 v[46:47], v[44:45], off offset:256
	v_add_co_u32_e32 v44, vcc, v38, v8
	v_addc_co_u32_e32 v45, vcc, 0, v29, vcc
	s_waitcnt vmcnt(1)
	global_store_dwordx2 v[44:45], v[42:43], off offset:256
	s_or_b64 exec, exec, s[16:17]
	s_and_saveexec_b64 s[16:17], s[50:51]
	s_cbranch_execz .LBB258_24
.LBB258_39:                             ;   in Loop: Header=BB258_13 Depth=1
	v_add_co_u32_e32 v33, vcc, v12, v8
	v_addc_co_u32_e32 v35, vcc, 0, v13, vcc
	v_mov_b32_e32 v37, s31
	v_add_co_u32_e32 v39, vcc, s30, v22
	v_addc_co_u32_e32 v37, vcc, v37, v23, vcc
	v_cndmask_b32_e64 v43, v37, v35, s[0:1]
	v_cndmask_b32_e64 v42, v39, v33, s[0:1]
	global_load_dwordx2 v[42:43], v[42:43], off offset:512
	v_mov_b32_e32 v33, s19
	v_add_co_u32_e32 v44, vcc, s18, v4
	v_addc_co_u32_e32 v45, vcc, 0, v33, vcc
	v_add_co_u32_e32 v46, vcc, v40, v8
	v_addc_co_u32_e32 v47, vcc, 0, v31, vcc
	global_store_dwordx2 v[46:47], v[44:45], off offset:512
	v_add_co_u32_e32 v44, vcc, v38, v8
	v_addc_co_u32_e32 v45, vcc, 0, v29, vcc
	s_waitcnt vmcnt(1)
	global_store_dwordx2 v[44:45], v[42:43], off offset:512
	s_or_b64 exec, exec, s[16:17]
	s_and_saveexec_b64 s[16:17], s[8:9]
	s_cbranch_execz .LBB258_25
.LBB258_40:                             ;   in Loop: Header=BB258_13 Depth=1
	v_add_co_u32_e32 v33, vcc, v12, v8
	v_addc_co_u32_e32 v35, vcc, 0, v13, vcc
	v_add_co_u32_e32 v33, vcc, 0x300, v33
	v_addc_co_u32_e32 v35, vcc, 0, v35, vcc
	v_mov_b32_e32 v37, s31
	v_add_co_u32_e32 v39, vcc, s30, v24
	v_addc_co_u32_e32 v37, vcc, v37, v25, vcc
	v_add_co_u32_e32 v39, vcc, 0x200, v39
	v_addc_co_u32_e32 v37, vcc, 0, v37, vcc
	v_cndmask_b32_e64 v43, v37, v35, s[0:1]
	v_cndmask_b32_e64 v42, v39, v33, s[0:1]
	global_load_dwordx2 v[42:43], v[42:43], off
	v_mov_b32_e32 v33, s19
	v_add_co_u32_e32 v44, vcc, s18, v6
	v_addc_co_u32_e32 v45, vcc, 0, v33, vcc
	v_add_co_u32_e32 v46, vcc, v40, v8
	v_addc_co_u32_e32 v47, vcc, 0, v31, vcc
	global_store_dwordx2 v[46:47], v[44:45], off offset:768
	v_add_co_u32_e32 v44, vcc, v38, v8
	v_addc_co_u32_e32 v45, vcc, 0, v29, vcc
	s_waitcnt vmcnt(1)
	global_store_dwordx2 v[44:45], v[42:43], off offset:768
	s_or_b64 exec, exec, s[16:17]
	s_and_saveexec_b64 s[16:17], s[52:53]
	s_cbranch_execz .LBB258_26
.LBB258_41:                             ;   in Loop: Header=BB258_13 Depth=1
	v_add_co_u32_e32 v33, vcc, v10, v8
	v_addc_co_u32_e32 v35, vcc, 0, v11, vcc
	v_mov_b32_e32 v37, s31
	v_add_co_u32_e32 v39, vcc, s30, v18
	v_addc_co_u32_e32 v37, vcc, v37, v19, vcc
	v_add_co_u32_e32 v39, vcc, 0x300, v39
	v_addc_co_u32_e32 v37, vcc, 0, v37, vcc
	v_cndmask_b32_e64 v43, v37, v35, s[0:1]
	v_cndmask_b32_e64 v42, v39, v33, s[0:1]
	global_load_dwordx2 v[42:43], v[42:43], off
	v_mov_b32_e32 v33, s19
	v_add_co_u32_e32 v44, vcc, s18, v0
	v_addc_co_u32_e32 v45, vcc, 0, v33, vcc
	v_add_co_u32_e32 v46, vcc, v34, v8
	v_addc_co_u32_e32 v47, vcc, 0, v9, vcc
	global_store_dwordx2 v[46:47], v[44:45], off
	v_add_co_u32_e32 v44, vcc, v36, v8
	v_addc_co_u32_e32 v45, vcc, 0, v27, vcc
	s_waitcnt vmcnt(1)
	global_store_dwordx2 v[44:45], v[42:43], off
	s_or_b64 exec, exec, s[16:17]
	s_and_saveexec_b64 s[16:17], s[4:5]
	s_cbranch_execz .LBB258_27
.LBB258_42:                             ;   in Loop: Header=BB258_13 Depth=1
	v_add_co_u32_e32 v33, vcc, v10, v8
	v_addc_co_u32_e32 v35, vcc, 0, v11, vcc
	v_add_co_u32_e32 v33, vcc, 0x100, v33
	v_addc_co_u32_e32 v35, vcc, 0, v35, vcc
	v_mov_b32_e32 v37, s31
	v_add_co_u32_e32 v39, vcc, s30, v20
	v_addc_co_u32_e32 v37, vcc, v37, v21, vcc
	v_add_co_u32_e32 v39, vcc, 0x300, v39
	v_addc_co_u32_e32 v37, vcc, 0, v37, vcc
	v_cndmask_b32_e64 v43, v37, v35, s[0:1]
	v_cndmask_b32_e64 v42, v39, v33, s[0:1]
	global_load_dwordx2 v[42:43], v[42:43], off
	v_mov_b32_e32 v33, s19
	v_add_co_u32_e32 v44, vcc, s18, v2
	v_addc_co_u32_e32 v45, vcc, 0, v33, vcc
	v_add_co_u32_e32 v46, vcc, v34, v8
	v_addc_co_u32_e32 v47, vcc, 0, v9, vcc
	global_store_dwordx2 v[46:47], v[44:45], off offset:256
	v_add_co_u32_e32 v44, vcc, v36, v8
	v_addc_co_u32_e32 v45, vcc, 0, v27, vcc
	s_waitcnt vmcnt(1)
	global_store_dwordx2 v[44:45], v[42:43], off offset:256
	s_or_b64 exec, exec, s[16:17]
	s_and_saveexec_b64 s[16:17], s[12:13]
	s_cbranch_execz .LBB258_28
.LBB258_43:                             ;   in Loop: Header=BB258_13 Depth=1
	v_add_co_u32_e32 v33, vcc, v10, v8
	v_addc_co_u32_e32 v35, vcc, 0, v11, vcc
	v_add_co_u32_e32 v33, vcc, 0x200, v33
	v_addc_co_u32_e32 v35, vcc, 0, v35, vcc
	v_mov_b32_e32 v37, s31
	v_add_co_u32_e32 v39, vcc, s30, v22
	v_addc_co_u32_e32 v37, vcc, v37, v23, vcc
	v_add_co_u32_e32 v39, vcc, 0x300, v39
	v_addc_co_u32_e32 v37, vcc, 0, v37, vcc
	v_cndmask_b32_e64 v43, v37, v35, s[0:1]
	v_cndmask_b32_e64 v42, v39, v33, s[0:1]
	global_load_dwordx2 v[42:43], v[42:43], off
	v_mov_b32_e32 v33, s19
	v_add_co_u32_e32 v44, vcc, s18, v4
	v_addc_co_u32_e32 v45, vcc, 0, v33, vcc
	v_add_co_u32_e32 v46, vcc, v34, v8
	v_addc_co_u32_e32 v47, vcc, 0, v9, vcc
	global_store_dwordx2 v[46:47], v[44:45], off offset:512
	v_add_co_u32_e32 v44, vcc, v36, v8
	v_addc_co_u32_e32 v45, vcc, 0, v27, vcc
	s_waitcnt vmcnt(1)
	global_store_dwordx2 v[44:45], v[42:43], off offset:512
	s_or_b64 exec, exec, s[16:17]
	s_and_saveexec_b64 s[16:17], s[10:11]
	s_cbranch_execz .LBB258_12
.LBB258_44:                             ;   in Loop: Header=BB258_13 Depth=1
	v_add_co_u32_e32 v33, vcc, v10, v8
	v_addc_co_u32_e32 v35, vcc, 0, v11, vcc
	v_mov_b32_e32 v37, s31
	v_add_co_u32_e32 v39, vcc, s30, v24
	v_addc_co_u32_e32 v37, vcc, v37, v25, vcc
	v_cndmask_b32_e64 v43, v37, v35, s[0:1]
	v_cndmask_b32_e64 v42, v39, v33, s[0:1]
	global_load_dwordx2 v[42:43], v[42:43], off offset:768
	v_mov_b32_e32 v33, s19
	v_add_co_u32_e32 v44, vcc, s18, v6
	v_addc_co_u32_e32 v45, vcc, 0, v33, vcc
	v_add_co_u32_e32 v46, vcc, v34, v8
	v_addc_co_u32_e32 v47, vcc, 0, v9, vcc
	global_store_dwordx2 v[46:47], v[44:45], off offset:768
	v_add_co_u32_e32 v44, vcc, v36, v8
	v_addc_co_u32_e32 v45, vcc, 0, v27, vcc
	s_waitcnt vmcnt(1)
	global_store_dwordx2 v[44:45], v[42:43], off offset:768
	s_branch .LBB258_12
.LBB258_45:
	s_endpgm
	.section	.rodata,"a",@progbits
	.p2align	6, 0x0
	.amdhsa_kernel _ZN9rocsparseL35bsr2csr_block_per_row_33_256_kernelILj1024ELj128ELj32EdllEEv20rocsparse_direction_T4_S2_21rocsparse_index_base_PKT2_PKT3_PKS2_S2_S3_PS4_PS7_PS2_
		.amdhsa_group_segment_fixed_size 0
		.amdhsa_private_segment_fixed_size 0
		.amdhsa_kernarg_size 96
		.amdhsa_user_sgpr_count 6
		.amdhsa_user_sgpr_private_segment_buffer 1
		.amdhsa_user_sgpr_dispatch_ptr 0
		.amdhsa_user_sgpr_queue_ptr 0
		.amdhsa_user_sgpr_kernarg_segment_ptr 1
		.amdhsa_user_sgpr_dispatch_id 0
		.amdhsa_user_sgpr_flat_scratch_init 0
		.amdhsa_user_sgpr_kernarg_preload_length 0
		.amdhsa_user_sgpr_kernarg_preload_offset 0
		.amdhsa_user_sgpr_private_segment_size 0
		.amdhsa_uses_dynamic_stack 0
		.amdhsa_system_sgpr_private_segment_wavefront_offset 0
		.amdhsa_system_sgpr_workgroup_id_x 1
		.amdhsa_system_sgpr_workgroup_id_y 0
		.amdhsa_system_sgpr_workgroup_id_z 0
		.amdhsa_system_sgpr_workgroup_info 0
		.amdhsa_system_vgpr_workitem_id 0
		.amdhsa_next_free_vgpr 48
		.amdhsa_next_free_sgpr 69
		.amdhsa_accum_offset 48
		.amdhsa_reserve_vcc 1
		.amdhsa_reserve_flat_scratch 0
		.amdhsa_float_round_mode_32 0
		.amdhsa_float_round_mode_16_64 0
		.amdhsa_float_denorm_mode_32 3
		.amdhsa_float_denorm_mode_16_64 3
		.amdhsa_dx10_clamp 1
		.amdhsa_ieee_mode 1
		.amdhsa_fp16_overflow 0
		.amdhsa_tg_split 0
		.amdhsa_exception_fp_ieee_invalid_op 0
		.amdhsa_exception_fp_denorm_src 0
		.amdhsa_exception_fp_ieee_div_zero 0
		.amdhsa_exception_fp_ieee_overflow 0
		.amdhsa_exception_fp_ieee_underflow 0
		.amdhsa_exception_fp_ieee_inexact 0
		.amdhsa_exception_int_div_zero 0
	.end_amdhsa_kernel
	.section	.text._ZN9rocsparseL35bsr2csr_block_per_row_33_256_kernelILj1024ELj128ELj32EdllEEv20rocsparse_direction_T4_S2_21rocsparse_index_base_PKT2_PKT3_PKS2_S2_S3_PS4_PS7_PS2_,"axG",@progbits,_ZN9rocsparseL35bsr2csr_block_per_row_33_256_kernelILj1024ELj128ELj32EdllEEv20rocsparse_direction_T4_S2_21rocsparse_index_base_PKT2_PKT3_PKS2_S2_S3_PS4_PS7_PS2_,comdat
.Lfunc_end258:
	.size	_ZN9rocsparseL35bsr2csr_block_per_row_33_256_kernelILj1024ELj128ELj32EdllEEv20rocsparse_direction_T4_S2_21rocsparse_index_base_PKT2_PKT3_PKS2_S2_S3_PS4_PS7_PS2_, .Lfunc_end258-_ZN9rocsparseL35bsr2csr_block_per_row_33_256_kernelILj1024ELj128ELj32EdllEEv20rocsparse_direction_T4_S2_21rocsparse_index_base_PKT2_PKT3_PKS2_S2_S3_PS4_PS7_PS2_
                                        ; -- End function
	.section	.AMDGPU.csdata,"",@progbits
; Kernel info:
; codeLenInByte = 3820
; NumSgprs: 73
; NumVgprs: 48
; NumAgprs: 0
; TotalNumVgprs: 48
; ScratchSize: 0
; MemoryBound: 0
; FloatMode: 240
; IeeeMode: 1
; LDSByteSize: 0 bytes/workgroup (compile time only)
; SGPRBlocks: 9
; VGPRBlocks: 5
; NumSGPRsForWavesPerEU: 73
; NumVGPRsForWavesPerEU: 48
; AccumOffset: 48
; Occupancy: 8
; WaveLimiterHint : 1
; COMPUTE_PGM_RSRC2:SCRATCH_EN: 0
; COMPUTE_PGM_RSRC2:USER_SGPR: 6
; COMPUTE_PGM_RSRC2:TRAP_HANDLER: 0
; COMPUTE_PGM_RSRC2:TGID_X_EN: 1
; COMPUTE_PGM_RSRC2:TGID_Y_EN: 0
; COMPUTE_PGM_RSRC2:TGID_Z_EN: 0
; COMPUTE_PGM_RSRC2:TIDIG_COMP_CNT: 0
; COMPUTE_PGM_RSRC3_GFX90A:ACCUM_OFFSET: 11
; COMPUTE_PGM_RSRC3_GFX90A:TG_SPLIT: 0
	.section	.text._ZN9rocsparseL35bsr2csr_block_per_row_33_256_kernelILj1024ELj256ELj32EdllEEv20rocsparse_direction_T4_S2_21rocsparse_index_base_PKT2_PKT3_PKS2_S2_S3_PS4_PS7_PS2_,"axG",@progbits,_ZN9rocsparseL35bsr2csr_block_per_row_33_256_kernelILj1024ELj256ELj32EdllEEv20rocsparse_direction_T4_S2_21rocsparse_index_base_PKT2_PKT3_PKS2_S2_S3_PS4_PS7_PS2_,comdat
	.globl	_ZN9rocsparseL35bsr2csr_block_per_row_33_256_kernelILj1024ELj256ELj32EdllEEv20rocsparse_direction_T4_S2_21rocsparse_index_base_PKT2_PKT3_PKS2_S2_S3_PS4_PS7_PS2_ ; -- Begin function _ZN9rocsparseL35bsr2csr_block_per_row_33_256_kernelILj1024ELj256ELj32EdllEEv20rocsparse_direction_T4_S2_21rocsparse_index_base_PKT2_PKT3_PKS2_S2_S3_PS4_PS7_PS2_
	.p2align	8
	.type	_ZN9rocsparseL35bsr2csr_block_per_row_33_256_kernelILj1024ELj256ELj32EdllEEv20rocsparse_direction_T4_S2_21rocsparse_index_base_PKT2_PKT3_PKS2_S2_S3_PS4_PS7_PS2_,@function
_ZN9rocsparseL35bsr2csr_block_per_row_33_256_kernelILj1024ELj256ELj32EdllEEv20rocsparse_direction_T4_S2_21rocsparse_index_base_PKT2_PKT3_PKS2_S2_S3_PS4_PS7_PS2_: ; @_ZN9rocsparseL35bsr2csr_block_per_row_33_256_kernelILj1024ELj256ELj32EdllEEv20rocsparse_direction_T4_S2_21rocsparse_index_base_PKT2_PKT3_PKS2_S2_S3_PS4_PS7_PS2_
; %bb.0:
	s_load_dwordx2 s[0:1], s[4:5], 0x28
	s_load_dword s10, s[4:5], 0x40
	s_load_dwordx2 s[2:3], s[4:5], 0x50
	s_mov_b32 s11, 0
	s_mov_b32 s7, s11
	s_lshl_b64 s[8:9], s[6:7], 3
	s_waitcnt lgkmcnt(0)
	s_add_u32 s0, s0, s8
	s_addc_u32 s1, s1, s9
	s_load_dwordx4 s[20:23], s[0:1], 0x0
	v_or_b32_e32 v1, s6, v0
	v_cmp_eq_u32_e32 vcc, 0, v1
	s_and_saveexec_b64 s[0:1], vcc
	s_cbranch_execz .LBB259_2
; %bb.1:
	v_mov_b32_e32 v1, 0
	v_pk_mov_b32 v[2:3], s[10:11], s[10:11] op_sel:[0,1]
	global_store_dwordx2 v1, v[2:3], s[2:3]
.LBB259_2:
	s_or_b64 exec, exec, s[0:1]
	s_load_dword s1, s[4:5], 0x18
	s_load_dwordx2 s[40:41], s[4:5], 0x38
                                        ; implicit-def: $vgpr75 : SGPR spill to VGPR lane
	v_mov_b32_e32 v23, 0
	v_lshrrev_b32_e32 v22, 5, v0
	v_lshlrev_b32_e32 v58, 3, v22
	s_waitcnt lgkmcnt(0)
	s_sub_u32 s50, s20, s1
	s_subb_u32 s51, s21, 0
	s_mul_i32 s0, s50, s41
	v_writelane_b32 v75, s1, 0
	s_sub_u32 s44, s22, s1
	s_mul_hi_u32 s1, s50, s40
	s_subb_u32 s45, s23, 0
	s_add_i32 s0, s1, s0
	s_mul_i32 s1, s51, s40
	s_add_i32 s0, s0, s1
	s_mul_i32 s1, s50, s40
	s_mul_i32 s7, s1, s41
	s_mul_hi_u32 s8, s1, s40
	s_add_i32 s7, s8, s7
	s_mul_i32 s0, s0, s40
	s_add_i32 s7, s7, s0
	s_sub_u32 s38, s44, s50
	s_subb_u32 s39, s45, s51
	s_mul_i32 s0, s38, s41
	s_mul_hi_u32 s8, s38, s40
	s_add_i32 s0, s8, s0
	s_mul_i32 s8, s39, s40
	s_mul_i32 s1, s1, s40
	s_add_i32 s28, s0, s8
	s_mov_b32 s0, s10
	v_writelane_b32 v75, s0, 1
	v_writelane_b32 v75, s1, 2
	s_add_u32 s0, s1, s10
	s_mul_i32 s29, s38, s40
	s_addc_u32 s1, s7, 0
	s_add_u32 s0, s0, s29
	s_mul_i32 s7, s6, s41
	s_mul_hi_u32 s8, s6, s40
	s_addc_u32 s1, s1, s28
	s_add_i32 s7, s8, s7
	s_mul_i32 s6, s6, s40
	s_lshl_b64 s[6:7], s[6:7], 3
	s_add_u32 s2, s2, s6
	s_addc_u32 s3, s3, s7
	v_cmp_gt_i64_e64 s[6:7], s[40:41], v[22:23]
	s_and_saveexec_b64 s[8:9], s[6:7]
	s_cbranch_execz .LBB259_4
; %bb.3:
	v_pk_mov_b32 v[2:3], s[0:1], s[0:1] op_sel:[0,1]
	v_mad_u64_u32 v[2:3], s[10:11], v22, s29, v[2:3]
	v_mov_b32_e32 v4, v3
	v_mad_u64_u32 v[4:5], s[10:11], v22, s28, v[4:5]
	v_mov_b32_e32 v3, v4
	global_store_dwordx2 v58, v[2:3], s[2:3] offset:8
.LBB259_4:
	s_or_b64 exec, exec, s[8:9]
	s_add_u32 s24, s2, 8
	v_or_b32_e32 v2, 32, v22
	v_mov_b32_e32 v3, v23
	s_addc_u32 s25, s3, 0
	v_cmp_gt_i64_e64 s[2:3], s[40:41], v[2:3]
	s_and_saveexec_b64 s[8:9], s[2:3]
	s_cbranch_execz .LBB259_6
; %bb.5:
	v_pk_mov_b32 v[4:5], s[0:1], s[0:1] op_sel:[0,1]
	v_mad_u64_u32 v[4:5], s[10:11], v2, s29, v[4:5]
	v_mov_b32_e32 v6, v5
	v_mad_u64_u32 v[2:3], s[10:11], v2, s28, v[6:7]
	v_mov_b32_e32 v5, v2
	global_store_dwordx2 v58, v[4:5], s[24:25] offset:256
.LBB259_6:
	s_or_b64 exec, exec, s[8:9]
	v_or_b32_e32 v2, 64, v22
	v_mov_b32_e32 v3, v23
	v_cmp_gt_i64_e64 s[8:9], s[40:41], v[2:3]
	s_and_saveexec_b64 s[10:11], s[8:9]
	s_cbranch_execz .LBB259_8
; %bb.7:
	v_pk_mov_b32 v[4:5], s[0:1], s[0:1] op_sel:[0,1]
	v_mad_u64_u32 v[4:5], s[12:13], v2, s29, v[4:5]
	v_mov_b32_e32 v6, v5
	v_mad_u64_u32 v[2:3], s[12:13], v2, s28, v[6:7]
	v_mov_b32_e32 v5, v2
	global_store_dwordx2 v58, v[4:5], s[24:25] offset:512
.LBB259_8:
	s_or_b64 exec, exec, s[10:11]
	v_or_b32_e32 v2, 0x60, v22
	v_mov_b32_e32 v3, v23
	;; [unrolled: 14-line block ×6, first 2 shown]
	v_cmp_gt_i64_e64 s[18:19], s[40:41], v[2:3]
	s_and_saveexec_b64 s[26:27], s[18:19]
	s_cbranch_execz .LBB259_18
; %bb.17:
	v_pk_mov_b32 v[4:5], s[0:1], s[0:1] op_sel:[0,1]
	v_mad_u64_u32 v[4:5], s[0:1], v2, s29, v[4:5]
	v_mov_b32_e32 v6, v5
	v_mad_u64_u32 v[2:3], s[0:1], v2, s28, v[6:7]
	v_mov_b32_e32 v5, v2
	global_store_dwordx2 v58, v[4:5], s[24:25] offset:1792
.LBB259_18:
	s_or_b64 exec, exec, s[26:27]
	v_pk_mov_b32 v[2:3], s[22:23], s[22:23] op_sel:[0,1]
	v_cmp_lt_i64_e32 vcc, s[20:21], v[2:3]
	s_cbranch_vccz .LBB259_149
; %bb.19:
	s_mul_i32 s1, s40, s41
	s_mul_hi_u32 s20, s40, s40
	s_add_i32 s20, s20, s1
	s_load_dword s0, s[4:5], 0x0
	s_add_i32 s1, s20, s1
	s_mul_i32 s33, s40, s40
	v_writelane_b32 v75, s1, 3
	s_mul_i32 s1, s50, s1
	s_mul_hi_u32 s20, s50, s33
	s_add_i32 s1, s20, s1
	s_mul_i32 s20, s51, s33
	s_add_i32 s47, s1, s20
	s_load_dwordx2 s[48:49], s[4:5], 0x48
	s_load_dwordx2 s[20:21], s[4:5], 0x20
	s_waitcnt lgkmcnt(0)
	s_cmp_eq_u32 s0, 0
	s_cselect_b64 s[0:1], -1, 0
	s_lshl_b64 s[52:53], s[40:41], 5
	v_and_b32_e32 v0, 31, v0
	v_mov_b32_e32 v1, 0
	v_pk_mov_b32 v[4:5], s[52:53], s[52:53] op_sel:[0,1]
	v_writelane_b32 v75, s20, 4
	v_mul_lo_u32 v23, v0, s41
	v_or_b32_e32 v2, 32, v0
	v_mov_b32_e32 v3, v1
	v_mad_u64_u32 v[4:5], s[22:23], v0, s40, v[4:5]
	v_writelane_b32 v75, s21, 5
	v_cmp_gt_i64_e64 s[20:21], s[40:41], v[2:3]
	v_add_u32_e32 v5, v23, v5
	v_mov_b32_e32 v3, s53
	v_add_co_u32_e64 v26, s[24:25], s52, v4
	v_addc_co_u32_e64 v27, s[24:25], v5, v3, s[24:25]
	v_add_co_u32_e64 v28, s[26:27], s52, v26
	v_addc_co_u32_e64 v29, s[26:27], v27, v3, s[26:27]
	;; [unrolled: 2-line block ×5, first 2 shown]
	v_add_co_u32_e64 v36, s[36:37], s52, v34
	v_cmp_gt_i64_e32 vcc, s[40:41], v[0:1]
	v_addc_co_u32_e64 v37, s[36:37], v35, v3, s[36:37]
	v_mad_u64_u32 v[18:19], s[36:37], v22, s38, 0
	s_and_b64 s[36:37], s[6:7], vcc
	v_writelane_b32 v75, s36, 6
	v_or_b32_e32 v6, 64, v0
	v_mov_b32_e32 v7, v1
	v_writelane_b32 v75, s37, 7
	s_and_b64 s[36:37], s[6:7], s[20:21]
	v_cmp_gt_i64_e64 s[22:23], s[40:41], v[6:7]
	v_writelane_b32 v75, s36, 8
	v_or_b32_e32 v8, 0x60, v0
	v_mov_b32_e32 v9, v1
	v_writelane_b32 v75, s37, 9
	s_and_b64 s[36:37], s[6:7], s[22:23]
	v_cmp_gt_i64_e64 s[24:25], s[40:41], v[8:9]
	;; [unrolled: 6-line block ×6, first 2 shown]
	v_writelane_b32 v75, s36, 18
	v_writelane_b32 v75, s37, 19
	s_and_b64 s[6:7], s[6:7], s[34:35]
	s_lshl_b64 s[36:37], s[38:39], 5
	v_writelane_b32 v75, s6, 20
	v_pk_mov_b32 v[20:21], s[36:37], s[36:37] op_sel:[0,1]
	v_writelane_b32 v75, s7, 21
	v_mad_u64_u32 v[20:21], s[6:7], v22, s38, v[20:21]
	s_and_b64 s[6:7], s[2:3], vcc
	v_writelane_b32 v75, s6, 22
	v_writelane_b32 v75, s7, 23
	s_and_b64 s[6:7], s[2:3], s[20:21]
	v_writelane_b32 v75, s6, 24
	v_writelane_b32 v75, s7, 25
	s_and_b64 s[6:7], s[2:3], s[22:23]
	;; [unrolled: 3-line block ×3, first 2 shown]
	v_mul_lo_u32 v38, v22, s39
	v_writelane_b32 v75, s6, 28
	v_add_u32_e32 v21, v38, v21
	v_writelane_b32 v75, s7, 29
	v_mov_b32_e32 v24, s37
	v_add_co_u32_e64 v1, s[6:7], s36, v20
	v_addc_co_u32_e64 v3, s[6:7], v21, v24, s[6:7]
	v_add_co_u32_e64 v7, s[6:7], s36, v1
	v_addc_co_u32_e64 v9, s[6:7], v3, v24, s[6:7]
	;; [unrolled: 2-line block ×5, first 2 shown]
	s_and_b64 s[6:7], s[2:3], s[26:27]
	v_writelane_b32 v75, s6, 30
	v_writelane_b32 v75, s7, 31
	v_add_co_u32_e64 v61, s[6:7], s36, v59
	v_addc_co_u32_e64 v62, s[6:7], v60, v24, s[6:7]
	s_and_b64 s[6:7], s[2:3], s[28:29]
	v_writelane_b32 v75, s6, 32
	v_writelane_b32 v75, s7, 33
	s_and_b64 s[6:7], s[2:3], s[30:31]
	v_writelane_b32 v75, s6, 34
	v_writelane_b32 v75, s7, 35
	;; [unrolled: 3-line block ×3, first 2 shown]
	s_and_b64 s[2:3], s[8:9], vcc
	v_writelane_b32 v75, s2, 38
	v_writelane_b32 v75, s3, 39
	s_and_b64 s[2:3], s[8:9], s[20:21]
	v_writelane_b32 v75, s2, 40
	v_writelane_b32 v75, s3, 41
	s_and_b64 s[2:3], s[8:9], s[22:23]
	;; [unrolled: 3-line block ×7, first 2 shown]
	v_writelane_b32 v75, s2, 52
	v_writelane_b32 v75, s3, 53
	s_and_b64 s[2:3], s[10:11], vcc
	v_writelane_b32 v75, s2, 54
	v_writelane_b32 v75, s3, 55
	s_and_b64 s[2:3], s[10:11], s[20:21]
	v_writelane_b32 v75, s2, 56
	v_writelane_b32 v75, s3, 57
	s_and_b64 s[2:3], s[10:11], s[22:23]
	;; [unrolled: 3-line block ×5, first 2 shown]
                                        ; implicit-def: $vgpr74 : SGPR spill to VGPR lane
	s_and_b64 s[84:85], s[16:17], vcc
	v_writelane_b32 v74, s2, 0
	v_writelane_b32 v74, s3, 1
	s_and_b64 s[2:3], s[10:11], s[30:31]
	v_writelane_b32 v74, s2, 2
	v_writelane_b32 v74, s3, 3
	s_and_b64 s[2:3], s[10:11], s[34:35]
	v_writelane_b32 v74, s2, 4
	v_writelane_b32 v74, s3, 5
	s_and_b64 s[2:3], s[12:13], vcc
	v_writelane_b32 v74, s2, 6
	v_writelane_b32 v74, s3, 7
	s_and_b64 s[2:3], s[12:13], s[20:21]
	v_writelane_b32 v74, s2, 8
	v_writelane_b32 v74, s3, 9
	s_and_b64 s[2:3], s[12:13], s[22:23]
	;; [unrolled: 3-line block ×7, first 2 shown]
	v_writelane_b32 v74, s2, 20
	v_writelane_b32 v74, s3, 21
	s_and_b64 s[2:3], s[14:15], vcc
	v_writelane_b32 v74, s2, 22
	v_writelane_b32 v74, s3, 23
	s_and_b64 s[2:3], s[14:15], s[20:21]
	v_writelane_b32 v74, s2, 24
	v_writelane_b32 v74, s3, 25
	s_and_b64 s[2:3], s[14:15], s[22:23]
	;; [unrolled: 3-line block ×7, first 2 shown]
	v_writelane_b32 v74, s2, 36
	v_writelane_b32 v74, s3, 37
	s_load_dwordx2 s[2:3], s[4:5], 0x30
	s_and_b64 s[86:87], s[16:17], s[20:21]
	s_load_dwordx2 s[4:5], s[4:5], 0x58
	s_and_b64 s[88:89], s[16:17], s[22:23]
	s_and_b64 s[90:91], s[16:17], s[24:25]
	;; [unrolled: 1-line block ×6, first 2 shown]
	s_and_b64 s[38:39], s[18:19], vcc
	s_and_b64 s[20:21], s[18:19], s[20:21]
	s_and_b64 s[22:23], s[18:19], s[22:23]
	;; [unrolled: 1-line block ×7, first 2 shown]
	s_waitcnt lgkmcnt(0)
	s_add_u32 s54, s4, 0x100
	s_addc_u32 s55, s5, 0
	s_add_u32 s56, s48, 0x100
	s_addc_u32 s57, s49, 0
	;; [unrolled: 2-line block ×11, first 2 shown]
	v_writelane_b32 v74, s2, 38
	s_add_u32 s12, s48, 0x600
	v_writelane_b32 v74, s3, 39
	v_add_u32_e32 v19, v19, v38
	v_mad_u64_u32 v[38:39], s[2:3], v22, s40, 0
	s_addc_u32 s13, s49, 0
	v_mad_u64_u32 v[24:25], s[2:3], v0, s40, 0
	v_mov_b32_e32 v40, v39
	s_add_u32 s74, s4, 0x700
	v_add_u32_e32 v25, v25, v23
	v_mad_u64_u32 v[22:23], s[2:3], v22, s41, v[40:41]
	s_addc_u32 s75, s5, 0
	v_mov_b32_e32 v39, v22
	s_add_u32 s76, s48, 0x700
	s_mul_i32 s46, s50, s33
	v_lshlrev_b64 v[22:23], 3, v[38:39]
	v_lshlrev_b64 v[24:25], 3, v[24:25]
	;; [unrolled: 1-line block ×8, first 2 shown]
	s_addc_u32 s77, s49, 0
	s_movk_i32 s6, 0x100
	s_movk_i32 s7, 0x200
	;; [unrolled: 1-line block ×7, first 2 shown]
	s_mov_b64 s[42:43], s[50:51]
	s_branch .LBB259_21
.LBB259_20:                             ;   in Loop: Header=BB259_21 Depth=1
	s_or_b64 exec, exec, s[34:35]
	s_add_u32 s42, s42, 1
	s_addc_u32 s43, s43, 0
	v_pk_mov_b32 v[38:39], s[44:45], s[44:45] op_sel:[0,1]
	v_cmp_ge_i64_e32 vcc, s[42:43], v[38:39]
	s_cbranch_vccnz .LBB259_149
.LBB259_21:                             ; =>This Inner Loop Header: Depth=1
	s_lshl_b64 s[34:35], s[42:43], 3
	v_readlane_b32 s14, v74, 38
	v_readlane_b32 s15, v74, 39
	s_add_u32 s34, s14, s34
	s_addc_u32 s35, s15, s35
	s_load_dwordx2 s[34:35], s[34:35], 0x0
	v_readlane_b32 s14, v75, 0
	v_lshlrev_b32_e32 v65, 3, v0
	s_waitcnt lgkmcnt(0)
	s_sub_u32 s34, s34, s14
	s_subb_u32 s35, s35, 0
	s_mul_i32 s36, s34, s41
	s_mul_hi_u32 s37, s34, s40
	s_sub_u32 s81, s42, s50
	s_mul_i32 s35, s35, s40
	s_subb_u32 s82, s43, s51
	s_add_i32 s36, s37, s36
	s_add_i32 s35, s36, s35
	s_mul_i32 s34, s34, s40
	v_readlane_b32 s14, v75, 1
	s_add_u32 s36, s34, s14
	v_readlane_b32 s14, v75, 3
	s_addc_u32 s37, s35, 0
	s_mul_i32 s34, s42, s14
	s_mul_hi_u32 s35, s42, s33
	s_add_i32 s34, s35, s34
	s_mul_i32 s35, s43, s33
	v_mov_b32_e32 v39, s37
	v_add_co_u32_e32 v38, vcc, s36, v0
	v_readlane_b32 s15, v75, 2
	s_add_i32 s35, s34, s35
	s_mul_i32 s34, s42, s33
	v_addc_co_u32_e32 v39, vcc, 0, v39, vcc
	s_lshl_b64 s[34:35], s[34:35], 3
	v_readlane_b32 s14, v75, 4
	v_mov_b32_e32 v40, s82
	v_add_co_u32_e32 v42, vcc, s81, v18
	v_readlane_b32 s15, v75, 5
	s_add_u32 s83, s14, s34
	v_addc_co_u32_e32 v40, vcc, v19, v40, vcc
	s_addc_u32 s14, s15, s35
	v_mul_lo_u32 v44, v40, s40
	v_pk_mov_b32 v[40:41], s[46:47], s[46:47] op_sel:[0,1]
	v_mad_u64_u32 v[56:57], s[34:35], v42, s40, v[40:41]
	v_mov_b32_e32 v40, s14
	v_add_co_u32_e32 v63, vcc, s83, v58
	v_addc_co_u32_e32 v64, vcc, 0, v40, vcc
	v_mul_lo_u32 v43, v42, s41
	v_add_co_u32_e32 v66, vcc, s83, v22
	v_readlane_b32 s14, v75, 6
	v_add3_u32 v57, v44, v57, v43
	v_addc_co_u32_e32 v67, vcc, v40, v23, vcc
	v_readlane_b32 s15, v75, 7
	s_and_saveexec_b64 s[34:35], s[14:15]
	s_cbranch_execz .LBB259_23
; %bb.22:                               ;   in Loop: Header=BB259_21 Depth=1
	v_add_co_u32_e32 v40, vcc, v66, v65
	v_addc_co_u32_e32 v41, vcc, 0, v67, vcc
	v_add_co_u32_e32 v42, vcc, v63, v24
	v_addc_co_u32_e32 v43, vcc, v64, v25, vcc
	v_cndmask_b32_e64 v41, v43, v41, s[0:1]
	v_cndmask_b32_e64 v40, v42, v40, s[0:1]
	global_load_dwordx2 v[40:41], v[40:41], off
	v_add_co_u32_e32 v42, vcc, v56, v0
	v_addc_co_u32_e32 v43, vcc, 0, v57, vcc
	v_lshlrev_b64 v[42:43], 3, v[42:43]
	v_mov_b32_e32 v45, s5
	v_add_co_u32_e32 v44, vcc, s4, v42
	v_addc_co_u32_e32 v45, vcc, v45, v43, vcc
	global_store_dwordx2 v[44:45], v[38:39], off
	v_mov_b32_e32 v44, s49
	v_add_co_u32_e32 v42, vcc, s48, v42
	v_addc_co_u32_e32 v43, vcc, v44, v43, vcc
	s_waitcnt vmcnt(1)
	global_store_dwordx2 v[42:43], v[40:41], off
.LBB259_23:                             ;   in Loop: Header=BB259_21 Depth=1
	s_or_b64 exec, exec, s[34:35]
	v_mov_b32_e32 v41, s37
	v_add_co_u32_e32 v40, vcc, s36, v2
	v_readlane_b32 s14, v75, 8
	v_addc_co_u32_e32 v41, vcc, 0, v41, vcc
	v_lshlrev_b64 v[50:51], 3, v[4:5]
	v_readlane_b32 s15, v75, 9
	s_and_saveexec_b64 s[34:35], s[14:15]
	s_cbranch_execz .LBB259_25
; %bb.24:                               ;   in Loop: Header=BB259_21 Depth=1
	v_add_co_u32_e32 v42, vcc, v66, v65
	v_addc_co_u32_e32 v43, vcc, 0, v67, vcc
	v_add_co_u32_e32 v42, vcc, s6, v42
	v_addc_co_u32_e32 v43, vcc, 0, v43, vcc
	v_add_co_u32_e32 v44, vcc, v63, v50
	v_addc_co_u32_e32 v45, vcc, v64, v51, vcc
	v_cndmask_b32_e64 v43, v45, v43, s[0:1]
	v_cndmask_b32_e64 v42, v44, v42, s[0:1]
	global_load_dwordx2 v[42:43], v[42:43], off
	v_add_co_u32_e32 v44, vcc, v56, v0
	v_addc_co_u32_e32 v45, vcc, 0, v57, vcc
	v_lshlrev_b64 v[44:45], 3, v[44:45]
	v_mov_b32_e32 v47, s55
	v_add_co_u32_e32 v46, vcc, s54, v44
	v_addc_co_u32_e32 v47, vcc, v47, v45, vcc
	global_store_dwordx2 v[46:47], v[40:41], off
	v_mov_b32_e32 v46, s57
	v_add_co_u32_e32 v44, vcc, s56, v44
	v_addc_co_u32_e32 v45, vcc, v46, v45, vcc
	s_waitcnt vmcnt(1)
	global_store_dwordx2 v[44:45], v[42:43], off
.LBB259_25:                             ;   in Loop: Header=BB259_21 Depth=1
	s_or_b64 exec, exec, s[34:35]
	v_mov_b32_e32 v43, s37
	v_add_co_u32_e32 v42, vcc, s36, v6
	v_readlane_b32 s14, v75, 10
	v_addc_co_u32_e32 v43, vcc, 0, v43, vcc
	v_readlane_b32 s15, v75, 11
	s_and_saveexec_b64 s[34:35], s[14:15]
	s_cbranch_execz .LBB259_27
; %bb.26:                               ;   in Loop: Header=BB259_21 Depth=1
	v_add_co_u32_e32 v44, vcc, v66, v65
	v_addc_co_u32_e32 v45, vcc, 0, v67, vcc
	v_add_co_u32_e32 v44, vcc, s7, v44
	v_addc_co_u32_e32 v45, vcc, 0, v45, vcc
	v_add_co_u32_e32 v46, vcc, v63, v26
	v_addc_co_u32_e32 v47, vcc, v64, v27, vcc
	v_cndmask_b32_e64 v45, v47, v45, s[0:1]
	v_cndmask_b32_e64 v44, v46, v44, s[0:1]
	global_load_dwordx2 v[44:45], v[44:45], off
	v_add_co_u32_e32 v46, vcc, v56, v0
	v_addc_co_u32_e32 v47, vcc, 0, v57, vcc
	v_lshlrev_b64 v[46:47], 3, v[46:47]
	v_mov_b32_e32 v49, s59
	v_add_co_u32_e32 v48, vcc, s58, v46
	v_addc_co_u32_e32 v49, vcc, v49, v47, vcc
	global_store_dwordx2 v[48:49], v[42:43], off
	v_mov_b32_e32 v48, s11
	v_add_co_u32_e32 v46, vcc, s10, v46
	v_addc_co_u32_e32 v47, vcc, v48, v47, vcc
	s_waitcnt vmcnt(1)
	global_store_dwordx2 v[46:47], v[44:45], off
.LBB259_27:                             ;   in Loop: Header=BB259_21 Depth=1
	s_or_b64 exec, exec, s[34:35]
	v_mov_b32_e32 v45, s37
	v_add_co_u32_e32 v44, vcc, s36, v8
	v_readlane_b32 s14, v75, 12
	v_addc_co_u32_e32 v45, vcc, 0, v45, vcc
	;; [unrolled: 31-line block ×6, first 2 shown]
	v_readlane_b32 s15, v75, 21
	s_and_saveexec_b64 s[34:35], s[14:15]
	s_cbranch_execz .LBB259_37
; %bb.36:                               ;   in Loop: Header=BB259_21 Depth=1
	v_add_co_u32_e32 v68, vcc, v66, v65
	v_addc_co_u32_e32 v69, vcc, 0, v67, vcc
	v_add_co_u32_e32 v68, vcc, s80, v68
	v_addc_co_u32_e32 v69, vcc, 0, v69, vcc
	;; [unrolled: 2-line block ×3, first 2 shown]
	v_cndmask_b32_e64 v69, v71, v69, s[0:1]
	v_cndmask_b32_e64 v68, v70, v68, s[0:1]
	global_load_dwordx2 v[68:69], v[68:69], off
	v_add_co_u32_e32 v56, vcc, v56, v0
	v_addc_co_u32_e32 v57, vcc, 0, v57, vcc
	v_lshlrev_b64 v[56:57], 3, v[56:57]
	v_mov_b32_e32 v71, s75
	v_add_co_u32_e32 v70, vcc, s74, v56
	v_addc_co_u32_e32 v71, vcc, v71, v57, vcc
	global_store_dwordx2 v[70:71], v[54:55], off
	v_mov_b32_e32 v70, s77
	v_add_co_u32_e32 v56, vcc, s76, v56
	v_addc_co_u32_e32 v57, vcc, v70, v57, vcc
	s_waitcnt vmcnt(1)
	global_store_dwordx2 v[56:57], v[68:69], off
.LBB259_37:                             ;   in Loop: Header=BB259_21 Depth=1
	s_or_b64 exec, exec, s[34:35]
	v_mov_b32_e32 v56, s82
	v_add_co_u32_e32 v68, vcc, s81, v20
	v_addc_co_u32_e32 v56, vcc, v21, v56, vcc
	v_mul_lo_u32 v70, v56, s40
	v_pk_mov_b32 v[56:57], s[46:47], s[46:47] op_sel:[0,1]
	v_mad_u64_u32 v[56:57], s[34:35], v68, s40, v[56:57]
	s_lshl_b64 s[34:35], s[52:53], 3
	v_mul_lo_u32 v69, v68, s41
	v_mov_b32_e32 v68, s35
	v_add_co_u32_e32 v66, vcc, s34, v66
	v_readlane_b32 s14, v75, 22
	v_add3_u32 v57, v70, v57, v69
	v_addc_co_u32_e32 v67, vcc, v67, v68, vcc
	v_readlane_b32 s15, v75, 23
	s_and_saveexec_b64 s[36:37], s[14:15]
	s_cbranch_execz .LBB259_39
; %bb.38:                               ;   in Loop: Header=BB259_21 Depth=1
	v_add_co_u32_e32 v68, vcc, v66, v65
	v_addc_co_u32_e32 v69, vcc, 0, v67, vcc
	v_add_co_u32_e32 v70, vcc, v63, v24
	v_addc_co_u32_e32 v71, vcc, v64, v25, vcc
	;; [unrolled: 2-line block ×3, first 2 shown]
	v_cndmask_b32_e64 v69, v71, v69, s[0:1]
	v_cndmask_b32_e64 v68, v70, v68, s[0:1]
	global_load_dwordx2 v[68:69], v[68:69], off
	v_add_co_u32_e32 v70, vcc, v56, v0
	v_addc_co_u32_e32 v71, vcc, 0, v57, vcc
	v_lshlrev_b64 v[70:71], 3, v[70:71]
	v_mov_b32_e32 v73, s5
	v_add_co_u32_e32 v72, vcc, s4, v70
	v_addc_co_u32_e32 v73, vcc, v73, v71, vcc
	global_store_dwordx2 v[72:73], v[38:39], off
	v_mov_b32_e32 v72, s49
	v_add_co_u32_e32 v70, vcc, s48, v70
	v_addc_co_u32_e32 v71, vcc, v72, v71, vcc
	s_waitcnt vmcnt(1)
	global_store_dwordx2 v[70:71], v[68:69], off
.LBB259_39:                             ;   in Loop: Header=BB259_21 Depth=1
	s_or_b64 exec, exec, s[36:37]
	v_readlane_b32 s14, v75, 24
	v_readlane_b32 s15, v75, 25
	s_and_saveexec_b64 s[36:37], s[14:15]
	s_cbranch_execz .LBB259_41
; %bb.40:                               ;   in Loop: Header=BB259_21 Depth=1
	v_add_co_u32_e32 v68, vcc, v66, v65
	v_addc_co_u32_e32 v69, vcc, 0, v67, vcc
	v_add_co_u32_e32 v70, vcc, v63, v50
	v_addc_co_u32_e32 v71, vcc, v64, v51, vcc
	v_cndmask_b32_e64 v69, v71, v69, s[0:1]
	v_cndmask_b32_e64 v68, v70, v68, s[0:1]
	global_load_dwordx2 v[68:69], v[68:69], off offset:256
	v_add_co_u32_e32 v70, vcc, v56, v0
	v_addc_co_u32_e32 v71, vcc, 0, v57, vcc
	v_lshlrev_b64 v[70:71], 3, v[70:71]
	v_mov_b32_e32 v73, s55
	v_add_co_u32_e32 v72, vcc, s54, v70
	v_addc_co_u32_e32 v73, vcc, v73, v71, vcc
	global_store_dwordx2 v[72:73], v[40:41], off
	v_mov_b32_e32 v72, s57
	v_add_co_u32_e32 v70, vcc, s56, v70
	v_addc_co_u32_e32 v71, vcc, v72, v71, vcc
	s_waitcnt vmcnt(1)
	global_store_dwordx2 v[70:71], v[68:69], off
.LBB259_41:                             ;   in Loop: Header=BB259_21 Depth=1
	s_or_b64 exec, exec, s[36:37]
	v_readlane_b32 s14, v75, 26
	v_readlane_b32 s15, v75, 27
	s_and_saveexec_b64 s[36:37], s[14:15]
	s_cbranch_execz .LBB259_43
; %bb.42:                               ;   in Loop: Header=BB259_21 Depth=1
	v_add_co_u32_e32 v68, vcc, v66, v65
	v_addc_co_u32_e32 v69, vcc, 0, v67, vcc
	v_add_co_u32_e32 v68, vcc, s7, v68
	v_addc_co_u32_e32 v69, vcc, 0, v69, vcc
	v_add_co_u32_e32 v70, vcc, v63, v26
	v_addc_co_u32_e32 v71, vcc, v64, v27, vcc
	v_add_co_u32_e32 v70, vcc, 0x100, v70
	v_addc_co_u32_e32 v71, vcc, 0, v71, vcc
	v_cndmask_b32_e64 v69, v71, v69, s[0:1]
	v_cndmask_b32_e64 v68, v70, v68, s[0:1]
	global_load_dwordx2 v[68:69], v[68:69], off
	v_add_co_u32_e32 v70, vcc, v56, v0
	v_addc_co_u32_e32 v71, vcc, 0, v57, vcc
	v_lshlrev_b64 v[70:71], 3, v[70:71]
	v_mov_b32_e32 v73, s59
	v_add_co_u32_e32 v72, vcc, s58, v70
	v_addc_co_u32_e32 v73, vcc, v73, v71, vcc
	global_store_dwordx2 v[72:73], v[42:43], off
	v_mov_b32_e32 v72, s11
	v_add_co_u32_e32 v70, vcc, s10, v70
	v_addc_co_u32_e32 v71, vcc, v72, v71, vcc
	s_waitcnt vmcnt(1)
	global_store_dwordx2 v[70:71], v[68:69], off
.LBB259_43:                             ;   in Loop: Header=BB259_21 Depth=1
	s_or_b64 exec, exec, s[36:37]
	v_readlane_b32 s14, v75, 28
	v_readlane_b32 s15, v75, 29
	s_and_saveexec_b64 s[36:37], s[14:15]
	s_cbranch_execz .LBB259_45
; %bb.44:                               ;   in Loop: Header=BB259_21 Depth=1
	v_add_co_u32_e32 v68, vcc, v66, v65
	v_addc_co_u32_e32 v69, vcc, 0, v67, vcc
	v_add_co_u32_e32 v68, vcc, s78, v68
	v_addc_co_u32_e32 v69, vcc, 0, v69, vcc
	v_add_co_u32_e32 v70, vcc, v63, v28
	v_addc_co_u32_e32 v71, vcc, v64, v29, vcc
	v_add_co_u32_e32 v70, vcc, 0x100, v70
	v_addc_co_u32_e32 v71, vcc, 0, v71, vcc
	v_cndmask_b32_e64 v69, v71, v69, s[0:1]
	v_cndmask_b32_e64 v68, v70, v68, s[0:1]
	global_load_dwordx2 v[68:69], v[68:69], off
	v_add_co_u32_e32 v70, vcc, v56, v0
	v_addc_co_u32_e32 v71, vcc, 0, v57, vcc
	v_lshlrev_b64 v[70:71], 3, v[70:71]
	v_mov_b32_e32 v73, s61
	v_add_co_u32_e32 v72, vcc, s60, v70
	v_addc_co_u32_e32 v73, vcc, v73, v71, vcc
	global_store_dwordx2 v[72:73], v[44:45], off
	v_mov_b32_e32 v72, s63
	v_add_co_u32_e32 v70, vcc, s62, v70
	v_addc_co_u32_e32 v71, vcc, v72, v71, vcc
	s_waitcnt vmcnt(1)
	global_store_dwordx2 v[70:71], v[68:69], off
.LBB259_45:                             ;   in Loop: Header=BB259_21 Depth=1
	;; [unrolled: 30-line block ×6, first 2 shown]
	s_or_b64 exec, exec, s[36:37]
	v_mov_b32_e32 v56, s82
	v_add_co_u32_e32 v68, vcc, s81, v1
	v_addc_co_u32_e32 v56, vcc, v3, v56, vcc
	v_mul_lo_u32 v70, v56, s40
	v_pk_mov_b32 v[56:57], s[46:47], s[46:47] op_sel:[0,1]
	v_mul_lo_u32 v69, v68, s41
	v_mad_u64_u32 v[56:57], s[36:37], v68, s40, v[56:57]
	v_mov_b32_e32 v68, s35
	v_add_co_u32_e32 v66, vcc, s34, v66
	v_readlane_b32 s14, v75, 38
	v_add3_u32 v57, v70, v57, v69
	v_addc_co_u32_e32 v67, vcc, v67, v68, vcc
	v_readlane_b32 s15, v75, 39
	s_and_saveexec_b64 s[36:37], s[14:15]
	s_cbranch_execz .LBB259_55
; %bb.54:                               ;   in Loop: Header=BB259_21 Depth=1
	v_add_co_u32_e32 v68, vcc, v66, v65
	v_addc_co_u32_e32 v69, vcc, 0, v67, vcc
	v_add_co_u32_e32 v70, vcc, v63, v24
	v_addc_co_u32_e32 v71, vcc, v64, v25, vcc
	;; [unrolled: 2-line block ×3, first 2 shown]
	v_cndmask_b32_e64 v69, v71, v69, s[0:1]
	v_cndmask_b32_e64 v68, v70, v68, s[0:1]
	global_load_dwordx2 v[68:69], v[68:69], off
	v_add_co_u32_e32 v70, vcc, v56, v0
	v_addc_co_u32_e32 v71, vcc, 0, v57, vcc
	v_lshlrev_b64 v[70:71], 3, v[70:71]
	v_mov_b32_e32 v73, s5
	v_add_co_u32_e32 v72, vcc, s4, v70
	v_addc_co_u32_e32 v73, vcc, v73, v71, vcc
	global_store_dwordx2 v[72:73], v[38:39], off
	v_mov_b32_e32 v72, s49
	v_add_co_u32_e32 v70, vcc, s48, v70
	v_addc_co_u32_e32 v71, vcc, v72, v71, vcc
	s_waitcnt vmcnt(1)
	global_store_dwordx2 v[70:71], v[68:69], off
.LBB259_55:                             ;   in Loop: Header=BB259_21 Depth=1
	s_or_b64 exec, exec, s[36:37]
	v_readlane_b32 s14, v75, 40
	v_readlane_b32 s15, v75, 41
	s_and_saveexec_b64 s[36:37], s[14:15]
	s_cbranch_execz .LBB259_57
; %bb.56:                               ;   in Loop: Header=BB259_21 Depth=1
	v_add_co_u32_e32 v68, vcc, v66, v65
	v_addc_co_u32_e32 v69, vcc, 0, v67, vcc
	v_add_co_u32_e32 v68, vcc, s6, v68
	v_addc_co_u32_e32 v69, vcc, 0, v69, vcc
	v_add_co_u32_e32 v70, vcc, v63, v50
	v_addc_co_u32_e32 v71, vcc, v64, v51, vcc
	v_add_co_u32_e32 v70, vcc, 0x200, v70
	v_addc_co_u32_e32 v71, vcc, 0, v71, vcc
	v_cndmask_b32_e64 v69, v71, v69, s[0:1]
	v_cndmask_b32_e64 v68, v70, v68, s[0:1]
	global_load_dwordx2 v[68:69], v[68:69], off
	v_add_co_u32_e32 v70, vcc, v56, v0
	v_addc_co_u32_e32 v71, vcc, 0, v57, vcc
	v_lshlrev_b64 v[70:71], 3, v[70:71]
	v_mov_b32_e32 v73, s55
	v_add_co_u32_e32 v72, vcc, s54, v70
	v_addc_co_u32_e32 v73, vcc, v73, v71, vcc
	global_store_dwordx2 v[72:73], v[40:41], off
	v_mov_b32_e32 v72, s57
	v_add_co_u32_e32 v70, vcc, s56, v70
	v_addc_co_u32_e32 v71, vcc, v72, v71, vcc
	s_waitcnt vmcnt(1)
	global_store_dwordx2 v[70:71], v[68:69], off
.LBB259_57:                             ;   in Loop: Header=BB259_21 Depth=1
	s_or_b64 exec, exec, s[36:37]
	v_readlane_b32 s14, v75, 42
	v_readlane_b32 s15, v75, 43
	s_and_saveexec_b64 s[36:37], s[14:15]
	s_cbranch_execz .LBB259_59
; %bb.58:                               ;   in Loop: Header=BB259_21 Depth=1
	v_add_co_u32_e32 v68, vcc, v66, v65
	v_addc_co_u32_e32 v69, vcc, 0, v67, vcc
	v_add_co_u32_e32 v70, vcc, v63, v26
	v_addc_co_u32_e32 v71, vcc, v64, v27, vcc
	v_cndmask_b32_e64 v69, v71, v69, s[0:1]
	v_cndmask_b32_e64 v68, v70, v68, s[0:1]
	global_load_dwordx2 v[68:69], v[68:69], off offset:512
	v_add_co_u32_e32 v70, vcc, v56, v0
	v_addc_co_u32_e32 v71, vcc, 0, v57, vcc
	v_lshlrev_b64 v[70:71], 3, v[70:71]
	v_mov_b32_e32 v73, s59
	v_add_co_u32_e32 v72, vcc, s58, v70
	v_addc_co_u32_e32 v73, vcc, v73, v71, vcc
	global_store_dwordx2 v[72:73], v[42:43], off
	v_mov_b32_e32 v72, s11
	v_add_co_u32_e32 v70, vcc, s10, v70
	v_addc_co_u32_e32 v71, vcc, v72, v71, vcc
	s_waitcnt vmcnt(1)
	global_store_dwordx2 v[70:71], v[68:69], off
.LBB259_59:                             ;   in Loop: Header=BB259_21 Depth=1
	s_or_b64 exec, exec, s[36:37]
	v_readlane_b32 s14, v75, 44
	v_readlane_b32 s15, v75, 45
	s_and_saveexec_b64 s[36:37], s[14:15]
	s_cbranch_execz .LBB259_61
; %bb.60:                               ;   in Loop: Header=BB259_21 Depth=1
	v_add_co_u32_e32 v68, vcc, v66, v65
	v_addc_co_u32_e32 v69, vcc, 0, v67, vcc
	v_add_co_u32_e32 v68, vcc, s78, v68
	v_addc_co_u32_e32 v69, vcc, 0, v69, vcc
	v_add_co_u32_e32 v70, vcc, v63, v28
	v_addc_co_u32_e32 v71, vcc, v64, v29, vcc
	v_add_co_u32_e32 v70, vcc, 0x200, v70
	v_addc_co_u32_e32 v71, vcc, 0, v71, vcc
	v_cndmask_b32_e64 v69, v71, v69, s[0:1]
	v_cndmask_b32_e64 v68, v70, v68, s[0:1]
	global_load_dwordx2 v[68:69], v[68:69], off
	v_add_co_u32_e32 v70, vcc, v56, v0
	v_addc_co_u32_e32 v71, vcc, 0, v57, vcc
	v_lshlrev_b64 v[70:71], 3, v[70:71]
	v_mov_b32_e32 v73, s61
	v_add_co_u32_e32 v72, vcc, s60, v70
	v_addc_co_u32_e32 v73, vcc, v73, v71, vcc
	global_store_dwordx2 v[72:73], v[44:45], off
	v_mov_b32_e32 v72, s63
	v_add_co_u32_e32 v70, vcc, s62, v70
	v_addc_co_u32_e32 v71, vcc, v72, v71, vcc
	s_waitcnt vmcnt(1)
	global_store_dwordx2 v[70:71], v[68:69], off
.LBB259_61:                             ;   in Loop: Header=BB259_21 Depth=1
	s_or_b64 exec, exec, s[36:37]
	v_readlane_b32 s14, v75, 46
	v_readlane_b32 s15, v75, 47
	s_and_saveexec_b64 s[36:37], s[14:15]
	s_cbranch_execz .LBB259_63
; %bb.62:                               ;   in Loop: Header=BB259_21 Depth=1
	v_add_co_u32_e32 v68, vcc, v66, v65
	v_addc_co_u32_e32 v69, vcc, 0, v67, vcc
	v_add_co_u32_e32 v68, vcc, s79, v68
	v_addc_co_u32_e32 v69, vcc, 0, v69, vcc
	v_add_co_u32_e32 v70, vcc, v63, v30
	v_addc_co_u32_e32 v71, vcc, v64, v31, vcc
	v_add_co_u32_e32 v70, vcc, 0x200, v70
	v_addc_co_u32_e32 v71, vcc, 0, v71, vcc
	v_cndmask_b32_e64 v69, v71, v69, s[0:1]
	v_cndmask_b32_e64 v68, v70, v68, s[0:1]
	global_load_dwordx2 v[68:69], v[68:69], off
	v_add_co_u32_e32 v70, vcc, v56, v0
	v_addc_co_u32_e32 v71, vcc, 0, v57, vcc
	v_lshlrev_b64 v[70:71], 3, v[70:71]
	v_mov_b32_e32 v73, s65
	v_add_co_u32_e32 v72, vcc, s64, v70
	v_addc_co_u32_e32 v73, vcc, v73, v71, vcc
	global_store_dwordx2 v[72:73], v[46:47], off
	v_mov_b32_e32 v72, s67
	v_add_co_u32_e32 v70, vcc, s66, v70
	v_addc_co_u32_e32 v71, vcc, v72, v71, vcc
	s_waitcnt vmcnt(1)
	global_store_dwordx2 v[70:71], v[68:69], off
.LBB259_63:                             ;   in Loop: Header=BB259_21 Depth=1
	;; [unrolled: 30-line block ×5, first 2 shown]
	s_or_b64 exec, exec, s[36:37]
	v_mov_b32_e32 v56, s82
	v_add_co_u32_e32 v68, vcc, s81, v7
	v_addc_co_u32_e32 v56, vcc, v9, v56, vcc
	v_mul_lo_u32 v70, v56, s40
	v_pk_mov_b32 v[56:57], s[46:47], s[46:47] op_sel:[0,1]
	v_mul_lo_u32 v69, v68, s41
	v_mad_u64_u32 v[56:57], s[36:37], v68, s40, v[56:57]
	v_mov_b32_e32 v68, s35
	v_add_co_u32_e32 v66, vcc, s34, v66
	v_readlane_b32 s14, v75, 54
	v_add3_u32 v57, v70, v57, v69
	v_addc_co_u32_e32 v67, vcc, v67, v68, vcc
	v_readlane_b32 s15, v75, 55
	s_and_saveexec_b64 s[36:37], s[14:15]
	s_cbranch_execz .LBB259_71
; %bb.70:                               ;   in Loop: Header=BB259_21 Depth=1
	v_add_co_u32_e32 v68, vcc, v66, v65
	v_addc_co_u32_e32 v69, vcc, 0, v67, vcc
	v_add_co_u32_e32 v70, vcc, v63, v24
	v_addc_co_u32_e32 v71, vcc, v64, v25, vcc
	;; [unrolled: 2-line block ×3, first 2 shown]
	v_cndmask_b32_e64 v69, v71, v69, s[0:1]
	v_cndmask_b32_e64 v68, v70, v68, s[0:1]
	global_load_dwordx2 v[68:69], v[68:69], off
	v_add_co_u32_e32 v70, vcc, v56, v0
	v_addc_co_u32_e32 v71, vcc, 0, v57, vcc
	v_lshlrev_b64 v[70:71], 3, v[70:71]
	v_mov_b32_e32 v73, s5
	v_add_co_u32_e32 v72, vcc, s4, v70
	v_addc_co_u32_e32 v73, vcc, v73, v71, vcc
	global_store_dwordx2 v[72:73], v[38:39], off
	v_mov_b32_e32 v72, s49
	v_add_co_u32_e32 v70, vcc, s48, v70
	v_addc_co_u32_e32 v71, vcc, v72, v71, vcc
	s_waitcnt vmcnt(1)
	global_store_dwordx2 v[70:71], v[68:69], off
.LBB259_71:                             ;   in Loop: Header=BB259_21 Depth=1
	s_or_b64 exec, exec, s[36:37]
	v_readlane_b32 s14, v75, 56
	v_readlane_b32 s15, v75, 57
	s_and_saveexec_b64 s[36:37], s[14:15]
	s_cbranch_execz .LBB259_73
; %bb.72:                               ;   in Loop: Header=BB259_21 Depth=1
	v_add_co_u32_e32 v68, vcc, v66, v65
	v_addc_co_u32_e32 v69, vcc, 0, v67, vcc
	v_add_co_u32_e32 v68, vcc, s6, v68
	v_addc_co_u32_e32 v69, vcc, 0, v69, vcc
	v_add_co_u32_e32 v70, vcc, v63, v50
	v_addc_co_u32_e32 v71, vcc, v64, v51, vcc
	v_add_co_u32_e32 v70, vcc, 0x300, v70
	v_addc_co_u32_e32 v71, vcc, 0, v71, vcc
	v_cndmask_b32_e64 v69, v71, v69, s[0:1]
	v_cndmask_b32_e64 v68, v70, v68, s[0:1]
	global_load_dwordx2 v[68:69], v[68:69], off
	v_add_co_u32_e32 v70, vcc, v56, v0
	v_addc_co_u32_e32 v71, vcc, 0, v57, vcc
	v_lshlrev_b64 v[70:71], 3, v[70:71]
	v_mov_b32_e32 v73, s55
	v_add_co_u32_e32 v72, vcc, s54, v70
	v_addc_co_u32_e32 v73, vcc, v73, v71, vcc
	global_store_dwordx2 v[72:73], v[40:41], off
	v_mov_b32_e32 v72, s57
	v_add_co_u32_e32 v70, vcc, s56, v70
	v_addc_co_u32_e32 v71, vcc, v72, v71, vcc
	s_waitcnt vmcnt(1)
	global_store_dwordx2 v[70:71], v[68:69], off
.LBB259_73:                             ;   in Loop: Header=BB259_21 Depth=1
	s_or_b64 exec, exec, s[36:37]
	v_readlane_b32 s14, v75, 58
	v_readlane_b32 s15, v75, 59
	s_and_saveexec_b64 s[36:37], s[14:15]
	s_cbranch_execz .LBB259_75
; %bb.74:                               ;   in Loop: Header=BB259_21 Depth=1
	v_add_co_u32_e32 v68, vcc, v66, v65
	v_addc_co_u32_e32 v69, vcc, 0, v67, vcc
	v_add_co_u32_e32 v68, vcc, s7, v68
	v_addc_co_u32_e32 v69, vcc, 0, v69, vcc
	;; [unrolled: 2-line block ×4, first 2 shown]
	v_cndmask_b32_e64 v69, v71, v69, s[0:1]
	v_cndmask_b32_e64 v68, v70, v68, s[0:1]
	global_load_dwordx2 v[68:69], v[68:69], off
	v_add_co_u32_e32 v70, vcc, v56, v0
	v_addc_co_u32_e32 v71, vcc, 0, v57, vcc
	v_lshlrev_b64 v[70:71], 3, v[70:71]
	v_mov_b32_e32 v73, s59
	v_add_co_u32_e32 v72, vcc, s58, v70
	v_addc_co_u32_e32 v73, vcc, v73, v71, vcc
	global_store_dwordx2 v[72:73], v[42:43], off
	v_mov_b32_e32 v72, s11
	v_add_co_u32_e32 v70, vcc, s10, v70
	v_addc_co_u32_e32 v71, vcc, v72, v71, vcc
	s_waitcnt vmcnt(1)
	global_store_dwordx2 v[70:71], v[68:69], off
.LBB259_75:                             ;   in Loop: Header=BB259_21 Depth=1
	s_or_b64 exec, exec, s[36:37]
	v_readlane_b32 s14, v75, 60
	v_readlane_b32 s15, v75, 61
	s_and_saveexec_b64 s[36:37], s[14:15]
	s_cbranch_execz .LBB259_77
; %bb.76:                               ;   in Loop: Header=BB259_21 Depth=1
	v_add_co_u32_e32 v68, vcc, v66, v65
	v_addc_co_u32_e32 v69, vcc, 0, v67, vcc
	v_add_co_u32_e32 v70, vcc, v63, v28
	v_addc_co_u32_e32 v71, vcc, v64, v29, vcc
	v_cndmask_b32_e64 v69, v71, v69, s[0:1]
	v_cndmask_b32_e64 v68, v70, v68, s[0:1]
	global_load_dwordx2 v[68:69], v[68:69], off offset:768
	v_add_co_u32_e32 v70, vcc, v56, v0
	v_addc_co_u32_e32 v71, vcc, 0, v57, vcc
	v_lshlrev_b64 v[70:71], 3, v[70:71]
	v_mov_b32_e32 v73, s61
	v_add_co_u32_e32 v72, vcc, s60, v70
	v_addc_co_u32_e32 v73, vcc, v73, v71, vcc
	global_store_dwordx2 v[72:73], v[44:45], off
	v_mov_b32_e32 v72, s63
	v_add_co_u32_e32 v70, vcc, s62, v70
	v_addc_co_u32_e32 v71, vcc, v72, v71, vcc
	s_waitcnt vmcnt(1)
	global_store_dwordx2 v[70:71], v[68:69], off
.LBB259_77:                             ;   in Loop: Header=BB259_21 Depth=1
	s_or_b64 exec, exec, s[36:37]
	v_readlane_b32 s14, v75, 62
	v_readlane_b32 s15, v75, 63
	s_and_saveexec_b64 s[36:37], s[14:15]
	s_cbranch_execz .LBB259_79
; %bb.78:                               ;   in Loop: Header=BB259_21 Depth=1
	v_add_co_u32_e32 v68, vcc, v66, v65
	v_addc_co_u32_e32 v69, vcc, 0, v67, vcc
	v_add_co_u32_e32 v68, vcc, s79, v68
	v_addc_co_u32_e32 v69, vcc, 0, v69, vcc
	v_add_co_u32_e32 v70, vcc, v63, v30
	v_addc_co_u32_e32 v71, vcc, v64, v31, vcc
	v_add_co_u32_e32 v70, vcc, 0x300, v70
	v_addc_co_u32_e32 v71, vcc, 0, v71, vcc
	v_cndmask_b32_e64 v69, v71, v69, s[0:1]
	v_cndmask_b32_e64 v68, v70, v68, s[0:1]
	global_load_dwordx2 v[68:69], v[68:69], off
	v_add_co_u32_e32 v70, vcc, v56, v0
	v_addc_co_u32_e32 v71, vcc, 0, v57, vcc
	v_lshlrev_b64 v[70:71], 3, v[70:71]
	v_mov_b32_e32 v73, s65
	v_add_co_u32_e32 v72, vcc, s64, v70
	v_addc_co_u32_e32 v73, vcc, v73, v71, vcc
	global_store_dwordx2 v[72:73], v[46:47], off
	v_mov_b32_e32 v72, s67
	v_add_co_u32_e32 v70, vcc, s66, v70
	v_addc_co_u32_e32 v71, vcc, v72, v71, vcc
	s_waitcnt vmcnt(1)
	global_store_dwordx2 v[70:71], v[68:69], off
.LBB259_79:                             ;   in Loop: Header=BB259_21 Depth=1
	s_or_b64 exec, exec, s[36:37]
	v_readlane_b32 s14, v74, 0
	v_readlane_b32 s15, v74, 1
	s_and_saveexec_b64 s[36:37], s[14:15]
	s_cbranch_execz .LBB259_81
; %bb.80:                               ;   in Loop: Header=BB259_21 Depth=1
	v_add_co_u32_e32 v68, vcc, v66, v65
	v_addc_co_u32_e32 v69, vcc, 0, v67, vcc
	v_add_co_u32_e32 v68, vcc, s2, v68
	v_addc_co_u32_e32 v69, vcc, 0, v69, vcc
	v_add_co_u32_e32 v70, vcc, v63, v32
	v_addc_co_u32_e32 v71, vcc, v64, v33, vcc
	v_add_co_u32_e32 v70, vcc, 0x300, v70
	v_addc_co_u32_e32 v71, vcc, 0, v71, vcc
	v_cndmask_b32_e64 v69, v71, v69, s[0:1]
	v_cndmask_b32_e64 v68, v70, v68, s[0:1]
	global_load_dwordx2 v[68:69], v[68:69], off
	v_add_co_u32_e32 v70, vcc, v56, v0
	v_addc_co_u32_e32 v71, vcc, 0, v57, vcc
	v_lshlrev_b64 v[70:71], 3, v[70:71]
	v_mov_b32_e32 v73, s69
	v_add_co_u32_e32 v72, vcc, s68, v70
	v_addc_co_u32_e32 v73, vcc, v73, v71, vcc
	global_store_dwordx2 v[72:73], v[48:49], off
	v_mov_b32_e32 v72, s71
	v_add_co_u32_e32 v70, vcc, s70, v70
	v_addc_co_u32_e32 v71, vcc, v72, v71, vcc
	s_waitcnt vmcnt(1)
	global_store_dwordx2 v[70:71], v[68:69], off
.LBB259_81:                             ;   in Loop: Header=BB259_21 Depth=1
	;; [unrolled: 30-line block ×4, first 2 shown]
	s_or_b64 exec, exec, s[36:37]
	v_mov_b32_e32 v56, s82
	v_add_co_u32_e32 v68, vcc, s81, v11
	v_addc_co_u32_e32 v56, vcc, v13, v56, vcc
	v_mul_lo_u32 v70, v56, s40
	v_pk_mov_b32 v[56:57], s[46:47], s[46:47] op_sel:[0,1]
	v_mul_lo_u32 v69, v68, s41
	v_mad_u64_u32 v[56:57], s[36:37], v68, s40, v[56:57]
	v_mov_b32_e32 v68, s35
	v_add_co_u32_e32 v66, vcc, s34, v66
	v_readlane_b32 s14, v74, 6
	v_add3_u32 v57, v70, v57, v69
	v_addc_co_u32_e32 v67, vcc, v67, v68, vcc
	v_readlane_b32 s15, v74, 7
	s_and_saveexec_b64 s[36:37], s[14:15]
	s_cbranch_execz .LBB259_87
; %bb.86:                               ;   in Loop: Header=BB259_21 Depth=1
	v_add_co_u32_e32 v68, vcc, v66, v65
	v_addc_co_u32_e32 v69, vcc, 0, v67, vcc
	v_add_co_u32_e32 v70, vcc, v63, v24
	v_addc_co_u32_e32 v71, vcc, v64, v25, vcc
	;; [unrolled: 2-line block ×3, first 2 shown]
	v_cndmask_b32_e64 v69, v71, v69, s[0:1]
	v_cndmask_b32_e64 v68, v70, v68, s[0:1]
	global_load_dwordx2 v[68:69], v[68:69], off
	v_add_co_u32_e32 v70, vcc, v56, v0
	v_addc_co_u32_e32 v71, vcc, 0, v57, vcc
	v_lshlrev_b64 v[70:71], 3, v[70:71]
	v_mov_b32_e32 v73, s5
	v_add_co_u32_e32 v72, vcc, s4, v70
	v_addc_co_u32_e32 v73, vcc, v73, v71, vcc
	global_store_dwordx2 v[72:73], v[38:39], off
	v_mov_b32_e32 v72, s49
	v_add_co_u32_e32 v70, vcc, s48, v70
	v_addc_co_u32_e32 v71, vcc, v72, v71, vcc
	s_waitcnt vmcnt(1)
	global_store_dwordx2 v[70:71], v[68:69], off
.LBB259_87:                             ;   in Loop: Header=BB259_21 Depth=1
	s_or_b64 exec, exec, s[36:37]
	v_readlane_b32 s14, v74, 8
	v_readlane_b32 s15, v74, 9
	s_and_saveexec_b64 s[36:37], s[14:15]
	s_cbranch_execz .LBB259_89
; %bb.88:                               ;   in Loop: Header=BB259_21 Depth=1
	v_add_co_u32_e32 v68, vcc, v66, v65
	v_addc_co_u32_e32 v69, vcc, 0, v67, vcc
	v_add_co_u32_e32 v68, vcc, s6, v68
	v_addc_co_u32_e32 v69, vcc, 0, v69, vcc
	v_add_co_u32_e32 v70, vcc, v63, v50
	v_addc_co_u32_e32 v71, vcc, v64, v51, vcc
	v_add_co_u32_e32 v70, vcc, 0x400, v70
	v_addc_co_u32_e32 v71, vcc, 0, v71, vcc
	v_cndmask_b32_e64 v69, v71, v69, s[0:1]
	v_cndmask_b32_e64 v68, v70, v68, s[0:1]
	global_load_dwordx2 v[68:69], v[68:69], off
	v_add_co_u32_e32 v70, vcc, v56, v0
	v_addc_co_u32_e32 v71, vcc, 0, v57, vcc
	v_lshlrev_b64 v[70:71], 3, v[70:71]
	v_mov_b32_e32 v73, s55
	v_add_co_u32_e32 v72, vcc, s54, v70
	v_addc_co_u32_e32 v73, vcc, v73, v71, vcc
	global_store_dwordx2 v[72:73], v[40:41], off
	v_mov_b32_e32 v72, s57
	v_add_co_u32_e32 v70, vcc, s56, v70
	v_addc_co_u32_e32 v71, vcc, v72, v71, vcc
	s_waitcnt vmcnt(1)
	global_store_dwordx2 v[70:71], v[68:69], off
.LBB259_89:                             ;   in Loop: Header=BB259_21 Depth=1
	s_or_b64 exec, exec, s[36:37]
	v_readlane_b32 s14, v74, 10
	v_readlane_b32 s15, v74, 11
	s_and_saveexec_b64 s[36:37], s[14:15]
	s_cbranch_execz .LBB259_91
; %bb.90:                               ;   in Loop: Header=BB259_21 Depth=1
	v_add_co_u32_e32 v68, vcc, v66, v65
	v_addc_co_u32_e32 v69, vcc, 0, v67, vcc
	v_add_co_u32_e32 v68, vcc, s7, v68
	v_addc_co_u32_e32 v69, vcc, 0, v69, vcc
	v_add_co_u32_e32 v70, vcc, v63, v26
	v_addc_co_u32_e32 v71, vcc, v64, v27, vcc
	v_add_co_u32_e32 v70, vcc, 0x400, v70
	v_addc_co_u32_e32 v71, vcc, 0, v71, vcc
	v_cndmask_b32_e64 v69, v71, v69, s[0:1]
	v_cndmask_b32_e64 v68, v70, v68, s[0:1]
	global_load_dwordx2 v[68:69], v[68:69], off
	v_add_co_u32_e32 v70, vcc, v56, v0
	v_addc_co_u32_e32 v71, vcc, 0, v57, vcc
	v_lshlrev_b64 v[70:71], 3, v[70:71]
	v_mov_b32_e32 v73, s59
	v_add_co_u32_e32 v72, vcc, s58, v70
	v_addc_co_u32_e32 v73, vcc, v73, v71, vcc
	global_store_dwordx2 v[72:73], v[42:43], off
	v_mov_b32_e32 v72, s11
	v_add_co_u32_e32 v70, vcc, s10, v70
	v_addc_co_u32_e32 v71, vcc, v72, v71, vcc
	s_waitcnt vmcnt(1)
	global_store_dwordx2 v[70:71], v[68:69], off
.LBB259_91:                             ;   in Loop: Header=BB259_21 Depth=1
	;; [unrolled: 30-line block ×3, first 2 shown]
	s_or_b64 exec, exec, s[36:37]
	v_readlane_b32 s14, v74, 14
	v_readlane_b32 s15, v74, 15
	s_and_saveexec_b64 s[36:37], s[14:15]
	s_cbranch_execz .LBB259_95
; %bb.94:                               ;   in Loop: Header=BB259_21 Depth=1
	v_add_co_u32_e32 v68, vcc, v66, v65
	v_addc_co_u32_e32 v69, vcc, 0, v67, vcc
	v_add_co_u32_e32 v70, vcc, v63, v30
	v_addc_co_u32_e32 v71, vcc, v64, v31, vcc
	v_cndmask_b32_e64 v69, v71, v69, s[0:1]
	v_cndmask_b32_e64 v68, v70, v68, s[0:1]
	global_load_dwordx2 v[68:69], v[68:69], off offset:1024
	v_add_co_u32_e32 v70, vcc, v56, v0
	v_addc_co_u32_e32 v71, vcc, 0, v57, vcc
	v_lshlrev_b64 v[70:71], 3, v[70:71]
	v_mov_b32_e32 v73, s65
	v_add_co_u32_e32 v72, vcc, s64, v70
	v_addc_co_u32_e32 v73, vcc, v73, v71, vcc
	global_store_dwordx2 v[72:73], v[46:47], off
	v_mov_b32_e32 v72, s67
	v_add_co_u32_e32 v70, vcc, s66, v70
	v_addc_co_u32_e32 v71, vcc, v72, v71, vcc
	s_waitcnt vmcnt(1)
	global_store_dwordx2 v[70:71], v[68:69], off
.LBB259_95:                             ;   in Loop: Header=BB259_21 Depth=1
	s_or_b64 exec, exec, s[36:37]
	v_readlane_b32 s14, v74, 16
	v_readlane_b32 s15, v74, 17
	s_and_saveexec_b64 s[36:37], s[14:15]
	s_cbranch_execz .LBB259_97
; %bb.96:                               ;   in Loop: Header=BB259_21 Depth=1
	v_add_co_u32_e32 v68, vcc, v66, v65
	v_addc_co_u32_e32 v69, vcc, 0, v67, vcc
	v_add_co_u32_e32 v68, vcc, s2, v68
	v_addc_co_u32_e32 v69, vcc, 0, v69, vcc
	v_add_co_u32_e32 v70, vcc, v63, v32
	v_addc_co_u32_e32 v71, vcc, v64, v33, vcc
	v_add_co_u32_e32 v70, vcc, 0x400, v70
	v_addc_co_u32_e32 v71, vcc, 0, v71, vcc
	v_cndmask_b32_e64 v69, v71, v69, s[0:1]
	v_cndmask_b32_e64 v68, v70, v68, s[0:1]
	global_load_dwordx2 v[68:69], v[68:69], off
	v_add_co_u32_e32 v70, vcc, v56, v0
	v_addc_co_u32_e32 v71, vcc, 0, v57, vcc
	v_lshlrev_b64 v[70:71], 3, v[70:71]
	v_mov_b32_e32 v73, s69
	v_add_co_u32_e32 v72, vcc, s68, v70
	v_addc_co_u32_e32 v73, vcc, v73, v71, vcc
	global_store_dwordx2 v[72:73], v[48:49], off
	v_mov_b32_e32 v72, s71
	v_add_co_u32_e32 v70, vcc, s70, v70
	v_addc_co_u32_e32 v71, vcc, v72, v71, vcc
	s_waitcnt vmcnt(1)
	global_store_dwordx2 v[70:71], v[68:69], off
.LBB259_97:                             ;   in Loop: Header=BB259_21 Depth=1
	s_or_b64 exec, exec, s[36:37]
	v_readlane_b32 s14, v74, 18
	v_readlane_b32 s15, v74, 19
	s_and_saveexec_b64 s[36:37], s[14:15]
	s_cbranch_execz .LBB259_99
; %bb.98:                               ;   in Loop: Header=BB259_21 Depth=1
	v_add_co_u32_e32 v68, vcc, v66, v65
	v_addc_co_u32_e32 v69, vcc, 0, v67, vcc
	v_add_co_u32_e32 v68, vcc, s3, v68
	v_addc_co_u32_e32 v69, vcc, 0, v69, vcc
	;; [unrolled: 2-line block ×4, first 2 shown]
	v_cndmask_b32_e64 v69, v71, v69, s[0:1]
	v_cndmask_b32_e64 v68, v70, v68, s[0:1]
	global_load_dwordx2 v[68:69], v[68:69], off
	v_add_co_u32_e32 v70, vcc, v56, v0
	v_addc_co_u32_e32 v71, vcc, 0, v57, vcc
	v_lshlrev_b64 v[70:71], 3, v[70:71]
	v_mov_b32_e32 v73, s73
	v_add_co_u32_e32 v72, vcc, s72, v70
	v_addc_co_u32_e32 v73, vcc, v73, v71, vcc
	global_store_dwordx2 v[72:73], v[52:53], off
	v_mov_b32_e32 v72, s13
	v_add_co_u32_e32 v70, vcc, s12, v70
	v_addc_co_u32_e32 v71, vcc, v72, v71, vcc
	s_waitcnt vmcnt(1)
	global_store_dwordx2 v[70:71], v[68:69], off
.LBB259_99:                             ;   in Loop: Header=BB259_21 Depth=1
	s_or_b64 exec, exec, s[36:37]
	v_readlane_b32 s14, v74, 20
	v_readlane_b32 s15, v74, 21
	s_and_saveexec_b64 s[36:37], s[14:15]
	s_cbranch_execz .LBB259_101
; %bb.100:                              ;   in Loop: Header=BB259_21 Depth=1
	v_add_co_u32_e32 v68, vcc, v66, v65
	v_addc_co_u32_e32 v69, vcc, 0, v67, vcc
	v_add_co_u32_e32 v68, vcc, s80, v68
	v_addc_co_u32_e32 v69, vcc, 0, v69, vcc
	;; [unrolled: 2-line block ×4, first 2 shown]
	v_cndmask_b32_e64 v69, v71, v69, s[0:1]
	v_cndmask_b32_e64 v68, v70, v68, s[0:1]
	global_load_dwordx2 v[68:69], v[68:69], off
	v_add_co_u32_e32 v56, vcc, v56, v0
	v_addc_co_u32_e32 v57, vcc, 0, v57, vcc
	v_lshlrev_b64 v[56:57], 3, v[56:57]
	v_mov_b32_e32 v71, s75
	v_add_co_u32_e32 v70, vcc, s74, v56
	v_addc_co_u32_e32 v71, vcc, v71, v57, vcc
	global_store_dwordx2 v[70:71], v[54:55], off
	v_mov_b32_e32 v70, s77
	v_add_co_u32_e32 v56, vcc, s76, v56
	v_addc_co_u32_e32 v57, vcc, v70, v57, vcc
	s_waitcnt vmcnt(1)
	global_store_dwordx2 v[56:57], v[68:69], off
.LBB259_101:                            ;   in Loop: Header=BB259_21 Depth=1
	s_or_b64 exec, exec, s[36:37]
	v_mov_b32_e32 v56, s82
	v_add_co_u32_e32 v68, vcc, s81, v15
	v_addc_co_u32_e32 v56, vcc, v17, v56, vcc
	v_mul_lo_u32 v70, v56, s40
	v_pk_mov_b32 v[56:57], s[46:47], s[46:47] op_sel:[0,1]
	v_mul_lo_u32 v69, v68, s41
	v_mad_u64_u32 v[56:57], s[36:37], v68, s40, v[56:57]
	v_mov_b32_e32 v68, s35
	v_add_co_u32_e32 v66, vcc, s34, v66
	v_readlane_b32 s14, v74, 22
	v_add3_u32 v57, v70, v57, v69
	v_addc_co_u32_e32 v67, vcc, v67, v68, vcc
	v_readlane_b32 s15, v74, 23
	s_and_saveexec_b64 s[36:37], s[14:15]
	s_cbranch_execz .LBB259_103
; %bb.102:                              ;   in Loop: Header=BB259_21 Depth=1
	v_add_co_u32_e32 v68, vcc, v66, v65
	v_addc_co_u32_e32 v69, vcc, 0, v67, vcc
	v_add_co_u32_e32 v70, vcc, v63, v24
	v_addc_co_u32_e32 v71, vcc, v64, v25, vcc
	;; [unrolled: 2-line block ×3, first 2 shown]
	v_cndmask_b32_e64 v69, v71, v69, s[0:1]
	v_cndmask_b32_e64 v68, v70, v68, s[0:1]
	global_load_dwordx2 v[68:69], v[68:69], off
	v_add_co_u32_e32 v70, vcc, v56, v0
	v_addc_co_u32_e32 v71, vcc, 0, v57, vcc
	v_lshlrev_b64 v[70:71], 3, v[70:71]
	v_mov_b32_e32 v73, s5
	v_add_co_u32_e32 v72, vcc, s4, v70
	v_addc_co_u32_e32 v73, vcc, v73, v71, vcc
	global_store_dwordx2 v[72:73], v[38:39], off
	v_mov_b32_e32 v72, s49
	v_add_co_u32_e32 v70, vcc, s48, v70
	v_addc_co_u32_e32 v71, vcc, v72, v71, vcc
	s_waitcnt vmcnt(1)
	global_store_dwordx2 v[70:71], v[68:69], off
.LBB259_103:                            ;   in Loop: Header=BB259_21 Depth=1
	s_or_b64 exec, exec, s[36:37]
	v_readlane_b32 s14, v74, 24
	v_readlane_b32 s15, v74, 25
	s_and_saveexec_b64 s[36:37], s[14:15]
	s_cbranch_execz .LBB259_105
; %bb.104:                              ;   in Loop: Header=BB259_21 Depth=1
	v_add_co_u32_e32 v68, vcc, v66, v65
	v_addc_co_u32_e32 v69, vcc, 0, v67, vcc
	v_add_co_u32_e32 v68, vcc, s6, v68
	v_addc_co_u32_e32 v69, vcc, 0, v69, vcc
	v_add_co_u32_e32 v70, vcc, v63, v50
	v_addc_co_u32_e32 v71, vcc, v64, v51, vcc
	v_add_co_u32_e32 v70, vcc, 0x500, v70
	v_addc_co_u32_e32 v71, vcc, 0, v71, vcc
	v_cndmask_b32_e64 v69, v71, v69, s[0:1]
	v_cndmask_b32_e64 v68, v70, v68, s[0:1]
	global_load_dwordx2 v[68:69], v[68:69], off
	v_add_co_u32_e32 v70, vcc, v56, v0
	v_addc_co_u32_e32 v71, vcc, 0, v57, vcc
	v_lshlrev_b64 v[70:71], 3, v[70:71]
	v_mov_b32_e32 v73, s55
	v_add_co_u32_e32 v72, vcc, s54, v70
	v_addc_co_u32_e32 v73, vcc, v73, v71, vcc
	global_store_dwordx2 v[72:73], v[40:41], off
	v_mov_b32_e32 v72, s57
	v_add_co_u32_e32 v70, vcc, s56, v70
	v_addc_co_u32_e32 v71, vcc, v72, v71, vcc
	s_waitcnt vmcnt(1)
	global_store_dwordx2 v[70:71], v[68:69], off
.LBB259_105:                            ;   in Loop: Header=BB259_21 Depth=1
	s_or_b64 exec, exec, s[36:37]
	v_readlane_b32 s14, v74, 26
	v_readlane_b32 s15, v74, 27
	s_and_saveexec_b64 s[36:37], s[14:15]
	s_cbranch_execz .LBB259_107
; %bb.106:                              ;   in Loop: Header=BB259_21 Depth=1
	v_add_co_u32_e32 v68, vcc, v66, v65
	v_addc_co_u32_e32 v69, vcc, 0, v67, vcc
	v_add_co_u32_e32 v68, vcc, s7, v68
	v_addc_co_u32_e32 v69, vcc, 0, v69, vcc
	v_add_co_u32_e32 v70, vcc, v63, v26
	v_addc_co_u32_e32 v71, vcc, v64, v27, vcc
	v_add_co_u32_e32 v70, vcc, 0x500, v70
	v_addc_co_u32_e32 v71, vcc, 0, v71, vcc
	v_cndmask_b32_e64 v69, v71, v69, s[0:1]
	v_cndmask_b32_e64 v68, v70, v68, s[0:1]
	global_load_dwordx2 v[68:69], v[68:69], off
	v_add_co_u32_e32 v70, vcc, v56, v0
	v_addc_co_u32_e32 v71, vcc, 0, v57, vcc
	v_lshlrev_b64 v[70:71], 3, v[70:71]
	v_mov_b32_e32 v73, s59
	v_add_co_u32_e32 v72, vcc, s58, v70
	v_addc_co_u32_e32 v73, vcc, v73, v71, vcc
	global_store_dwordx2 v[72:73], v[42:43], off
	v_mov_b32_e32 v72, s11
	v_add_co_u32_e32 v70, vcc, s10, v70
	v_addc_co_u32_e32 v71, vcc, v72, v71, vcc
	s_waitcnt vmcnt(1)
	global_store_dwordx2 v[70:71], v[68:69], off
.LBB259_107:                            ;   in Loop: Header=BB259_21 Depth=1
	;; [unrolled: 30-line block ×4, first 2 shown]
	s_or_b64 exec, exec, s[36:37]
	v_readlane_b32 s14, v74, 32
	v_readlane_b32 s15, v74, 33
	s_and_saveexec_b64 s[36:37], s[14:15]
	s_cbranch_execz .LBB259_113
; %bb.112:                              ;   in Loop: Header=BB259_21 Depth=1
	v_add_co_u32_e32 v68, vcc, v66, v65
	v_addc_co_u32_e32 v69, vcc, 0, v67, vcc
	v_add_co_u32_e32 v70, vcc, v63, v32
	v_addc_co_u32_e32 v71, vcc, v64, v33, vcc
	v_cndmask_b32_e64 v69, v71, v69, s[0:1]
	v_cndmask_b32_e64 v68, v70, v68, s[0:1]
	global_load_dwordx2 v[68:69], v[68:69], off offset:1280
	v_add_co_u32_e32 v70, vcc, v56, v0
	v_addc_co_u32_e32 v71, vcc, 0, v57, vcc
	v_lshlrev_b64 v[70:71], 3, v[70:71]
	v_mov_b32_e32 v73, s69
	v_add_co_u32_e32 v72, vcc, s68, v70
	v_addc_co_u32_e32 v73, vcc, v73, v71, vcc
	global_store_dwordx2 v[72:73], v[48:49], off
	v_mov_b32_e32 v72, s71
	v_add_co_u32_e32 v70, vcc, s70, v70
	v_addc_co_u32_e32 v71, vcc, v72, v71, vcc
	s_waitcnt vmcnt(1)
	global_store_dwordx2 v[70:71], v[68:69], off
.LBB259_113:                            ;   in Loop: Header=BB259_21 Depth=1
	s_or_b64 exec, exec, s[36:37]
	v_readlane_b32 s14, v74, 34
	v_readlane_b32 s15, v74, 35
	s_and_saveexec_b64 s[36:37], s[14:15]
	s_cbranch_execz .LBB259_115
; %bb.114:                              ;   in Loop: Header=BB259_21 Depth=1
	v_add_co_u32_e32 v68, vcc, v66, v65
	v_addc_co_u32_e32 v69, vcc, 0, v67, vcc
	v_add_co_u32_e32 v68, vcc, s3, v68
	v_addc_co_u32_e32 v69, vcc, 0, v69, vcc
	;; [unrolled: 2-line block ×4, first 2 shown]
	v_cndmask_b32_e64 v69, v71, v69, s[0:1]
	v_cndmask_b32_e64 v68, v70, v68, s[0:1]
	global_load_dwordx2 v[68:69], v[68:69], off
	v_add_co_u32_e32 v70, vcc, v56, v0
	v_addc_co_u32_e32 v71, vcc, 0, v57, vcc
	v_lshlrev_b64 v[70:71], 3, v[70:71]
	v_mov_b32_e32 v73, s73
	v_add_co_u32_e32 v72, vcc, s72, v70
	v_addc_co_u32_e32 v73, vcc, v73, v71, vcc
	global_store_dwordx2 v[72:73], v[52:53], off
	v_mov_b32_e32 v72, s13
	v_add_co_u32_e32 v70, vcc, s12, v70
	v_addc_co_u32_e32 v71, vcc, v72, v71, vcc
	s_waitcnt vmcnt(1)
	global_store_dwordx2 v[70:71], v[68:69], off
.LBB259_115:                            ;   in Loop: Header=BB259_21 Depth=1
	s_or_b64 exec, exec, s[36:37]
	v_readlane_b32 s14, v74, 36
	v_readlane_b32 s15, v74, 37
	s_and_saveexec_b64 s[36:37], s[14:15]
	s_cbranch_execz .LBB259_117
; %bb.116:                              ;   in Loop: Header=BB259_21 Depth=1
	v_add_co_u32_e32 v68, vcc, v66, v65
	v_addc_co_u32_e32 v69, vcc, 0, v67, vcc
	v_add_co_u32_e32 v68, vcc, s80, v68
	v_addc_co_u32_e32 v69, vcc, 0, v69, vcc
	v_add_co_u32_e32 v70, vcc, v63, v36
	v_addc_co_u32_e32 v71, vcc, v64, v37, vcc
	v_add_co_u32_e32 v70, vcc, 0x500, v70
	v_addc_co_u32_e32 v71, vcc, 0, v71, vcc
	v_cndmask_b32_e64 v69, v71, v69, s[0:1]
	v_cndmask_b32_e64 v68, v70, v68, s[0:1]
	global_load_dwordx2 v[68:69], v[68:69], off
	v_add_co_u32_e32 v56, vcc, v56, v0
	v_addc_co_u32_e32 v57, vcc, 0, v57, vcc
	v_lshlrev_b64 v[56:57], 3, v[56:57]
	v_mov_b32_e32 v71, s75
	v_add_co_u32_e32 v70, vcc, s74, v56
	v_addc_co_u32_e32 v71, vcc, v71, v57, vcc
	global_store_dwordx2 v[70:71], v[54:55], off
	v_mov_b32_e32 v70, s77
	v_add_co_u32_e32 v56, vcc, s76, v56
	v_addc_co_u32_e32 v57, vcc, v70, v57, vcc
	s_waitcnt vmcnt(1)
	global_store_dwordx2 v[56:57], v[68:69], off
.LBB259_117:                            ;   in Loop: Header=BB259_21 Depth=1
	s_or_b64 exec, exec, s[36:37]
	v_mov_b32_e32 v56, s82
	v_add_co_u32_e32 v68, vcc, s81, v59
	v_addc_co_u32_e32 v56, vcc, v60, v56, vcc
	v_mul_lo_u32 v70, v56, s40
	v_pk_mov_b32 v[56:57], s[46:47], s[46:47] op_sel:[0,1]
	v_mul_lo_u32 v69, v68, s41
	v_mad_u64_u32 v[56:57], s[36:37], v68, s40, v[56:57]
	v_mov_b32_e32 v68, s35
	v_add_co_u32_e32 v66, vcc, s34, v66
	v_add3_u32 v57, v70, v57, v69
	v_addc_co_u32_e32 v67, vcc, v67, v68, vcc
	s_and_saveexec_b64 s[36:37], s[84:85]
	s_cbranch_execnz .LBB259_134
; %bb.118:                              ;   in Loop: Header=BB259_21 Depth=1
	s_or_b64 exec, exec, s[36:37]
	s_and_saveexec_b64 s[36:37], s[86:87]
	s_cbranch_execnz .LBB259_135
.LBB259_119:                            ;   in Loop: Header=BB259_21 Depth=1
	s_or_b64 exec, exec, s[36:37]
	s_and_saveexec_b64 s[36:37], s[88:89]
	s_cbranch_execnz .LBB259_136
.LBB259_120:                            ;   in Loop: Header=BB259_21 Depth=1
	s_or_b64 exec, exec, s[36:37]
	s_and_saveexec_b64 s[36:37], s[90:91]
	s_cbranch_execnz .LBB259_137
.LBB259_121:                            ;   in Loop: Header=BB259_21 Depth=1
	s_or_b64 exec, exec, s[36:37]
	s_and_saveexec_b64 s[36:37], s[92:93]
	s_cbranch_execnz .LBB259_138
.LBB259_122:                            ;   in Loop: Header=BB259_21 Depth=1
	s_or_b64 exec, exec, s[36:37]
	s_and_saveexec_b64 s[36:37], s[8:9]
	s_cbranch_execnz .LBB259_139
.LBB259_123:                            ;   in Loop: Header=BB259_21 Depth=1
	s_or_b64 exec, exec, s[36:37]
	s_and_saveexec_b64 s[36:37], s[94:95]
	s_cbranch_execnz .LBB259_140
.LBB259_124:                            ;   in Loop: Header=BB259_21 Depth=1
	s_or_b64 exec, exec, s[36:37]
	s_and_saveexec_b64 s[36:37], s[16:17]
	s_cbranch_execz .LBB259_126
.LBB259_125:                            ;   in Loop: Header=BB259_21 Depth=1
	v_add_co_u32_e32 v68, vcc, v66, v65
	v_addc_co_u32_e32 v69, vcc, 0, v67, vcc
	v_add_co_u32_e32 v68, vcc, s80, v68
	v_addc_co_u32_e32 v69, vcc, 0, v69, vcc
	;; [unrolled: 2-line block ×4, first 2 shown]
	v_cndmask_b32_e64 v69, v71, v69, s[0:1]
	v_cndmask_b32_e64 v68, v70, v68, s[0:1]
	global_load_dwordx2 v[68:69], v[68:69], off
	v_add_co_u32_e32 v56, vcc, v56, v0
	v_addc_co_u32_e32 v57, vcc, 0, v57, vcc
	v_lshlrev_b64 v[56:57], 3, v[56:57]
	v_mov_b32_e32 v71, s75
	v_add_co_u32_e32 v70, vcc, s74, v56
	v_addc_co_u32_e32 v71, vcc, v71, v57, vcc
	global_store_dwordx2 v[70:71], v[54:55], off
	v_mov_b32_e32 v70, s77
	v_add_co_u32_e32 v56, vcc, s76, v56
	v_addc_co_u32_e32 v57, vcc, v70, v57, vcc
	s_waitcnt vmcnt(1)
	global_store_dwordx2 v[56:57], v[68:69], off
.LBB259_126:                            ;   in Loop: Header=BB259_21 Depth=1
	s_or_b64 exec, exec, s[36:37]
	v_mov_b32_e32 v56, s82
	v_add_co_u32_e32 v68, vcc, s81, v61
	v_addc_co_u32_e32 v56, vcc, v62, v56, vcc
	v_mul_lo_u32 v70, v56, s40
	v_pk_mov_b32 v[56:57], s[46:47], s[46:47] op_sel:[0,1]
	v_mul_lo_u32 v69, v68, s41
	v_mad_u64_u32 v[56:57], s[36:37], v68, s40, v[56:57]
	v_mov_b32_e32 v68, s35
	v_add_co_u32_e32 v66, vcc, s34, v66
	v_add3_u32 v57, v70, v57, v69
	v_addc_co_u32_e32 v67, vcc, v67, v68, vcc
	s_and_saveexec_b64 s[34:35], s[38:39]
	s_cbranch_execnz .LBB259_141
; %bb.127:                              ;   in Loop: Header=BB259_21 Depth=1
	s_or_b64 exec, exec, s[34:35]
	s_and_saveexec_b64 s[34:35], s[20:21]
	s_cbranch_execnz .LBB259_142
.LBB259_128:                            ;   in Loop: Header=BB259_21 Depth=1
	s_or_b64 exec, exec, s[34:35]
	s_and_saveexec_b64 s[34:35], s[22:23]
	s_cbranch_execnz .LBB259_143
.LBB259_129:                            ;   in Loop: Header=BB259_21 Depth=1
	s_or_b64 exec, exec, s[34:35]
	s_and_saveexec_b64 s[34:35], s[24:25]
	s_cbranch_execnz .LBB259_144
.LBB259_130:                            ;   in Loop: Header=BB259_21 Depth=1
	s_or_b64 exec, exec, s[34:35]
	s_and_saveexec_b64 s[34:35], s[26:27]
	s_cbranch_execnz .LBB259_145
.LBB259_131:                            ;   in Loop: Header=BB259_21 Depth=1
	s_or_b64 exec, exec, s[34:35]
	s_and_saveexec_b64 s[34:35], s[28:29]
	s_cbranch_execnz .LBB259_146
.LBB259_132:                            ;   in Loop: Header=BB259_21 Depth=1
	s_or_b64 exec, exec, s[34:35]
	s_and_saveexec_b64 s[34:35], s[30:31]
	s_cbranch_execnz .LBB259_147
.LBB259_133:                            ;   in Loop: Header=BB259_21 Depth=1
	s_or_b64 exec, exec, s[34:35]
	s_and_saveexec_b64 s[34:35], s[18:19]
	s_cbranch_execz .LBB259_20
	s_branch .LBB259_148
.LBB259_134:                            ;   in Loop: Header=BB259_21 Depth=1
	v_add_co_u32_e32 v68, vcc, v66, v65
	v_addc_co_u32_e32 v69, vcc, 0, v67, vcc
	v_add_co_u32_e32 v70, vcc, v63, v24
	v_addc_co_u32_e32 v71, vcc, v64, v25, vcc
	;; [unrolled: 2-line block ×3, first 2 shown]
	v_cndmask_b32_e64 v69, v71, v69, s[0:1]
	v_cndmask_b32_e64 v68, v70, v68, s[0:1]
	global_load_dwordx2 v[68:69], v[68:69], off
	v_add_co_u32_e32 v70, vcc, v56, v0
	v_addc_co_u32_e32 v71, vcc, 0, v57, vcc
	v_lshlrev_b64 v[70:71], 3, v[70:71]
	v_mov_b32_e32 v73, s5
	v_add_co_u32_e32 v72, vcc, s4, v70
	v_addc_co_u32_e32 v73, vcc, v73, v71, vcc
	global_store_dwordx2 v[72:73], v[38:39], off
	v_mov_b32_e32 v72, s49
	v_add_co_u32_e32 v70, vcc, s48, v70
	v_addc_co_u32_e32 v71, vcc, v72, v71, vcc
	s_waitcnt vmcnt(1)
	global_store_dwordx2 v[70:71], v[68:69], off
	s_or_b64 exec, exec, s[36:37]
	s_and_saveexec_b64 s[36:37], s[86:87]
	s_cbranch_execz .LBB259_119
.LBB259_135:                            ;   in Loop: Header=BB259_21 Depth=1
	v_add_co_u32_e32 v68, vcc, v66, v65
	v_addc_co_u32_e32 v69, vcc, 0, v67, vcc
	v_add_co_u32_e32 v68, vcc, s6, v68
	v_addc_co_u32_e32 v69, vcc, 0, v69, vcc
	v_add_co_u32_e32 v70, vcc, v63, v50
	v_addc_co_u32_e32 v71, vcc, v64, v51, vcc
	v_add_co_u32_e32 v70, vcc, 0x600, v70
	v_addc_co_u32_e32 v71, vcc, 0, v71, vcc
	v_cndmask_b32_e64 v69, v71, v69, s[0:1]
	v_cndmask_b32_e64 v68, v70, v68, s[0:1]
	global_load_dwordx2 v[68:69], v[68:69], off
	v_add_co_u32_e32 v70, vcc, v56, v0
	v_addc_co_u32_e32 v71, vcc, 0, v57, vcc
	v_lshlrev_b64 v[70:71], 3, v[70:71]
	v_mov_b32_e32 v73, s55
	v_add_co_u32_e32 v72, vcc, s54, v70
	v_addc_co_u32_e32 v73, vcc, v73, v71, vcc
	global_store_dwordx2 v[72:73], v[40:41], off
	v_mov_b32_e32 v72, s57
	v_add_co_u32_e32 v70, vcc, s56, v70
	v_addc_co_u32_e32 v71, vcc, v72, v71, vcc
	s_waitcnt vmcnt(1)
	global_store_dwordx2 v[70:71], v[68:69], off
	s_or_b64 exec, exec, s[36:37]
	s_and_saveexec_b64 s[36:37], s[88:89]
	s_cbranch_execz .LBB259_120
.LBB259_136:                            ;   in Loop: Header=BB259_21 Depth=1
	v_add_co_u32_e32 v68, vcc, v66, v65
	v_addc_co_u32_e32 v69, vcc, 0, v67, vcc
	v_add_co_u32_e32 v68, vcc, s7, v68
	v_addc_co_u32_e32 v69, vcc, 0, v69, vcc
	;; [unrolled: 2-line block ×4, first 2 shown]
	v_cndmask_b32_e64 v69, v71, v69, s[0:1]
	v_cndmask_b32_e64 v68, v70, v68, s[0:1]
	global_load_dwordx2 v[68:69], v[68:69], off
	v_add_co_u32_e32 v70, vcc, v56, v0
	v_addc_co_u32_e32 v71, vcc, 0, v57, vcc
	v_lshlrev_b64 v[70:71], 3, v[70:71]
	v_mov_b32_e32 v73, s59
	v_add_co_u32_e32 v72, vcc, s58, v70
	v_addc_co_u32_e32 v73, vcc, v73, v71, vcc
	global_store_dwordx2 v[72:73], v[42:43], off
	v_mov_b32_e32 v72, s11
	v_add_co_u32_e32 v70, vcc, s10, v70
	v_addc_co_u32_e32 v71, vcc, v72, v71, vcc
	s_waitcnt vmcnt(1)
	global_store_dwordx2 v[70:71], v[68:69], off
	s_or_b64 exec, exec, s[36:37]
	s_and_saveexec_b64 s[36:37], s[90:91]
	s_cbranch_execz .LBB259_121
.LBB259_137:                            ;   in Loop: Header=BB259_21 Depth=1
	v_add_co_u32_e32 v68, vcc, v66, v65
	v_addc_co_u32_e32 v69, vcc, 0, v67, vcc
	v_add_co_u32_e32 v68, vcc, s78, v68
	v_addc_co_u32_e32 v69, vcc, 0, v69, vcc
	;; [unrolled: 2-line block ×4, first 2 shown]
	v_cndmask_b32_e64 v69, v71, v69, s[0:1]
	v_cndmask_b32_e64 v68, v70, v68, s[0:1]
	global_load_dwordx2 v[68:69], v[68:69], off
	v_add_co_u32_e32 v70, vcc, v56, v0
	v_addc_co_u32_e32 v71, vcc, 0, v57, vcc
	v_lshlrev_b64 v[70:71], 3, v[70:71]
	v_mov_b32_e32 v73, s61
	v_add_co_u32_e32 v72, vcc, s60, v70
	v_addc_co_u32_e32 v73, vcc, v73, v71, vcc
	global_store_dwordx2 v[72:73], v[44:45], off
	v_mov_b32_e32 v72, s63
	v_add_co_u32_e32 v70, vcc, s62, v70
	v_addc_co_u32_e32 v71, vcc, v72, v71, vcc
	s_waitcnt vmcnt(1)
	global_store_dwordx2 v[70:71], v[68:69], off
	s_or_b64 exec, exec, s[36:37]
	s_and_saveexec_b64 s[36:37], s[92:93]
	s_cbranch_execz .LBB259_122
.LBB259_138:                            ;   in Loop: Header=BB259_21 Depth=1
	v_add_co_u32_e32 v68, vcc, v66, v65
	v_addc_co_u32_e32 v69, vcc, 0, v67, vcc
	v_add_co_u32_e32 v68, vcc, s79, v68
	v_addc_co_u32_e32 v69, vcc, 0, v69, vcc
	;; [unrolled: 2-line block ×4, first 2 shown]
	v_cndmask_b32_e64 v69, v71, v69, s[0:1]
	v_cndmask_b32_e64 v68, v70, v68, s[0:1]
	global_load_dwordx2 v[68:69], v[68:69], off
	v_add_co_u32_e32 v70, vcc, v56, v0
	v_addc_co_u32_e32 v71, vcc, 0, v57, vcc
	v_lshlrev_b64 v[70:71], 3, v[70:71]
	v_mov_b32_e32 v73, s65
	v_add_co_u32_e32 v72, vcc, s64, v70
	v_addc_co_u32_e32 v73, vcc, v73, v71, vcc
	global_store_dwordx2 v[72:73], v[46:47], off
	v_mov_b32_e32 v72, s67
	v_add_co_u32_e32 v70, vcc, s66, v70
	v_addc_co_u32_e32 v71, vcc, v72, v71, vcc
	s_waitcnt vmcnt(1)
	global_store_dwordx2 v[70:71], v[68:69], off
	s_or_b64 exec, exec, s[36:37]
	s_and_saveexec_b64 s[36:37], s[8:9]
	s_cbranch_execz .LBB259_123
.LBB259_139:                            ;   in Loop: Header=BB259_21 Depth=1
	v_add_co_u32_e32 v68, vcc, v66, v65
	v_addc_co_u32_e32 v69, vcc, 0, v67, vcc
	v_add_co_u32_e32 v68, vcc, s2, v68
	v_addc_co_u32_e32 v69, vcc, 0, v69, vcc
	;; [unrolled: 2-line block ×4, first 2 shown]
	v_cndmask_b32_e64 v69, v71, v69, s[0:1]
	v_cndmask_b32_e64 v68, v70, v68, s[0:1]
	global_load_dwordx2 v[68:69], v[68:69], off
	v_add_co_u32_e32 v70, vcc, v56, v0
	v_addc_co_u32_e32 v71, vcc, 0, v57, vcc
	v_lshlrev_b64 v[70:71], 3, v[70:71]
	v_mov_b32_e32 v73, s69
	v_add_co_u32_e32 v72, vcc, s68, v70
	v_addc_co_u32_e32 v73, vcc, v73, v71, vcc
	global_store_dwordx2 v[72:73], v[48:49], off
	v_mov_b32_e32 v72, s71
	v_add_co_u32_e32 v70, vcc, s70, v70
	v_addc_co_u32_e32 v71, vcc, v72, v71, vcc
	s_waitcnt vmcnt(1)
	global_store_dwordx2 v[70:71], v[68:69], off
	s_or_b64 exec, exec, s[36:37]
	s_and_saveexec_b64 s[36:37], s[94:95]
	s_cbranch_execz .LBB259_124
.LBB259_140:                            ;   in Loop: Header=BB259_21 Depth=1
	v_add_co_u32_e32 v68, vcc, v66, v65
	v_addc_co_u32_e32 v69, vcc, 0, v67, vcc
	v_add_co_u32_e32 v70, vcc, v63, v34
	v_addc_co_u32_e32 v71, vcc, v64, v35, vcc
	v_cndmask_b32_e64 v69, v71, v69, s[0:1]
	v_cndmask_b32_e64 v68, v70, v68, s[0:1]
	global_load_dwordx2 v[68:69], v[68:69], off offset:1536
	v_add_co_u32_e32 v70, vcc, v56, v0
	v_addc_co_u32_e32 v71, vcc, 0, v57, vcc
	v_lshlrev_b64 v[70:71], 3, v[70:71]
	v_mov_b32_e32 v73, s73
	v_add_co_u32_e32 v72, vcc, s72, v70
	v_addc_co_u32_e32 v73, vcc, v73, v71, vcc
	global_store_dwordx2 v[72:73], v[52:53], off
	v_mov_b32_e32 v72, s13
	v_add_co_u32_e32 v70, vcc, s12, v70
	v_addc_co_u32_e32 v71, vcc, v72, v71, vcc
	s_waitcnt vmcnt(1)
	global_store_dwordx2 v[70:71], v[68:69], off
	s_or_b64 exec, exec, s[36:37]
	s_and_saveexec_b64 s[36:37], s[16:17]
	s_cbranch_execnz .LBB259_125
	s_branch .LBB259_126
.LBB259_141:                            ;   in Loop: Header=BB259_21 Depth=1
	v_add_co_u32_e32 v68, vcc, v66, v65
	v_addc_co_u32_e32 v69, vcc, 0, v67, vcc
	v_add_co_u32_e32 v70, vcc, v63, v24
	v_addc_co_u32_e32 v71, vcc, v64, v25, vcc
	;; [unrolled: 2-line block ×3, first 2 shown]
	v_cndmask_b32_e64 v69, v71, v69, s[0:1]
	v_cndmask_b32_e64 v68, v70, v68, s[0:1]
	global_load_dwordx2 v[68:69], v[68:69], off
	v_add_co_u32_e32 v70, vcc, v56, v0
	v_addc_co_u32_e32 v71, vcc, 0, v57, vcc
	v_lshlrev_b64 v[70:71], 3, v[70:71]
	v_mov_b32_e32 v73, s5
	v_add_co_u32_e32 v72, vcc, s4, v70
	v_addc_co_u32_e32 v73, vcc, v73, v71, vcc
	global_store_dwordx2 v[72:73], v[38:39], off
	v_mov_b32_e32 v39, s49
	v_add_co_u32_e32 v38, vcc, s48, v70
	v_addc_co_u32_e32 v39, vcc, v39, v71, vcc
	s_waitcnt vmcnt(1)
	global_store_dwordx2 v[38:39], v[68:69], off
	s_or_b64 exec, exec, s[34:35]
	s_and_saveexec_b64 s[34:35], s[20:21]
	s_cbranch_execz .LBB259_128
.LBB259_142:                            ;   in Loop: Header=BB259_21 Depth=1
	v_add_co_u32_e32 v38, vcc, v66, v65
	v_addc_co_u32_e32 v39, vcc, 0, v67, vcc
	v_add_co_u32_e32 v38, vcc, s6, v38
	v_addc_co_u32_e32 v39, vcc, 0, v39, vcc
	;; [unrolled: 2-line block ×4, first 2 shown]
	v_cndmask_b32_e64 v39, v51, v39, s[0:1]
	v_cndmask_b32_e64 v38, v50, v38, s[0:1]
	global_load_dwordx2 v[38:39], v[38:39], off
	v_add_co_u32_e32 v50, vcc, v56, v0
	v_addc_co_u32_e32 v51, vcc, 0, v57, vcc
	v_lshlrev_b64 v[50:51], 3, v[50:51]
	v_mov_b32_e32 v69, s55
	v_add_co_u32_e32 v68, vcc, s54, v50
	v_addc_co_u32_e32 v69, vcc, v69, v51, vcc
	global_store_dwordx2 v[68:69], v[40:41], off
	v_mov_b32_e32 v41, s57
	v_add_co_u32_e32 v40, vcc, s56, v50
	v_addc_co_u32_e32 v41, vcc, v41, v51, vcc
	s_waitcnt vmcnt(1)
	global_store_dwordx2 v[40:41], v[38:39], off
	s_or_b64 exec, exec, s[34:35]
	s_and_saveexec_b64 s[34:35], s[22:23]
	s_cbranch_execz .LBB259_129
.LBB259_143:                            ;   in Loop: Header=BB259_21 Depth=1
	v_add_co_u32_e32 v38, vcc, v66, v65
	v_addc_co_u32_e32 v39, vcc, 0, v67, vcc
	v_add_co_u32_e32 v38, vcc, s7, v38
	v_addc_co_u32_e32 v39, vcc, 0, v39, vcc
	;; [unrolled: 2-line block ×4, first 2 shown]
	v_cndmask_b32_e64 v39, v41, v39, s[0:1]
	v_cndmask_b32_e64 v38, v40, v38, s[0:1]
	global_load_dwordx2 v[38:39], v[38:39], off
	v_add_co_u32_e32 v40, vcc, v56, v0
	v_addc_co_u32_e32 v41, vcc, 0, v57, vcc
	v_lshlrev_b64 v[40:41], 3, v[40:41]
	v_mov_b32_e32 v51, s59
	v_add_co_u32_e32 v50, vcc, s58, v40
	v_addc_co_u32_e32 v51, vcc, v51, v41, vcc
	global_store_dwordx2 v[50:51], v[42:43], off
	v_mov_b32_e32 v42, s11
	v_add_co_u32_e32 v40, vcc, s10, v40
	v_addc_co_u32_e32 v41, vcc, v42, v41, vcc
	s_waitcnt vmcnt(1)
	global_store_dwordx2 v[40:41], v[38:39], off
	s_or_b64 exec, exec, s[34:35]
	s_and_saveexec_b64 s[34:35], s[24:25]
	s_cbranch_execz .LBB259_130
.LBB259_144:                            ;   in Loop: Header=BB259_21 Depth=1
	v_add_co_u32_e32 v38, vcc, v66, v65
	v_addc_co_u32_e32 v39, vcc, 0, v67, vcc
	v_add_co_u32_e32 v38, vcc, s78, v38
	v_addc_co_u32_e32 v39, vcc, 0, v39, vcc
	;; [unrolled: 2-line block ×4, first 2 shown]
	v_cndmask_b32_e64 v39, v41, v39, s[0:1]
	v_cndmask_b32_e64 v38, v40, v38, s[0:1]
	global_load_dwordx2 v[38:39], v[38:39], off
	v_add_co_u32_e32 v40, vcc, v56, v0
	v_addc_co_u32_e32 v41, vcc, 0, v57, vcc
	v_lshlrev_b64 v[40:41], 3, v[40:41]
	v_mov_b32_e32 v43, s61
	v_add_co_u32_e32 v42, vcc, s60, v40
	v_addc_co_u32_e32 v43, vcc, v43, v41, vcc
	global_store_dwordx2 v[42:43], v[44:45], off
	v_mov_b32_e32 v42, s63
	v_add_co_u32_e32 v40, vcc, s62, v40
	v_addc_co_u32_e32 v41, vcc, v42, v41, vcc
	s_waitcnt vmcnt(1)
	global_store_dwordx2 v[40:41], v[38:39], off
	s_or_b64 exec, exec, s[34:35]
	s_and_saveexec_b64 s[34:35], s[26:27]
	s_cbranch_execz .LBB259_131
.LBB259_145:                            ;   in Loop: Header=BB259_21 Depth=1
	v_add_co_u32_e32 v38, vcc, v66, v65
	v_addc_co_u32_e32 v39, vcc, 0, v67, vcc
	v_add_co_u32_e32 v38, vcc, s79, v38
	v_addc_co_u32_e32 v39, vcc, 0, v39, vcc
	;; [unrolled: 2-line block ×4, first 2 shown]
	v_cndmask_b32_e64 v39, v41, v39, s[0:1]
	v_cndmask_b32_e64 v38, v40, v38, s[0:1]
	global_load_dwordx2 v[38:39], v[38:39], off
	v_add_co_u32_e32 v40, vcc, v56, v0
	v_addc_co_u32_e32 v41, vcc, 0, v57, vcc
	v_lshlrev_b64 v[40:41], 3, v[40:41]
	v_mov_b32_e32 v43, s65
	v_add_co_u32_e32 v42, vcc, s64, v40
	v_addc_co_u32_e32 v43, vcc, v43, v41, vcc
	global_store_dwordx2 v[42:43], v[46:47], off
	v_mov_b32_e32 v42, s67
	v_add_co_u32_e32 v40, vcc, s66, v40
	v_addc_co_u32_e32 v41, vcc, v42, v41, vcc
	s_waitcnt vmcnt(1)
	global_store_dwordx2 v[40:41], v[38:39], off
	s_or_b64 exec, exec, s[34:35]
	s_and_saveexec_b64 s[34:35], s[28:29]
	s_cbranch_execz .LBB259_132
.LBB259_146:                            ;   in Loop: Header=BB259_21 Depth=1
	v_add_co_u32_e32 v38, vcc, v66, v65
	v_addc_co_u32_e32 v39, vcc, 0, v67, vcc
	v_add_co_u32_e32 v38, vcc, s2, v38
	v_addc_co_u32_e32 v39, vcc, 0, v39, vcc
	;; [unrolled: 2-line block ×4, first 2 shown]
	v_cndmask_b32_e64 v39, v41, v39, s[0:1]
	v_cndmask_b32_e64 v38, v40, v38, s[0:1]
	global_load_dwordx2 v[38:39], v[38:39], off
	v_add_co_u32_e32 v40, vcc, v56, v0
	v_addc_co_u32_e32 v41, vcc, 0, v57, vcc
	v_lshlrev_b64 v[40:41], 3, v[40:41]
	v_mov_b32_e32 v43, s69
	v_add_co_u32_e32 v42, vcc, s68, v40
	v_addc_co_u32_e32 v43, vcc, v43, v41, vcc
	global_store_dwordx2 v[42:43], v[48:49], off
	v_mov_b32_e32 v42, s71
	v_add_co_u32_e32 v40, vcc, s70, v40
	v_addc_co_u32_e32 v41, vcc, v42, v41, vcc
	s_waitcnt vmcnt(1)
	global_store_dwordx2 v[40:41], v[38:39], off
	s_or_b64 exec, exec, s[34:35]
	s_and_saveexec_b64 s[34:35], s[30:31]
	s_cbranch_execz .LBB259_133
.LBB259_147:                            ;   in Loop: Header=BB259_21 Depth=1
	v_add_co_u32_e32 v38, vcc, v66, v65
	v_addc_co_u32_e32 v39, vcc, 0, v67, vcc
	v_add_co_u32_e32 v38, vcc, s3, v38
	v_addc_co_u32_e32 v39, vcc, 0, v39, vcc
	;; [unrolled: 2-line block ×4, first 2 shown]
	v_cndmask_b32_e64 v39, v41, v39, s[0:1]
	v_cndmask_b32_e64 v38, v40, v38, s[0:1]
	global_load_dwordx2 v[38:39], v[38:39], off
	v_add_co_u32_e32 v40, vcc, v56, v0
	v_addc_co_u32_e32 v41, vcc, 0, v57, vcc
	v_lshlrev_b64 v[40:41], 3, v[40:41]
	v_mov_b32_e32 v43, s73
	v_add_co_u32_e32 v42, vcc, s72, v40
	v_addc_co_u32_e32 v43, vcc, v43, v41, vcc
	global_store_dwordx2 v[42:43], v[52:53], off
	v_mov_b32_e32 v42, s13
	v_add_co_u32_e32 v40, vcc, s12, v40
	v_addc_co_u32_e32 v41, vcc, v42, v41, vcc
	s_waitcnt vmcnt(1)
	global_store_dwordx2 v[40:41], v[38:39], off
	s_or_b64 exec, exec, s[34:35]
	s_and_saveexec_b64 s[34:35], s[18:19]
	s_cbranch_execz .LBB259_20
.LBB259_148:                            ;   in Loop: Header=BB259_21 Depth=1
	v_add_co_u32_e32 v38, vcc, v66, v65
	v_addc_co_u32_e32 v39, vcc, 0, v67, vcc
	v_add_co_u32_e32 v40, vcc, v63, v36
	v_addc_co_u32_e32 v41, vcc, v64, v37, vcc
	v_cndmask_b32_e64 v39, v41, v39, s[0:1]
	v_cndmask_b32_e64 v38, v40, v38, s[0:1]
	global_load_dwordx2 v[38:39], v[38:39], off offset:1792
	v_add_co_u32_e32 v40, vcc, v56, v0
	v_addc_co_u32_e32 v41, vcc, 0, v57, vcc
	v_lshlrev_b64 v[40:41], 3, v[40:41]
	v_mov_b32_e32 v43, s75
	v_add_co_u32_e32 v42, vcc, s74, v40
	v_addc_co_u32_e32 v43, vcc, v43, v41, vcc
	global_store_dwordx2 v[42:43], v[54:55], off
	v_mov_b32_e32 v42, s77
	v_add_co_u32_e32 v40, vcc, s76, v40
	v_addc_co_u32_e32 v41, vcc, v42, v41, vcc
	s_waitcnt vmcnt(1)
	global_store_dwordx2 v[40:41], v[38:39], off
	s_branch .LBB259_20
.LBB259_149:
	s_endpgm
	.section	.rodata,"a",@progbits
	.p2align	6, 0x0
	.amdhsa_kernel _ZN9rocsparseL35bsr2csr_block_per_row_33_256_kernelILj1024ELj256ELj32EdllEEv20rocsparse_direction_T4_S2_21rocsparse_index_base_PKT2_PKT3_PKS2_S2_S3_PS4_PS7_PS2_
		.amdhsa_group_segment_fixed_size 0
		.amdhsa_private_segment_fixed_size 0
		.amdhsa_kernarg_size 96
		.amdhsa_user_sgpr_count 6
		.amdhsa_user_sgpr_private_segment_buffer 1
		.amdhsa_user_sgpr_dispatch_ptr 0
		.amdhsa_user_sgpr_queue_ptr 0
		.amdhsa_user_sgpr_kernarg_segment_ptr 1
		.amdhsa_user_sgpr_dispatch_id 0
		.amdhsa_user_sgpr_flat_scratch_init 0
		.amdhsa_user_sgpr_kernarg_preload_length 0
		.amdhsa_user_sgpr_kernarg_preload_offset 0
		.amdhsa_user_sgpr_private_segment_size 0
		.amdhsa_uses_dynamic_stack 0
		.amdhsa_system_sgpr_private_segment_wavefront_offset 0
		.amdhsa_system_sgpr_workgroup_id_x 1
		.amdhsa_system_sgpr_workgroup_id_y 0
		.amdhsa_system_sgpr_workgroup_id_z 0
		.amdhsa_system_sgpr_workgroup_info 0
		.amdhsa_system_vgpr_workitem_id 0
		.amdhsa_next_free_vgpr 76
		.amdhsa_next_free_sgpr 96
		.amdhsa_accum_offset 76
		.amdhsa_reserve_vcc 1
		.amdhsa_reserve_flat_scratch 0
		.amdhsa_float_round_mode_32 0
		.amdhsa_float_round_mode_16_64 0
		.amdhsa_float_denorm_mode_32 3
		.amdhsa_float_denorm_mode_16_64 3
		.amdhsa_dx10_clamp 1
		.amdhsa_ieee_mode 1
		.amdhsa_fp16_overflow 0
		.amdhsa_tg_split 0
		.amdhsa_exception_fp_ieee_invalid_op 0
		.amdhsa_exception_fp_denorm_src 0
		.amdhsa_exception_fp_ieee_div_zero 0
		.amdhsa_exception_fp_ieee_overflow 0
		.amdhsa_exception_fp_ieee_underflow 0
		.amdhsa_exception_fp_ieee_inexact 0
		.amdhsa_exception_int_div_zero 0
	.end_amdhsa_kernel
	.section	.text._ZN9rocsparseL35bsr2csr_block_per_row_33_256_kernelILj1024ELj256ELj32EdllEEv20rocsparse_direction_T4_S2_21rocsparse_index_base_PKT2_PKT3_PKS2_S2_S3_PS4_PS7_PS2_,"axG",@progbits,_ZN9rocsparseL35bsr2csr_block_per_row_33_256_kernelILj1024ELj256ELj32EdllEEv20rocsparse_direction_T4_S2_21rocsparse_index_base_PKT2_PKT3_PKS2_S2_S3_PS4_PS7_PS2_,comdat
.Lfunc_end259:
	.size	_ZN9rocsparseL35bsr2csr_block_per_row_33_256_kernelILj1024ELj256ELj32EdllEEv20rocsparse_direction_T4_S2_21rocsparse_index_base_PKT2_PKT3_PKS2_S2_S3_PS4_PS7_PS2_, .Lfunc_end259-_ZN9rocsparseL35bsr2csr_block_per_row_33_256_kernelILj1024ELj256ELj32EdllEEv20rocsparse_direction_T4_S2_21rocsparse_index_base_PKT2_PKT3_PKS2_S2_S3_PS4_PS7_PS2_
                                        ; -- End function
	.section	.AMDGPU.csdata,"",@progbits
; Kernel info:
; codeLenInByte = 12692
; NumSgprs: 100
; NumVgprs: 76
; NumAgprs: 0
; TotalNumVgprs: 76
; ScratchSize: 0
; MemoryBound: 0
; FloatMode: 240
; IeeeMode: 1
; LDSByteSize: 0 bytes/workgroup (compile time only)
; SGPRBlocks: 12
; VGPRBlocks: 9
; NumSGPRsForWavesPerEU: 100
; NumVGPRsForWavesPerEU: 76
; AccumOffset: 76
; Occupancy: 6
; WaveLimiterHint : 1
; COMPUTE_PGM_RSRC2:SCRATCH_EN: 0
; COMPUTE_PGM_RSRC2:USER_SGPR: 6
; COMPUTE_PGM_RSRC2:TRAP_HANDLER: 0
; COMPUTE_PGM_RSRC2:TGID_X_EN: 1
; COMPUTE_PGM_RSRC2:TGID_Y_EN: 0
; COMPUTE_PGM_RSRC2:TGID_Z_EN: 0
; COMPUTE_PGM_RSRC2:TIDIG_COMP_CNT: 0
; COMPUTE_PGM_RSRC3_GFX90A:ACCUM_OFFSET: 18
; COMPUTE_PGM_RSRC3_GFX90A:TG_SPLIT: 0
	.section	.text._ZN9rocsparseL35bsr2csr_block_dim_equals_one_kernelILj1024E21rocsparse_complex_numIdEiiEEvT2_S3_21rocsparse_index_base_PKT0_PKT1_PKS3_S4_PS5_PS8_PS3_,"axG",@progbits,_ZN9rocsparseL35bsr2csr_block_dim_equals_one_kernelILj1024E21rocsparse_complex_numIdEiiEEvT2_S3_21rocsparse_index_base_PKT0_PKT1_PKS3_S4_PS5_PS8_PS3_,comdat
	.globl	_ZN9rocsparseL35bsr2csr_block_dim_equals_one_kernelILj1024E21rocsparse_complex_numIdEiiEEvT2_S3_21rocsparse_index_base_PKT0_PKT1_PKS3_S4_PS5_PS8_PS3_ ; -- Begin function _ZN9rocsparseL35bsr2csr_block_dim_equals_one_kernelILj1024E21rocsparse_complex_numIdEiiEEvT2_S3_21rocsparse_index_base_PKT0_PKT1_PKS3_S4_PS5_PS8_PS3_
	.p2align	8
	.type	_ZN9rocsparseL35bsr2csr_block_dim_equals_one_kernelILj1024E21rocsparse_complex_numIdEiiEEvT2_S3_21rocsparse_index_base_PKT0_PKT1_PKS3_S4_PS5_PS8_PS3_,@function
_ZN9rocsparseL35bsr2csr_block_dim_equals_one_kernelILj1024E21rocsparse_complex_numIdEiiEEvT2_S3_21rocsparse_index_base_PKT0_PKT1_PKS3_S4_PS5_PS8_PS3_: ; @_ZN9rocsparseL35bsr2csr_block_dim_equals_one_kernelILj1024E21rocsparse_complex_numIdEiiEEvT2_S3_21rocsparse_index_base_PKT0_PKT1_PKS3_S4_PS5_PS8_PS3_
; %bb.0:
	v_lshl_or_b32 v0, s6, 10, v0
	s_load_dword s14, s[4:5], 0x0
	s_load_dword s20, s[4:5], 0x8
	s_load_dwordx4 s[0:3], s[4:5], 0x10
	s_load_dwordx2 s[8:9], s[4:5], 0x20
	s_load_dword s21, s[4:5], 0x28
	s_load_dwordx2 s[10:11], s[4:5], 0x40
	s_load_dwordx2 s[12:13], s[4:5], 0x30
	s_waitcnt lgkmcnt(0)
	v_cmp_gt_i32_e32 vcc, s14, v0
	s_and_saveexec_b64 s[6:7], vcc
	s_cbranch_execz .LBB260_6
; %bb.1:
	s_load_dwordx2 s[16:17], s[4:5], 0x38
	v_cmp_ne_u32_e32 vcc, 0, v0
                                        ; implicit-def: $sgpr15
	s_and_saveexec_b64 s[18:19], vcc
	s_xor_b64 s[18:19], exec, s[18:19]
; %bb.2:
	s_sub_i32 s15, s21, s20
; %bb.3:
	s_or_saveexec_b64 s[18:19], s[18:19]
	v_mov_b32_e32 v2, s15
	s_xor_b64 exec, exec, s[18:19]
	s_cbranch_execz .LBB260_5
; %bb.4:
	s_load_dword s15, s[2:3], 0x0
	s_sub_i32 s22, s21, s20
	v_mov_b32_e32 v1, 0
	s_waitcnt lgkmcnt(0)
	s_add_i32 s15, s22, s15
	v_mov_b32_e32 v2, s15
	global_store_dword v1, v2, s[16:17]
	v_mov_b32_e32 v2, s22
.LBB260_5:
	s_or_b64 exec, exec, s[18:19]
	v_ashrrev_i32_e32 v1, 31, v0
	v_lshlrev_b64 v[4:5], 2, v[0:1]
	v_mov_b32_e32 v1, s3
	v_add_co_u32_e32 v6, vcc, s2, v4
	v_addc_co_u32_e32 v7, vcc, v1, v5, vcc
	global_load_dword v1, v[6:7], off offset:4
	s_waitcnt lgkmcnt(0)
	v_mov_b32_e32 v3, s17
	s_waitcnt vmcnt(0)
	v_add_u32_e32 v1, v2, v1
	v_add_co_u32_e32 v2, vcc, s16, v4
	v_addc_co_u32_e32 v3, vcc, v3, v5, vcc
	global_store_dword v[2:3], v1, off offset:4
.LBB260_6:
	s_or_b64 exec, exec, s[6:7]
	s_ashr_i32 s15, s14, 31
	s_lshl_b64 s[6:7], s[14:15], 2
	s_add_u32 s6, s2, s6
	s_addc_u32 s7, s3, s7
	s_load_dword s14, s[6:7], 0x0
	s_load_dword s15, s[2:3], 0x0
	s_waitcnt lgkmcnt(0)
	s_sub_i32 s6, s14, s15
	v_cmp_gt_i32_e32 vcc, s6, v0
	s_and_saveexec_b64 s[2:3], vcc
	s_cbranch_execz .LBB260_9
; %bb.7:
	s_load_dword s5, s[4:5], 0x48
	s_sub_i32 s4, s21, s20
	s_mov_b64 s[2:3], 0
	v_mov_b32_e32 v2, s9
	v_mov_b32_e32 v3, s11
	s_waitcnt lgkmcnt(0)
	s_lshl_b32 s5, s5, 10
	v_mov_b32_e32 v4, s1
	v_mov_b32_e32 v5, s13
.LBB260_8:                              ; =>This Inner Loop Header: Depth=1
	v_ashrrev_i32_e32 v1, 31, v0
	v_lshlrev_b64 v[10:11], 2, v[0:1]
	v_add_co_u32_e32 v6, vcc, s8, v10
	v_addc_co_u32_e32 v7, vcc, v2, v11, vcc
	v_lshlrev_b64 v[12:13], 4, v[0:1]
	global_load_dword v14, v[6:7], off
	v_add_co_u32_e32 v6, vcc, s0, v12
	v_addc_co_u32_e32 v7, vcc, v4, v13, vcc
	global_load_dwordx4 v[6:9], v[6:7], off
	v_add_co_u32_e32 v10, vcc, s10, v10
	v_addc_co_u32_e32 v11, vcc, v3, v11, vcc
	v_add_co_u32_e32 v12, vcc, s12, v12
	v_add_u32_e32 v0, s5, v0
	v_addc_co_u32_e32 v13, vcc, v5, v13, vcc
	v_cmp_le_i32_e32 vcc, s6, v0
	s_or_b64 s[2:3], vcc, s[2:3]
	s_waitcnt vmcnt(1)
	v_add_u32_e32 v1, s4, v14
	global_store_dword v[10:11], v1, off
	s_waitcnt vmcnt(1)
	global_store_dwordx4 v[12:13], v[6:9], off
	s_andn2_b64 exec, exec, s[2:3]
	s_cbranch_execnz .LBB260_8
.LBB260_9:
	s_endpgm
	.section	.rodata,"a",@progbits
	.p2align	6, 0x0
	.amdhsa_kernel _ZN9rocsparseL35bsr2csr_block_dim_equals_one_kernelILj1024E21rocsparse_complex_numIdEiiEEvT2_S3_21rocsparse_index_base_PKT0_PKT1_PKS3_S4_PS5_PS8_PS3_
		.amdhsa_group_segment_fixed_size 0
		.amdhsa_private_segment_fixed_size 0
		.amdhsa_kernarg_size 328
		.amdhsa_user_sgpr_count 6
		.amdhsa_user_sgpr_private_segment_buffer 1
		.amdhsa_user_sgpr_dispatch_ptr 0
		.amdhsa_user_sgpr_queue_ptr 0
		.amdhsa_user_sgpr_kernarg_segment_ptr 1
		.amdhsa_user_sgpr_dispatch_id 0
		.amdhsa_user_sgpr_flat_scratch_init 0
		.amdhsa_user_sgpr_kernarg_preload_length 0
		.amdhsa_user_sgpr_kernarg_preload_offset 0
		.amdhsa_user_sgpr_private_segment_size 0
		.amdhsa_uses_dynamic_stack 0
		.amdhsa_system_sgpr_private_segment_wavefront_offset 0
		.amdhsa_system_sgpr_workgroup_id_x 1
		.amdhsa_system_sgpr_workgroup_id_y 0
		.amdhsa_system_sgpr_workgroup_id_z 0
		.amdhsa_system_sgpr_workgroup_info 0
		.amdhsa_system_vgpr_workitem_id 0
		.amdhsa_next_free_vgpr 15
		.amdhsa_next_free_sgpr 23
		.amdhsa_accum_offset 16
		.amdhsa_reserve_vcc 1
		.amdhsa_reserve_flat_scratch 0
		.amdhsa_float_round_mode_32 0
		.amdhsa_float_round_mode_16_64 0
		.amdhsa_float_denorm_mode_32 3
		.amdhsa_float_denorm_mode_16_64 3
		.amdhsa_dx10_clamp 1
		.amdhsa_ieee_mode 1
		.amdhsa_fp16_overflow 0
		.amdhsa_tg_split 0
		.amdhsa_exception_fp_ieee_invalid_op 0
		.amdhsa_exception_fp_denorm_src 0
		.amdhsa_exception_fp_ieee_div_zero 0
		.amdhsa_exception_fp_ieee_overflow 0
		.amdhsa_exception_fp_ieee_underflow 0
		.amdhsa_exception_fp_ieee_inexact 0
		.amdhsa_exception_int_div_zero 0
	.end_amdhsa_kernel
	.section	.text._ZN9rocsparseL35bsr2csr_block_dim_equals_one_kernelILj1024E21rocsparse_complex_numIdEiiEEvT2_S3_21rocsparse_index_base_PKT0_PKT1_PKS3_S4_PS5_PS8_PS3_,"axG",@progbits,_ZN9rocsparseL35bsr2csr_block_dim_equals_one_kernelILj1024E21rocsparse_complex_numIdEiiEEvT2_S3_21rocsparse_index_base_PKT0_PKT1_PKS3_S4_PS5_PS8_PS3_,comdat
.Lfunc_end260:
	.size	_ZN9rocsparseL35bsr2csr_block_dim_equals_one_kernelILj1024E21rocsparse_complex_numIdEiiEEvT2_S3_21rocsparse_index_base_PKT0_PKT1_PKS3_S4_PS5_PS8_PS3_, .Lfunc_end260-_ZN9rocsparseL35bsr2csr_block_dim_equals_one_kernelILj1024E21rocsparse_complex_numIdEiiEEvT2_S3_21rocsparse_index_base_PKT0_PKT1_PKS3_S4_PS5_PS8_PS3_
                                        ; -- End function
	.section	.AMDGPU.csdata,"",@progbits
; Kernel info:
; codeLenInByte = 444
; NumSgprs: 27
; NumVgprs: 15
; NumAgprs: 0
; TotalNumVgprs: 15
; ScratchSize: 0
; MemoryBound: 0
; FloatMode: 240
; IeeeMode: 1
; LDSByteSize: 0 bytes/workgroup (compile time only)
; SGPRBlocks: 3
; VGPRBlocks: 1
; NumSGPRsForWavesPerEU: 27
; NumVGPRsForWavesPerEU: 15
; AccumOffset: 16
; Occupancy: 8
; WaveLimiterHint : 0
; COMPUTE_PGM_RSRC2:SCRATCH_EN: 0
; COMPUTE_PGM_RSRC2:USER_SGPR: 6
; COMPUTE_PGM_RSRC2:TRAP_HANDLER: 0
; COMPUTE_PGM_RSRC2:TGID_X_EN: 1
; COMPUTE_PGM_RSRC2:TGID_Y_EN: 0
; COMPUTE_PGM_RSRC2:TGID_Z_EN: 0
; COMPUTE_PGM_RSRC2:TIDIG_COMP_CNT: 0
; COMPUTE_PGM_RSRC3_GFX90A:ACCUM_OFFSET: 3
; COMPUTE_PGM_RSRC3_GFX90A:TG_SPLIT: 0
	.section	.text._ZN9rocsparseL32bsr2csr_block_per_row_2_7_kernelILj256ELj2E21rocsparse_complex_numIdEiiEEv20rocsparse_direction_T3_S4_21rocsparse_index_base_PKT1_PKT2_PKS4_S4_S5_PS6_PS9_PS4_,"axG",@progbits,_ZN9rocsparseL32bsr2csr_block_per_row_2_7_kernelILj256ELj2E21rocsparse_complex_numIdEiiEEv20rocsparse_direction_T3_S4_21rocsparse_index_base_PKT1_PKT2_PKS4_S4_S5_PS6_PS9_PS4_,comdat
	.globl	_ZN9rocsparseL32bsr2csr_block_per_row_2_7_kernelILj256ELj2E21rocsparse_complex_numIdEiiEEv20rocsparse_direction_T3_S4_21rocsparse_index_base_PKT1_PKT2_PKS4_S4_S5_PS6_PS9_PS4_ ; -- Begin function _ZN9rocsparseL32bsr2csr_block_per_row_2_7_kernelILj256ELj2E21rocsparse_complex_numIdEiiEEv20rocsparse_direction_T3_S4_21rocsparse_index_base_PKT1_PKT2_PKS4_S4_S5_PS6_PS9_PS4_
	.p2align	8
	.type	_ZN9rocsparseL32bsr2csr_block_per_row_2_7_kernelILj256ELj2E21rocsparse_complex_numIdEiiEEv20rocsparse_direction_T3_S4_21rocsparse_index_base_PKT1_PKT2_PKS4_S4_S5_PS6_PS9_PS4_,@function
_ZN9rocsparseL32bsr2csr_block_per_row_2_7_kernelILj256ELj2E21rocsparse_complex_numIdEiiEEv20rocsparse_direction_T3_S4_21rocsparse_index_base_PKT1_PKT2_PKS4_S4_S5_PS6_PS9_PS4_: ; @_ZN9rocsparseL32bsr2csr_block_per_row_2_7_kernelILj256ELj2E21rocsparse_complex_numIdEiiEEv20rocsparse_direction_T3_S4_21rocsparse_index_base_PKT1_PKT2_PKS4_S4_S5_PS6_PS9_PS4_
; %bb.0:
	s_load_dwordx2 s[0:1], s[4:5], 0x18
	s_load_dword s12, s[4:5], 0x2c
	s_load_dwordx2 s[2:3], s[4:5], 0x38
	s_ashr_i32 s7, s6, 31
	s_lshl_b64 s[8:9], s[6:7], 2
	s_waitcnt lgkmcnt(0)
	s_add_u32 s0, s0, s8
	s_addc_u32 s1, s1, s9
	s_load_dwordx2 s[0:1], s[0:1], 0x0
	v_or_b32_e32 v1, s6, v0
	v_cmp_eq_u32_e32 vcc, 0, v1
	s_and_saveexec_b64 s[8:9], vcc
	s_cbranch_execz .LBB261_2
; %bb.1:
	v_mov_b32_e32 v1, 0
	v_mov_b32_e32 v2, s12
	global_store_dword v1, v2, s[2:3]
.LBB261_2:
	s_or_b64 exec, exec, s[8:9]
	s_load_dword s13, s[4:5], 0xc
	v_and_b32_e32 v3, 1, v0
	v_lshrrev_b32_e32 v4, 1, v0
	v_lshl_or_b32 v0, s6, 1, v3
	v_add_u32_e32 v0, 1, v0
	s_waitcnt lgkmcnt(0)
	s_sub_i32 s7, s0, s13
	s_sub_i32 s14, s1, s13
	;; [unrolled: 1-line block ×3, first 2 shown]
	s_lshl_b32 s8, s8, 1
	v_mov_b32_e32 v1, 0
	s_lshl_b32 s1, s7, 2
	v_mul_lo_u32 v5, s8, v3
	s_add_i32 s8, s8, s12
	v_lshlrev_b64 v[6:7], 2, v[0:1]
	s_add_i32 s8, s8, s1
	v_mov_b32_e32 v0, s3
	v_add_co_u32_e32 v6, vcc, s2, v6
	v_add_u32_e32 v2, s8, v5
	v_addc_co_u32_e32 v7, vcc, v0, v7, vcc
	global_store_dword v[6:7], v2, off
	v_add_u32_e32 v2, s7, v4
	v_cmp_gt_i32_e32 vcc, s14, v2
	s_and_saveexec_b64 s[2:3], vcc
	s_cbranch_execz .LBB261_5
; %bb.3:
	s_load_dwordx2 s[2:3], s[4:5], 0x20
	s_load_dwordx2 s[6:7], s[4:5], 0x30
	s_load_dword s1, s[4:5], 0x0
	s_load_dwordx2 s[8:9], s[4:5], 0x10
	s_load_dwordx2 s[10:11], s[4:5], 0x40
	v_lshlrev_b32_e32 v0, 1, v4
	s_mov_b64 s[4:5], 0
	s_waitcnt lgkmcnt(0)
	s_cmp_eq_u32 s1, 0
	s_cselect_b64 vcc, -1, 0
	s_lshl_b32 s0, s0, 2
	v_add3_u32 v0, v5, s0, v0
	s_lshl_b32 s0, s13, 2
	v_subrev_u32_e32 v4, s0, v0
	v_lshlrev_b32_e32 v0, 2, v2
	v_lshl_or_b32 v6, v3, 1, v0
	v_or_b32_e32 v7, v0, v3
	v_mov_b32_e32 v8, s3
	v_mov_b32_e32 v9, s11
	v_mov_b32_e32 v10, s9
	v_mov_b32_e32 v11, s7
.LBB261_4:                              ; =>This Inner Loop Header: Depth=1
	v_ashrrev_i32_e32 v3, 31, v2
	v_cndmask_b32_e32 v0, v7, v6, vcc
	v_add_u32_e32 v5, 1, v6
	v_add_u32_e32 v16, 2, v7
	v_lshlrev_b64 v[12:13], 2, v[2:3]
	v_lshlrev_b64 v[14:15], 4, v[0:1]
	v_cndmask_b32_e32 v0, v16, v5, vcc
	v_add_co_u32_e64 v16, s[0:1], s2, v12
	v_addc_co_u32_e64 v17, s[0:1], v8, v13, s[0:1]
	v_add_co_u32_e64 v18, s[0:1], s8, v14
	v_addc_co_u32_e64 v19, s[0:1], v10, v15, s[0:1]
	v_lshlrev_b64 v[20:21], 4, v[0:1]
	global_load_dword v0, v[16:17], off
	global_load_dwordx4 v[12:15], v[18:19], off
	v_add_co_u32_e64 v16, s[0:1], s8, v20
	v_addc_co_u32_e64 v17, s[0:1], v10, v21, s[0:1]
	global_load_dwordx4 v[16:19], v[16:17], off
	v_ashrrev_i32_e32 v5, 31, v4
	v_lshlrev_b64 v[20:21], 2, v[4:5]
	v_add_co_u32_e64 v20, s[0:1], s10, v20
	v_lshlrev_b64 v[22:23], 4, v[4:5]
	v_addc_co_u32_e64 v21, s[0:1], v9, v21, s[0:1]
	v_add_co_u32_e64 v22, s[0:1], s6, v22
	v_add_u32_e32 v2, 0x80, v2
	v_addc_co_u32_e64 v23, s[0:1], v11, v23, s[0:1]
	v_cmp_le_i32_e64 s[0:1], s14, v2
	v_add_u32_e32 v6, 0x200, v6
	v_add_u32_e32 v7, 0x200, v7
	;; [unrolled: 1-line block ×3, first 2 shown]
	s_or_b64 s[4:5], s[0:1], s[4:5]
	s_waitcnt vmcnt(2)
	v_subrev_u32_e32 v0, s13, v0
	s_waitcnt vmcnt(1)
	global_store_dwordx4 v[22:23], v[12:15], off
	s_waitcnt vmcnt(1)
	global_store_dwordx4 v[22:23], v[16:19], off offset:16
	v_lshl_add_u32 v12, v0, 1, s12
	v_add_u32_e32 v13, 1, v12
	global_store_dwordx2 v[20:21], v[12:13], off
	s_andn2_b64 exec, exec, s[4:5]
	s_cbranch_execnz .LBB261_4
.LBB261_5:
	s_endpgm
	.section	.rodata,"a",@progbits
	.p2align	6, 0x0
	.amdhsa_kernel _ZN9rocsparseL32bsr2csr_block_per_row_2_7_kernelILj256ELj2E21rocsparse_complex_numIdEiiEEv20rocsparse_direction_T3_S4_21rocsparse_index_base_PKT1_PKT2_PKS4_S4_S5_PS6_PS9_PS4_
		.amdhsa_group_segment_fixed_size 0
		.amdhsa_private_segment_fixed_size 0
		.amdhsa_kernarg_size 72
		.amdhsa_user_sgpr_count 6
		.amdhsa_user_sgpr_private_segment_buffer 1
		.amdhsa_user_sgpr_dispatch_ptr 0
		.amdhsa_user_sgpr_queue_ptr 0
		.amdhsa_user_sgpr_kernarg_segment_ptr 1
		.amdhsa_user_sgpr_dispatch_id 0
		.amdhsa_user_sgpr_flat_scratch_init 0
		.amdhsa_user_sgpr_kernarg_preload_length 0
		.amdhsa_user_sgpr_kernarg_preload_offset 0
		.amdhsa_user_sgpr_private_segment_size 0
		.amdhsa_uses_dynamic_stack 0
		.amdhsa_system_sgpr_private_segment_wavefront_offset 0
		.amdhsa_system_sgpr_workgroup_id_x 1
		.amdhsa_system_sgpr_workgroup_id_y 0
		.amdhsa_system_sgpr_workgroup_id_z 0
		.amdhsa_system_sgpr_workgroup_info 0
		.amdhsa_system_vgpr_workitem_id 0
		.amdhsa_next_free_vgpr 24
		.amdhsa_next_free_sgpr 15
		.amdhsa_accum_offset 24
		.amdhsa_reserve_vcc 1
		.amdhsa_reserve_flat_scratch 0
		.amdhsa_float_round_mode_32 0
		.amdhsa_float_round_mode_16_64 0
		.amdhsa_float_denorm_mode_32 3
		.amdhsa_float_denorm_mode_16_64 3
		.amdhsa_dx10_clamp 1
		.amdhsa_ieee_mode 1
		.amdhsa_fp16_overflow 0
		.amdhsa_tg_split 0
		.amdhsa_exception_fp_ieee_invalid_op 0
		.amdhsa_exception_fp_denorm_src 0
		.amdhsa_exception_fp_ieee_div_zero 0
		.amdhsa_exception_fp_ieee_overflow 0
		.amdhsa_exception_fp_ieee_underflow 0
		.amdhsa_exception_fp_ieee_inexact 0
		.amdhsa_exception_int_div_zero 0
	.end_amdhsa_kernel
	.section	.text._ZN9rocsparseL32bsr2csr_block_per_row_2_7_kernelILj256ELj2E21rocsparse_complex_numIdEiiEEv20rocsparse_direction_T3_S4_21rocsparse_index_base_PKT1_PKT2_PKS4_S4_S5_PS6_PS9_PS4_,"axG",@progbits,_ZN9rocsparseL32bsr2csr_block_per_row_2_7_kernelILj256ELj2E21rocsparse_complex_numIdEiiEEv20rocsparse_direction_T3_S4_21rocsparse_index_base_PKT1_PKT2_PKS4_S4_S5_PS6_PS9_PS4_,comdat
.Lfunc_end261:
	.size	_ZN9rocsparseL32bsr2csr_block_per_row_2_7_kernelILj256ELj2E21rocsparse_complex_numIdEiiEEv20rocsparse_direction_T3_S4_21rocsparse_index_base_PKT1_PKT2_PKS4_S4_S5_PS6_PS9_PS4_, .Lfunc_end261-_ZN9rocsparseL32bsr2csr_block_per_row_2_7_kernelILj256ELj2E21rocsparse_complex_numIdEiiEEv20rocsparse_direction_T3_S4_21rocsparse_index_base_PKT1_PKT2_PKS4_S4_S5_PS6_PS9_PS4_
                                        ; -- End function
	.section	.AMDGPU.csdata,"",@progbits
; Kernel info:
; codeLenInByte = 596
; NumSgprs: 19
; NumVgprs: 24
; NumAgprs: 0
; TotalNumVgprs: 24
; ScratchSize: 0
; MemoryBound: 0
; FloatMode: 240
; IeeeMode: 1
; LDSByteSize: 0 bytes/workgroup (compile time only)
; SGPRBlocks: 2
; VGPRBlocks: 2
; NumSGPRsForWavesPerEU: 19
; NumVGPRsForWavesPerEU: 24
; AccumOffset: 24
; Occupancy: 8
; WaveLimiterHint : 0
; COMPUTE_PGM_RSRC2:SCRATCH_EN: 0
; COMPUTE_PGM_RSRC2:USER_SGPR: 6
; COMPUTE_PGM_RSRC2:TRAP_HANDLER: 0
; COMPUTE_PGM_RSRC2:TGID_X_EN: 1
; COMPUTE_PGM_RSRC2:TGID_Y_EN: 0
; COMPUTE_PGM_RSRC2:TGID_Z_EN: 0
; COMPUTE_PGM_RSRC2:TIDIG_COMP_CNT: 0
; COMPUTE_PGM_RSRC3_GFX90A:ACCUM_OFFSET: 5
; COMPUTE_PGM_RSRC3_GFX90A:TG_SPLIT: 0
	.section	.text._ZN9rocsparseL32bsr2csr_block_per_row_2_7_kernelILj256ELj3E21rocsparse_complex_numIdEiiEEv20rocsparse_direction_T3_S4_21rocsparse_index_base_PKT1_PKT2_PKS4_S4_S5_PS6_PS9_PS4_,"axG",@progbits,_ZN9rocsparseL32bsr2csr_block_per_row_2_7_kernelILj256ELj3E21rocsparse_complex_numIdEiiEEv20rocsparse_direction_T3_S4_21rocsparse_index_base_PKT1_PKT2_PKS4_S4_S5_PS6_PS9_PS4_,comdat
	.globl	_ZN9rocsparseL32bsr2csr_block_per_row_2_7_kernelILj256ELj3E21rocsparse_complex_numIdEiiEEv20rocsparse_direction_T3_S4_21rocsparse_index_base_PKT1_PKT2_PKS4_S4_S5_PS6_PS9_PS4_ ; -- Begin function _ZN9rocsparseL32bsr2csr_block_per_row_2_7_kernelILj256ELj3E21rocsparse_complex_numIdEiiEEv20rocsparse_direction_T3_S4_21rocsparse_index_base_PKT1_PKT2_PKS4_S4_S5_PS6_PS9_PS4_
	.p2align	8
	.type	_ZN9rocsparseL32bsr2csr_block_per_row_2_7_kernelILj256ELj3E21rocsparse_complex_numIdEiiEEv20rocsparse_direction_T3_S4_21rocsparse_index_base_PKT1_PKT2_PKS4_S4_S5_PS6_PS9_PS4_,@function
_ZN9rocsparseL32bsr2csr_block_per_row_2_7_kernelILj256ELj3E21rocsparse_complex_numIdEiiEEv20rocsparse_direction_T3_S4_21rocsparse_index_base_PKT1_PKT2_PKS4_S4_S5_PS6_PS9_PS4_: ; @_ZN9rocsparseL32bsr2csr_block_per_row_2_7_kernelILj256ELj3E21rocsparse_complex_numIdEiiEEv20rocsparse_direction_T3_S4_21rocsparse_index_base_PKT1_PKT2_PKS4_S4_S5_PS6_PS9_PS4_
; %bb.0:
	s_load_dwordx2 s[0:1], s[4:5], 0x18
	s_load_dword s15, s[4:5], 0x2c
	s_load_dwordx2 s[2:3], s[4:5], 0x38
	s_ashr_i32 s7, s6, 31
	s_lshl_b64 s[8:9], s[6:7], 2
	s_waitcnt lgkmcnt(0)
	s_add_u32 s8, s0, s8
	v_or_b32_e32 v1, s6, v0
	s_addc_u32 s9, s1, s9
	v_cmp_eq_u32_e32 vcc, 0, v1
	s_and_saveexec_b64 s[0:1], vcc
	s_cbranch_execz .LBB262_2
; %bb.1:
	v_mov_b32_e32 v1, 0
	v_mov_b32_e32 v2, s15
	global_store_dword v1, v2, s[2:3]
.LBB262_2:
	s_or_b64 exec, exec, s[0:1]
	v_and_b32_e32 v4, 3, v0
	v_cmp_ne_u32_e32 vcc, 3, v4
	s_and_saveexec_b64 s[0:1], vcc
	s_cbranch_execz .LBB262_6
; %bb.3:
	s_load_dwordx2 s[0:1], s[8:9], 0x0
	s_load_dword s12, s[4:5], 0xc
	v_lshrrev_b32_e32 v3, 2, v0
	v_mov_b32_e32 v1, 0
	s_waitcnt lgkmcnt(0)
	s_sub_i32 s7, s0, s12
	s_sub_i32 s13, s1, s12
	;; [unrolled: 1-line block ×3, first 2 shown]
	s_mul_i32 s8, s8, 3
	s_mul_i32 s1, s7, 9
	v_mul_lo_u32 v6, s8, v4
	s_add_i32 s8, s8, s15
	s_add_i32 s8, s8, s1
	s_mul_i32 s1, s6, 3
	v_add3_u32 v0, v4, s1, 1
	v_lshlrev_b64 v[8:9], 2, v[0:1]
	v_mov_b32_e32 v0, s3
	v_add_co_u32_e32 v8, vcc, s2, v8
	v_add_u32_e32 v2, s8, v6
	v_addc_co_u32_e32 v9, vcc, v0, v9, vcc
	global_store_dword v[8:9], v2, off
	v_add_u32_e32 v2, s7, v3
	v_cmp_gt_i32_e32 vcc, s13, v2
	s_and_b64 exec, exec, vcc
	s_cbranch_execz .LBB262_6
; %bb.4:
	s_load_dwordx2 s[2:3], s[4:5], 0x20
	s_load_dwordx2 s[6:7], s[4:5], 0x30
	s_load_dword s1, s[4:5], 0x0
	s_load_dwordx2 s[8:9], s[4:5], 0x10
	s_load_dwordx2 s[10:11], s[4:5], 0x40
	v_add_u32_e32 v0, s0, v3
	v_lshl_add_u32 v0, v0, 3, v0
	s_waitcnt lgkmcnt(0)
	s_cmp_eq_u32 s1, 0
	v_mad_u32_u24 v0, v4, 3, v0
	s_mul_i32 s1, s12, 9
	v_subrev_u32_e32 v9, s1, v0
	s_mul_i32 s0, s0, 9
	v_mul_u32_u24_e32 v0, 3, v3
	v_mad_u64_u32 v[4:5], s[4:5], v2, 9, v[4:5]
	v_add3_u32 v0, v6, s0, v0
	s_mov_b32 s14, 0
	s_cselect_b64 vcc, -1, 0
	v_subrev_u32_e32 v6, s1, v0
	s_mov_b64 s[4:5], 0
	v_mov_b32_e32 v5, s3
	v_mov_b32_e32 v8, s15
	;; [unrolled: 1-line block ×5, first 2 shown]
.LBB262_5:                              ; =>This Inner Loop Header: Depth=1
	v_ashrrev_i32_e32 v3, 31, v2
	v_add_u32_e32 v7, s14, v4
	v_add_u32_e32 v13, s14, v9
	v_lshlrev_b64 v[14:15], 2, v[2:3]
	v_cndmask_b32_e32 v0, v7, v13, vcc
	v_add_co_u32_e64 v14, s[0:1], s2, v14
	v_add_u32_e32 v3, 1, v13
	v_add_u32_e32 v18, 3, v7
	v_addc_co_u32_e64 v15, s[0:1], v5, v15, s[0:1]
	v_lshlrev_b64 v[16:17], 4, v[0:1]
	v_cndmask_b32_e32 v0, v18, v3, vcc
	v_add_co_u32_e64 v22, s[0:1], s8, v16
	v_add_u32_e32 v13, 2, v13
	v_add_u32_e32 v7, 6, v7
	global_load_dword v3, v[14:15], off
	v_addc_co_u32_e64 v23, s[0:1], v12, v17, s[0:1]
	v_lshlrev_b64 v[14:15], 4, v[0:1]
	v_cndmask_b32_e32 v0, v7, v13, vcc
	v_add_co_u32_e64 v24, s[0:1], s8, v14
	v_addc_co_u32_e64 v25, s[0:1], v12, v15, s[0:1]
	v_lshlrev_b64 v[26:27], 4, v[0:1]
	global_load_dwordx4 v[14:17], v[22:23], off
	global_load_dwordx4 v[18:21], v[24:25], off
	v_add_co_u32_e64 v22, s[0:1], s8, v26
	v_addc_co_u32_e64 v23, s[0:1], v12, v27, s[0:1]
	global_load_dwordx4 v[22:25], v[22:23], off
	v_ashrrev_i32_e32 v7, 31, v6
	v_lshlrev_b64 v[26:27], 2, v[6:7]
	v_add_co_u32_e64 v30, s[0:1], s10, v26
	v_lshlrev_b64 v[28:29], 4, v[6:7]
	v_addc_co_u32_e64 v31, s[0:1], v10, v27, s[0:1]
	v_add_co_u32_e64 v32, s[0:1], s6, v28
	v_add_u32_e32 v2, 64, v2
	v_addc_co_u32_e64 v33, s[0:1], v11, v29, s[0:1]
	s_addk_i32 s14, 0x240
	v_cmp_le_i32_e64 s[0:1], s13, v2
	s_or_b64 s[4:5], s[0:1], s[4:5]
	v_add_u32_e32 v6, 0xc0, v6
	s_waitcnt vmcnt(3)
	v_subrev_u32_e32 v0, s12, v3
	v_mad_u64_u32 v[26:27], s[0:1], v0, 3, v[8:9]
	v_add_u32_e32 v27, 1, v26
	v_add_u32_e32 v28, 2, v26
	s_waitcnt vmcnt(2)
	global_store_dwordx4 v[32:33], v[14:17], off
	s_waitcnt vmcnt(2)
	global_store_dwordx4 v[32:33], v[18:21], off offset:16
	global_store_dwordx3 v[30:31], v[26:28], off
	s_waitcnt vmcnt(3)
	global_store_dwordx4 v[32:33], v[22:25], off offset:32
	s_andn2_b64 exec, exec, s[4:5]
	s_cbranch_execnz .LBB262_5
.LBB262_6:
	s_endpgm
	.section	.rodata,"a",@progbits
	.p2align	6, 0x0
	.amdhsa_kernel _ZN9rocsparseL32bsr2csr_block_per_row_2_7_kernelILj256ELj3E21rocsparse_complex_numIdEiiEEv20rocsparse_direction_T3_S4_21rocsparse_index_base_PKT1_PKT2_PKS4_S4_S5_PS6_PS9_PS4_
		.amdhsa_group_segment_fixed_size 0
		.amdhsa_private_segment_fixed_size 0
		.amdhsa_kernarg_size 72
		.amdhsa_user_sgpr_count 6
		.amdhsa_user_sgpr_private_segment_buffer 1
		.amdhsa_user_sgpr_dispatch_ptr 0
		.amdhsa_user_sgpr_queue_ptr 0
		.amdhsa_user_sgpr_kernarg_segment_ptr 1
		.amdhsa_user_sgpr_dispatch_id 0
		.amdhsa_user_sgpr_flat_scratch_init 0
		.amdhsa_user_sgpr_kernarg_preload_length 0
		.amdhsa_user_sgpr_kernarg_preload_offset 0
		.amdhsa_user_sgpr_private_segment_size 0
		.amdhsa_uses_dynamic_stack 0
		.amdhsa_system_sgpr_private_segment_wavefront_offset 0
		.amdhsa_system_sgpr_workgroup_id_x 1
		.amdhsa_system_sgpr_workgroup_id_y 0
		.amdhsa_system_sgpr_workgroup_id_z 0
		.amdhsa_system_sgpr_workgroup_info 0
		.amdhsa_system_vgpr_workitem_id 0
		.amdhsa_next_free_vgpr 34
		.amdhsa_next_free_sgpr 16
		.amdhsa_accum_offset 36
		.amdhsa_reserve_vcc 1
		.amdhsa_reserve_flat_scratch 0
		.amdhsa_float_round_mode_32 0
		.amdhsa_float_round_mode_16_64 0
		.amdhsa_float_denorm_mode_32 3
		.amdhsa_float_denorm_mode_16_64 3
		.amdhsa_dx10_clamp 1
		.amdhsa_ieee_mode 1
		.amdhsa_fp16_overflow 0
		.amdhsa_tg_split 0
		.amdhsa_exception_fp_ieee_invalid_op 0
		.amdhsa_exception_fp_denorm_src 0
		.amdhsa_exception_fp_ieee_div_zero 0
		.amdhsa_exception_fp_ieee_overflow 0
		.amdhsa_exception_fp_ieee_underflow 0
		.amdhsa_exception_fp_ieee_inexact 0
		.amdhsa_exception_int_div_zero 0
	.end_amdhsa_kernel
	.section	.text._ZN9rocsparseL32bsr2csr_block_per_row_2_7_kernelILj256ELj3E21rocsparse_complex_numIdEiiEEv20rocsparse_direction_T3_S4_21rocsparse_index_base_PKT1_PKT2_PKS4_S4_S5_PS6_PS9_PS4_,"axG",@progbits,_ZN9rocsparseL32bsr2csr_block_per_row_2_7_kernelILj256ELj3E21rocsparse_complex_numIdEiiEEv20rocsparse_direction_T3_S4_21rocsparse_index_base_PKT1_PKT2_PKS4_S4_S5_PS6_PS9_PS4_,comdat
.Lfunc_end262:
	.size	_ZN9rocsparseL32bsr2csr_block_per_row_2_7_kernelILj256ELj3E21rocsparse_complex_numIdEiiEEv20rocsparse_direction_T3_S4_21rocsparse_index_base_PKT1_PKT2_PKS4_S4_S5_PS6_PS9_PS4_, .Lfunc_end262-_ZN9rocsparseL32bsr2csr_block_per_row_2_7_kernelILj256ELj3E21rocsparse_complex_numIdEiiEEv20rocsparse_direction_T3_S4_21rocsparse_index_base_PKT1_PKT2_PKS4_S4_S5_PS6_PS9_PS4_
                                        ; -- End function
	.section	.AMDGPU.csdata,"",@progbits
; Kernel info:
; codeLenInByte = 684
; NumSgprs: 20
; NumVgprs: 34
; NumAgprs: 0
; TotalNumVgprs: 34
; ScratchSize: 0
; MemoryBound: 0
; FloatMode: 240
; IeeeMode: 1
; LDSByteSize: 0 bytes/workgroup (compile time only)
; SGPRBlocks: 2
; VGPRBlocks: 4
; NumSGPRsForWavesPerEU: 20
; NumVGPRsForWavesPerEU: 34
; AccumOffset: 36
; Occupancy: 8
; WaveLimiterHint : 0
; COMPUTE_PGM_RSRC2:SCRATCH_EN: 0
; COMPUTE_PGM_RSRC2:USER_SGPR: 6
; COMPUTE_PGM_RSRC2:TRAP_HANDLER: 0
; COMPUTE_PGM_RSRC2:TGID_X_EN: 1
; COMPUTE_PGM_RSRC2:TGID_Y_EN: 0
; COMPUTE_PGM_RSRC2:TGID_Z_EN: 0
; COMPUTE_PGM_RSRC2:TIDIG_COMP_CNT: 0
; COMPUTE_PGM_RSRC3_GFX90A:ACCUM_OFFSET: 8
; COMPUTE_PGM_RSRC3_GFX90A:TG_SPLIT: 0
	.section	.text._ZN9rocsparseL32bsr2csr_block_per_row_2_7_kernelILj256ELj4E21rocsparse_complex_numIdEiiEEv20rocsparse_direction_T3_S4_21rocsparse_index_base_PKT1_PKT2_PKS4_S4_S5_PS6_PS9_PS4_,"axG",@progbits,_ZN9rocsparseL32bsr2csr_block_per_row_2_7_kernelILj256ELj4E21rocsparse_complex_numIdEiiEEv20rocsparse_direction_T3_S4_21rocsparse_index_base_PKT1_PKT2_PKS4_S4_S5_PS6_PS9_PS4_,comdat
	.globl	_ZN9rocsparseL32bsr2csr_block_per_row_2_7_kernelILj256ELj4E21rocsparse_complex_numIdEiiEEv20rocsparse_direction_T3_S4_21rocsparse_index_base_PKT1_PKT2_PKS4_S4_S5_PS6_PS9_PS4_ ; -- Begin function _ZN9rocsparseL32bsr2csr_block_per_row_2_7_kernelILj256ELj4E21rocsparse_complex_numIdEiiEEv20rocsparse_direction_T3_S4_21rocsparse_index_base_PKT1_PKT2_PKS4_S4_S5_PS6_PS9_PS4_
	.p2align	8
	.type	_ZN9rocsparseL32bsr2csr_block_per_row_2_7_kernelILj256ELj4E21rocsparse_complex_numIdEiiEEv20rocsparse_direction_T3_S4_21rocsparse_index_base_PKT1_PKT2_PKS4_S4_S5_PS6_PS9_PS4_,@function
_ZN9rocsparseL32bsr2csr_block_per_row_2_7_kernelILj256ELj4E21rocsparse_complex_numIdEiiEEv20rocsparse_direction_T3_S4_21rocsparse_index_base_PKT1_PKT2_PKS4_S4_S5_PS6_PS9_PS4_: ; @_ZN9rocsparseL32bsr2csr_block_per_row_2_7_kernelILj256ELj4E21rocsparse_complex_numIdEiiEEv20rocsparse_direction_T3_S4_21rocsparse_index_base_PKT1_PKT2_PKS4_S4_S5_PS6_PS9_PS4_
; %bb.0:
	s_load_dwordx2 s[0:1], s[4:5], 0x18
	s_load_dword s12, s[4:5], 0x2c
	s_load_dwordx2 s[2:3], s[4:5], 0x38
	s_ashr_i32 s7, s6, 31
	s_lshl_b64 s[8:9], s[6:7], 2
	s_waitcnt lgkmcnt(0)
	s_add_u32 s0, s0, s8
	s_addc_u32 s1, s1, s9
	s_load_dwordx2 s[0:1], s[0:1], 0x0
	v_or_b32_e32 v1, s6, v0
	v_cmp_eq_u32_e32 vcc, 0, v1
	s_and_saveexec_b64 s[8:9], vcc
	s_cbranch_execz .LBB263_2
; %bb.1:
	v_mov_b32_e32 v1, 0
	v_mov_b32_e32 v2, s12
	global_store_dword v1, v2, s[2:3]
.LBB263_2:
	s_or_b64 exec, exec, s[8:9]
	s_load_dword s13, s[4:5], 0xc
	v_and_b32_e32 v6, 3, v0
	v_lshrrev_b32_e32 v3, 2, v0
	v_lshl_or_b32 v0, s6, 2, v6
	v_add_u32_e32 v0, 1, v0
	s_waitcnt lgkmcnt(0)
	s_sub_i32 s7, s0, s13
	s_sub_i32 s14, s1, s13
	s_sub_i32 s8, s14, s7
	s_lshl_b32 s8, s8, 2
	v_mov_b32_e32 v1, 0
	s_lshl_b32 s1, s7, 4
	v_mul_lo_u32 v4, s8, v6
	s_add_i32 s8, s8, s12
	v_lshlrev_b64 v[8:9], 2, v[0:1]
	s_add_i32 s8, s8, s1
	v_mov_b32_e32 v0, s3
	v_add_co_u32_e32 v8, vcc, s2, v8
	v_add_u32_e32 v2, s8, v4
	v_addc_co_u32_e32 v9, vcc, v0, v9, vcc
	global_store_dword v[8:9], v2, off
	v_add_u32_e32 v2, s7, v3
	v_cmp_gt_i32_e32 vcc, s14, v2
	s_and_saveexec_b64 s[2:3], vcc
	s_cbranch_execz .LBB263_5
; %bb.3:
	s_load_dwordx2 s[2:3], s[4:5], 0x20
	s_load_dwordx2 s[6:7], s[4:5], 0x30
	s_load_dword s1, s[4:5], 0x0
	s_load_dwordx2 s[8:9], s[4:5], 0x10
	s_load_dwordx2 s[10:11], s[4:5], 0x40
	v_lshlrev_b32_e32 v0, 2, v3
	v_lshlrev_b32_e32 v7, 2, v6
	s_waitcnt lgkmcnt(0)
	s_cmp_eq_u32 s1, 0
	s_cselect_b64 vcc, -1, 0
	s_lshl_b32 s0, s0, 4
	v_add3_u32 v0, v4, s0, v0
	s_lshl_b32 s0, s13, 4
	v_subrev_u32_e32 v4, s0, v0
	v_lshlrev_b32_e32 v8, 4, v2
	s_mov_b64 s[4:5], 0
	v_mov_b32_e32 v9, s3
	v_mov_b32_e32 v10, s11
	;; [unrolled: 1-line block ×4, first 2 shown]
.LBB263_4:                              ; =>This Inner Loop Header: Depth=1
	v_ashrrev_i32_e32 v3, 31, v2
	v_add_u32_e32 v5, v7, v8
	v_add_u32_e32 v13, v6, v8
	v_lshlrev_b64 v[14:15], 2, v[2:3]
	v_cndmask_b32_e32 v0, v13, v5, vcc
	v_add_co_u32_e64 v14, s[0:1], s2, v14
	v_add_u32_e32 v3, 1, v5
	v_add_u32_e32 v18, 4, v13
	v_addc_co_u32_e64 v15, s[0:1], v9, v15, s[0:1]
	v_lshlrev_b64 v[16:17], 4, v[0:1]
	v_cndmask_b32_e32 v0, v18, v3, vcc
	v_add_co_u32_e64 v22, s[0:1], s8, v16
	v_add_u32_e32 v19, 2, v5
	v_add_u32_e32 v20, 8, v13
	global_load_dword v3, v[14:15], off
	v_addc_co_u32_e64 v23, s[0:1], v11, v17, s[0:1]
	v_lshlrev_b64 v[14:15], 4, v[0:1]
	v_cndmask_b32_e32 v0, v20, v19, vcc
	v_add_co_u32_e64 v24, s[0:1], s8, v14
	v_add_u32_e32 v5, 3, v5
	v_add_u32_e32 v13, 12, v13
	v_addc_co_u32_e64 v25, s[0:1], v11, v15, s[0:1]
	v_lshlrev_b64 v[26:27], 4, v[0:1]
	v_cndmask_b32_e32 v0, v13, v5, vcc
	global_load_dwordx4 v[14:17], v[22:23], off
	global_load_dwordx4 v[18:21], v[24:25], off
	v_add_co_u32_e64 v22, s[0:1], s8, v26
	v_addc_co_u32_e64 v23, s[0:1], v11, v27, s[0:1]
	v_lshlrev_b64 v[26:27], 4, v[0:1]
	global_load_dwordx4 v[22:25], v[22:23], off
	v_add_co_u32_e64 v26, s[0:1], s8, v26
	v_addc_co_u32_e64 v27, s[0:1], v11, v27, s[0:1]
	global_load_dwordx4 v[26:29], v[26:27], off
	v_ashrrev_i32_e32 v5, 31, v4
	v_lshlrev_b64 v[30:31], 2, v[4:5]
	v_add_co_u32_e64 v34, s[0:1], s10, v30
	v_lshlrev_b64 v[32:33], 4, v[4:5]
	v_addc_co_u32_e64 v35, s[0:1], v10, v31, s[0:1]
	v_add_co_u32_e64 v36, s[0:1], s6, v32
	v_add_u32_e32 v2, 64, v2
	v_addc_co_u32_e64 v37, s[0:1], v12, v33, s[0:1]
	v_cmp_le_i32_e64 s[0:1], s14, v2
	v_add_u32_e32 v8, 0x400, v8
	v_add_u32_e32 v4, 0x100, v4
	s_or_b64 s[4:5], s[0:1], s[4:5]
	s_waitcnt vmcnt(4)
	v_subrev_u32_e32 v0, s13, v3
	v_lshl_add_u32 v30, v0, 2, s12
	v_add_u32_e32 v31, 1, v30
	v_add_u32_e32 v32, 2, v30
	;; [unrolled: 1-line block ×3, first 2 shown]
	s_waitcnt vmcnt(3)
	global_store_dwordx4 v[36:37], v[14:17], off
	s_waitcnt vmcnt(3)
	global_store_dwordx4 v[36:37], v[18:21], off offset:16
	s_waitcnt vmcnt(3)
	global_store_dwordx4 v[36:37], v[22:25], off offset:32
	global_store_dwordx4 v[34:35], v[30:33], off
	s_waitcnt vmcnt(4)
	global_store_dwordx4 v[36:37], v[26:29], off offset:48
	s_andn2_b64 exec, exec, s[4:5]
	s_cbranch_execnz .LBB263_4
.LBB263_5:
	s_endpgm
	.section	.rodata,"a",@progbits
	.p2align	6, 0x0
	.amdhsa_kernel _ZN9rocsparseL32bsr2csr_block_per_row_2_7_kernelILj256ELj4E21rocsparse_complex_numIdEiiEEv20rocsparse_direction_T3_S4_21rocsparse_index_base_PKT1_PKT2_PKS4_S4_S5_PS6_PS9_PS4_
		.amdhsa_group_segment_fixed_size 0
		.amdhsa_private_segment_fixed_size 0
		.amdhsa_kernarg_size 72
		.amdhsa_user_sgpr_count 6
		.amdhsa_user_sgpr_private_segment_buffer 1
		.amdhsa_user_sgpr_dispatch_ptr 0
		.amdhsa_user_sgpr_queue_ptr 0
		.amdhsa_user_sgpr_kernarg_segment_ptr 1
		.amdhsa_user_sgpr_dispatch_id 0
		.amdhsa_user_sgpr_flat_scratch_init 0
		.amdhsa_user_sgpr_kernarg_preload_length 0
		.amdhsa_user_sgpr_kernarg_preload_offset 0
		.amdhsa_user_sgpr_private_segment_size 0
		.amdhsa_uses_dynamic_stack 0
		.amdhsa_system_sgpr_private_segment_wavefront_offset 0
		.amdhsa_system_sgpr_workgroup_id_x 1
		.amdhsa_system_sgpr_workgroup_id_y 0
		.amdhsa_system_sgpr_workgroup_id_z 0
		.amdhsa_system_sgpr_workgroup_info 0
		.amdhsa_system_vgpr_workitem_id 0
		.amdhsa_next_free_vgpr 38
		.amdhsa_next_free_sgpr 15
		.amdhsa_accum_offset 40
		.amdhsa_reserve_vcc 1
		.amdhsa_reserve_flat_scratch 0
		.amdhsa_float_round_mode_32 0
		.amdhsa_float_round_mode_16_64 0
		.amdhsa_float_denorm_mode_32 3
		.amdhsa_float_denorm_mode_16_64 3
		.amdhsa_dx10_clamp 1
		.amdhsa_ieee_mode 1
		.amdhsa_fp16_overflow 0
		.amdhsa_tg_split 0
		.amdhsa_exception_fp_ieee_invalid_op 0
		.amdhsa_exception_fp_denorm_src 0
		.amdhsa_exception_fp_ieee_div_zero 0
		.amdhsa_exception_fp_ieee_overflow 0
		.amdhsa_exception_fp_ieee_underflow 0
		.amdhsa_exception_fp_ieee_inexact 0
		.amdhsa_exception_int_div_zero 0
	.end_amdhsa_kernel
	.section	.text._ZN9rocsparseL32bsr2csr_block_per_row_2_7_kernelILj256ELj4E21rocsparse_complex_numIdEiiEEv20rocsparse_direction_T3_S4_21rocsparse_index_base_PKT1_PKT2_PKS4_S4_S5_PS6_PS9_PS4_,"axG",@progbits,_ZN9rocsparseL32bsr2csr_block_per_row_2_7_kernelILj256ELj4E21rocsparse_complex_numIdEiiEEv20rocsparse_direction_T3_S4_21rocsparse_index_base_PKT1_PKT2_PKS4_S4_S5_PS6_PS9_PS4_,comdat
.Lfunc_end263:
	.size	_ZN9rocsparseL32bsr2csr_block_per_row_2_7_kernelILj256ELj4E21rocsparse_complex_numIdEiiEEv20rocsparse_direction_T3_S4_21rocsparse_index_base_PKT1_PKT2_PKS4_S4_S5_PS6_PS9_PS4_, .Lfunc_end263-_ZN9rocsparseL32bsr2csr_block_per_row_2_7_kernelILj256ELj4E21rocsparse_complex_numIdEiiEEv20rocsparse_direction_T3_S4_21rocsparse_index_base_PKT1_PKT2_PKS4_S4_S5_PS6_PS9_PS4_
                                        ; -- End function
	.section	.AMDGPU.csdata,"",@progbits
; Kernel info:
; codeLenInByte = 704
; NumSgprs: 19
; NumVgprs: 38
; NumAgprs: 0
; TotalNumVgprs: 38
; ScratchSize: 0
; MemoryBound: 0
; FloatMode: 240
; IeeeMode: 1
; LDSByteSize: 0 bytes/workgroup (compile time only)
; SGPRBlocks: 2
; VGPRBlocks: 4
; NumSGPRsForWavesPerEU: 19
; NumVGPRsForWavesPerEU: 38
; AccumOffset: 40
; Occupancy: 8
; WaveLimiterHint : 0
; COMPUTE_PGM_RSRC2:SCRATCH_EN: 0
; COMPUTE_PGM_RSRC2:USER_SGPR: 6
; COMPUTE_PGM_RSRC2:TRAP_HANDLER: 0
; COMPUTE_PGM_RSRC2:TGID_X_EN: 1
; COMPUTE_PGM_RSRC2:TGID_Y_EN: 0
; COMPUTE_PGM_RSRC2:TGID_Z_EN: 0
; COMPUTE_PGM_RSRC2:TIDIG_COMP_CNT: 0
; COMPUTE_PGM_RSRC3_GFX90A:ACCUM_OFFSET: 9
; COMPUTE_PGM_RSRC3_GFX90A:TG_SPLIT: 0
	.section	.text._ZN9rocsparseL32bsr2csr_block_per_row_2_7_kernelILj256ELj5E21rocsparse_complex_numIdEiiEEv20rocsparse_direction_T3_S4_21rocsparse_index_base_PKT1_PKT2_PKS4_S4_S5_PS6_PS9_PS4_,"axG",@progbits,_ZN9rocsparseL32bsr2csr_block_per_row_2_7_kernelILj256ELj5E21rocsparse_complex_numIdEiiEEv20rocsparse_direction_T3_S4_21rocsparse_index_base_PKT1_PKT2_PKS4_S4_S5_PS6_PS9_PS4_,comdat
	.globl	_ZN9rocsparseL32bsr2csr_block_per_row_2_7_kernelILj256ELj5E21rocsparse_complex_numIdEiiEEv20rocsparse_direction_T3_S4_21rocsparse_index_base_PKT1_PKT2_PKS4_S4_S5_PS6_PS9_PS4_ ; -- Begin function _ZN9rocsparseL32bsr2csr_block_per_row_2_7_kernelILj256ELj5E21rocsparse_complex_numIdEiiEEv20rocsparse_direction_T3_S4_21rocsparse_index_base_PKT1_PKT2_PKS4_S4_S5_PS6_PS9_PS4_
	.p2align	8
	.type	_ZN9rocsparseL32bsr2csr_block_per_row_2_7_kernelILj256ELj5E21rocsparse_complex_numIdEiiEEv20rocsparse_direction_T3_S4_21rocsparse_index_base_PKT1_PKT2_PKS4_S4_S5_PS6_PS9_PS4_,@function
_ZN9rocsparseL32bsr2csr_block_per_row_2_7_kernelILj256ELj5E21rocsparse_complex_numIdEiiEEv20rocsparse_direction_T3_S4_21rocsparse_index_base_PKT1_PKT2_PKS4_S4_S5_PS6_PS9_PS4_: ; @_ZN9rocsparseL32bsr2csr_block_per_row_2_7_kernelILj256ELj5E21rocsparse_complex_numIdEiiEEv20rocsparse_direction_T3_S4_21rocsparse_index_base_PKT1_PKT2_PKS4_S4_S5_PS6_PS9_PS4_
; %bb.0:
	s_load_dwordx2 s[0:1], s[4:5], 0x18
	s_load_dword s15, s[4:5], 0x2c
	s_load_dwordx2 s[2:3], s[4:5], 0x38
	s_ashr_i32 s7, s6, 31
	s_lshl_b64 s[8:9], s[6:7], 2
	s_waitcnt lgkmcnt(0)
	s_add_u32 s8, s0, s8
	v_or_b32_e32 v1, s6, v0
	s_addc_u32 s9, s1, s9
	v_cmp_eq_u32_e32 vcc, 0, v1
	s_and_saveexec_b64 s[0:1], vcc
	s_cbranch_execz .LBB264_2
; %bb.1:
	v_mov_b32_e32 v1, 0
	v_mov_b32_e32 v2, s15
	global_store_dword v1, v2, s[2:3]
.LBB264_2:
	s_or_b64 exec, exec, s[0:1]
	v_and_b32_e32 v4, 7, v0
	v_cmp_gt_u32_e32 vcc, 5, v4
	s_and_saveexec_b64 s[0:1], vcc
	s_cbranch_execz .LBB264_6
; %bb.3:
	s_load_dwordx2 s[0:1], s[8:9], 0x0
	s_load_dword s12, s[4:5], 0xc
	v_lshrrev_b32_e32 v3, 3, v0
	v_mov_b32_e32 v1, 0
	s_waitcnt lgkmcnt(0)
	s_sub_i32 s7, s0, s12
	s_sub_i32 s13, s1, s12
	;; [unrolled: 1-line block ×3, first 2 shown]
	s_mul_i32 s8, s8, 5
	s_mul_i32 s1, s7, 25
	v_mul_lo_u32 v6, s8, v4
	s_add_i32 s8, s8, s15
	s_add_i32 s8, s8, s1
	s_mul_i32 s1, s6, 5
	v_add3_u32 v0, v4, s1, 1
	v_lshlrev_b64 v[8:9], 2, v[0:1]
	v_mov_b32_e32 v0, s3
	v_add_co_u32_e32 v8, vcc, s2, v8
	v_add_u32_e32 v2, s8, v6
	v_addc_co_u32_e32 v9, vcc, v0, v9, vcc
	global_store_dword v[8:9], v2, off
	v_add_u32_e32 v2, s7, v3
	v_cmp_gt_i32_e32 vcc, s13, v2
	s_and_b64 exec, exec, vcc
	s_cbranch_execz .LBB264_6
; %bb.4:
	s_load_dwordx2 s[2:3], s[4:5], 0x20
	s_load_dwordx2 s[6:7], s[4:5], 0x30
	s_load_dword s1, s[4:5], 0x0
	s_load_dwordx2 s[8:9], s[4:5], 0x10
	s_load_dwordx2 s[10:11], s[4:5], 0x40
	v_add_u32_e32 v0, s0, v3
	v_mul_lo_u32 v0, v0, 25
	s_waitcnt lgkmcnt(0)
	s_cmp_eq_u32 s1, 0
	v_mad_u32_u24 v0, v4, 5, v0
	s_mul_i32 s1, s12, 25
	v_subrev_u32_e32 v9, s1, v0
	s_mul_i32 s0, s0, 25
	v_mul_u32_u24_e32 v0, 5, v3
	v_mad_u64_u32 v[4:5], s[4:5], v2, 25, v[4:5]
	v_add3_u32 v0, v6, s0, v0
	s_mov_b32 s14, 0
	s_cselect_b64 vcc, -1, 0
	v_subrev_u32_e32 v6, s1, v0
	s_mov_b64 s[4:5], 0
	v_mov_b32_e32 v5, s3
	v_mov_b32_e32 v8, s15
	;; [unrolled: 1-line block ×5, first 2 shown]
.LBB264_5:                              ; =>This Inner Loop Header: Depth=1
	v_ashrrev_i32_e32 v3, 31, v2
	v_add_u32_e32 v7, s14, v4
	v_add_u32_e32 v13, s14, v9
	v_lshlrev_b64 v[14:15], 2, v[2:3]
	v_cndmask_b32_e32 v0, v7, v13, vcc
	v_add_co_u32_e64 v14, s[0:1], s2, v14
	v_add_u32_e32 v3, 1, v13
	v_add_u32_e32 v18, 5, v7
	v_addc_co_u32_e64 v15, s[0:1], v5, v15, s[0:1]
	v_lshlrev_b64 v[16:17], 4, v[0:1]
	v_cndmask_b32_e32 v0, v18, v3, vcc
	v_add_co_u32_e64 v22, s[0:1], s8, v16
	v_add_u32_e32 v19, 2, v13
	v_add_u32_e32 v20, 10, v7
	global_load_dword v3, v[14:15], off
	v_addc_co_u32_e64 v23, s[0:1], v12, v17, s[0:1]
	v_lshlrev_b64 v[14:15], 4, v[0:1]
	v_cndmask_b32_e32 v0, v20, v19, vcc
	v_add_co_u32_e64 v24, s[0:1], s8, v14
	v_add_u32_e32 v21, 3, v13
	v_add_u32_e32 v28, 15, v7
	v_addc_co_u32_e64 v25, s[0:1], v12, v15, s[0:1]
	v_lshlrev_b64 v[26:27], 4, v[0:1]
	v_cndmask_b32_e32 v0, v28, v21, vcc
	v_add_co_u32_e64 v30, s[0:1], s8, v26
	global_load_dwordx4 v[14:17], v[22:23], off
	global_load_dwordx4 v[18:21], v[24:25], off
	v_addc_co_u32_e64 v31, s[0:1], v12, v27, s[0:1]
	v_lshlrev_b64 v[22:23], 4, v[0:1]
	v_add_u32_e32 v13, 4, v13
	v_add_u32_e32 v7, 20, v7
	v_add_co_u32_e64 v32, s[0:1], s8, v22
	v_cndmask_b32_e32 v0, v7, v13, vcc
	v_addc_co_u32_e64 v33, s[0:1], v12, v23, s[0:1]
	global_load_dwordx4 v[22:25], v[30:31], off
	global_load_dwordx4 v[26:29], v[32:33], off
	v_lshlrev_b64 v[34:35], 4, v[0:1]
	v_add_co_u32_e64 v30, s[0:1], s8, v34
	v_addc_co_u32_e64 v31, s[0:1], v12, v35, s[0:1]
	global_load_dwordx4 v[30:33], v[30:31], off
	v_ashrrev_i32_e32 v7, 31, v6
	v_lshlrev_b64 v[34:35], 2, v[6:7]
	v_add_co_u32_e64 v38, s[0:1], s10, v34
	v_lshlrev_b64 v[36:37], 4, v[6:7]
	v_addc_co_u32_e64 v39, s[0:1], v10, v35, s[0:1]
	v_add_co_u32_e64 v40, s[0:1], s6, v36
	v_add_u32_e32 v2, 32, v2
	v_addc_co_u32_e64 v41, s[0:1], v11, v37, s[0:1]
	s_addk_i32 s14, 0x320
	v_cmp_le_i32_e64 s[0:1], s13, v2
	v_add_u32_e32 v6, 0xa0, v6
	s_or_b64 s[4:5], s[0:1], s[4:5]
	s_waitcnt vmcnt(5)
	v_subrev_u32_e32 v0, s12, v3
	v_mad_u64_u32 v[34:35], s[0:1], v0, 5, v[8:9]
	v_add_u32_e32 v35, 1, v34
	v_add_u32_e32 v36, 2, v34
	;; [unrolled: 1-line block ×4, first 2 shown]
	s_waitcnt vmcnt(4)
	global_store_dwordx4 v[40:41], v[14:17], off
	s_waitcnt vmcnt(4)
	global_store_dwordx4 v[40:41], v[18:21], off offset:16
	s_waitcnt vmcnt(4)
	global_store_dwordx4 v[40:41], v[22:25], off offset:32
	global_store_dwordx4 v[38:39], v[34:37], off
	global_store_dword v[38:39], v0, off offset:16
	s_waitcnt vmcnt(6)
	global_store_dwordx4 v[40:41], v[26:29], off offset:48
	s_waitcnt vmcnt(6)
	global_store_dwordx4 v[40:41], v[30:33], off offset:64
	s_andn2_b64 exec, exec, s[4:5]
	s_cbranch_execnz .LBB264_5
.LBB264_6:
	s_endpgm
	.section	.rodata,"a",@progbits
	.p2align	6, 0x0
	.amdhsa_kernel _ZN9rocsparseL32bsr2csr_block_per_row_2_7_kernelILj256ELj5E21rocsparse_complex_numIdEiiEEv20rocsparse_direction_T3_S4_21rocsparse_index_base_PKT1_PKT2_PKS4_S4_S5_PS6_PS9_PS4_
		.amdhsa_group_segment_fixed_size 0
		.amdhsa_private_segment_fixed_size 0
		.amdhsa_kernarg_size 72
		.amdhsa_user_sgpr_count 6
		.amdhsa_user_sgpr_private_segment_buffer 1
		.amdhsa_user_sgpr_dispatch_ptr 0
		.amdhsa_user_sgpr_queue_ptr 0
		.amdhsa_user_sgpr_kernarg_segment_ptr 1
		.amdhsa_user_sgpr_dispatch_id 0
		.amdhsa_user_sgpr_flat_scratch_init 0
		.amdhsa_user_sgpr_kernarg_preload_length 0
		.amdhsa_user_sgpr_kernarg_preload_offset 0
		.amdhsa_user_sgpr_private_segment_size 0
		.amdhsa_uses_dynamic_stack 0
		.amdhsa_system_sgpr_private_segment_wavefront_offset 0
		.amdhsa_system_sgpr_workgroup_id_x 1
		.amdhsa_system_sgpr_workgroup_id_y 0
		.amdhsa_system_sgpr_workgroup_id_z 0
		.amdhsa_system_sgpr_workgroup_info 0
		.amdhsa_system_vgpr_workitem_id 0
		.amdhsa_next_free_vgpr 42
		.amdhsa_next_free_sgpr 16
		.amdhsa_accum_offset 44
		.amdhsa_reserve_vcc 1
		.amdhsa_reserve_flat_scratch 0
		.amdhsa_float_round_mode_32 0
		.amdhsa_float_round_mode_16_64 0
		.amdhsa_float_denorm_mode_32 3
		.amdhsa_float_denorm_mode_16_64 3
		.amdhsa_dx10_clamp 1
		.amdhsa_ieee_mode 1
		.amdhsa_fp16_overflow 0
		.amdhsa_tg_split 0
		.amdhsa_exception_fp_ieee_invalid_op 0
		.amdhsa_exception_fp_denorm_src 0
		.amdhsa_exception_fp_ieee_div_zero 0
		.amdhsa_exception_fp_ieee_overflow 0
		.amdhsa_exception_fp_ieee_underflow 0
		.amdhsa_exception_fp_ieee_inexact 0
		.amdhsa_exception_int_div_zero 0
	.end_amdhsa_kernel
	.section	.text._ZN9rocsparseL32bsr2csr_block_per_row_2_7_kernelILj256ELj5E21rocsparse_complex_numIdEiiEEv20rocsparse_direction_T3_S4_21rocsparse_index_base_PKT1_PKT2_PKS4_S4_S5_PS6_PS9_PS4_,"axG",@progbits,_ZN9rocsparseL32bsr2csr_block_per_row_2_7_kernelILj256ELj5E21rocsparse_complex_numIdEiiEEv20rocsparse_direction_T3_S4_21rocsparse_index_base_PKT1_PKT2_PKS4_S4_S5_PS6_PS9_PS4_,comdat
.Lfunc_end264:
	.size	_ZN9rocsparseL32bsr2csr_block_per_row_2_7_kernelILj256ELj5E21rocsparse_complex_numIdEiiEEv20rocsparse_direction_T3_S4_21rocsparse_index_base_PKT1_PKT2_PKS4_S4_S5_PS6_PS9_PS4_, .Lfunc_end264-_ZN9rocsparseL32bsr2csr_block_per_row_2_7_kernelILj256ELj5E21rocsparse_complex_numIdEiiEEv20rocsparse_direction_T3_S4_21rocsparse_index_base_PKT1_PKT2_PKS4_S4_S5_PS6_PS9_PS4_
                                        ; -- End function
	.section	.AMDGPU.csdata,"",@progbits
; Kernel info:
; codeLenInByte = 812
; NumSgprs: 20
; NumVgprs: 42
; NumAgprs: 0
; TotalNumVgprs: 42
; ScratchSize: 0
; MemoryBound: 0
; FloatMode: 240
; IeeeMode: 1
; LDSByteSize: 0 bytes/workgroup (compile time only)
; SGPRBlocks: 2
; VGPRBlocks: 5
; NumSGPRsForWavesPerEU: 20
; NumVGPRsForWavesPerEU: 42
; AccumOffset: 44
; Occupancy: 8
; WaveLimiterHint : 0
; COMPUTE_PGM_RSRC2:SCRATCH_EN: 0
; COMPUTE_PGM_RSRC2:USER_SGPR: 6
; COMPUTE_PGM_RSRC2:TRAP_HANDLER: 0
; COMPUTE_PGM_RSRC2:TGID_X_EN: 1
; COMPUTE_PGM_RSRC2:TGID_Y_EN: 0
; COMPUTE_PGM_RSRC2:TGID_Z_EN: 0
; COMPUTE_PGM_RSRC2:TIDIG_COMP_CNT: 0
; COMPUTE_PGM_RSRC3_GFX90A:ACCUM_OFFSET: 10
; COMPUTE_PGM_RSRC3_GFX90A:TG_SPLIT: 0
	.section	.text._ZN9rocsparseL32bsr2csr_block_per_row_2_7_kernelILj256ELj6E21rocsparse_complex_numIdEiiEEv20rocsparse_direction_T3_S4_21rocsparse_index_base_PKT1_PKT2_PKS4_S4_S5_PS6_PS9_PS4_,"axG",@progbits,_ZN9rocsparseL32bsr2csr_block_per_row_2_7_kernelILj256ELj6E21rocsparse_complex_numIdEiiEEv20rocsparse_direction_T3_S4_21rocsparse_index_base_PKT1_PKT2_PKS4_S4_S5_PS6_PS9_PS4_,comdat
	.globl	_ZN9rocsparseL32bsr2csr_block_per_row_2_7_kernelILj256ELj6E21rocsparse_complex_numIdEiiEEv20rocsparse_direction_T3_S4_21rocsparse_index_base_PKT1_PKT2_PKS4_S4_S5_PS6_PS9_PS4_ ; -- Begin function _ZN9rocsparseL32bsr2csr_block_per_row_2_7_kernelILj256ELj6E21rocsparse_complex_numIdEiiEEv20rocsparse_direction_T3_S4_21rocsparse_index_base_PKT1_PKT2_PKS4_S4_S5_PS6_PS9_PS4_
	.p2align	8
	.type	_ZN9rocsparseL32bsr2csr_block_per_row_2_7_kernelILj256ELj6E21rocsparse_complex_numIdEiiEEv20rocsparse_direction_T3_S4_21rocsparse_index_base_PKT1_PKT2_PKS4_S4_S5_PS6_PS9_PS4_,@function
_ZN9rocsparseL32bsr2csr_block_per_row_2_7_kernelILj256ELj6E21rocsparse_complex_numIdEiiEEv20rocsparse_direction_T3_S4_21rocsparse_index_base_PKT1_PKT2_PKS4_S4_S5_PS6_PS9_PS4_: ; @_ZN9rocsparseL32bsr2csr_block_per_row_2_7_kernelILj256ELj6E21rocsparse_complex_numIdEiiEEv20rocsparse_direction_T3_S4_21rocsparse_index_base_PKT1_PKT2_PKS4_S4_S5_PS6_PS9_PS4_
; %bb.0:
	s_load_dwordx2 s[2:3], s[4:5], 0x18
	s_load_dword s15, s[4:5], 0x2c
	s_load_dwordx2 s[0:1], s[4:5], 0x38
	s_ashr_i32 s7, s6, 31
	s_lshl_b64 s[8:9], s[6:7], 2
	s_waitcnt lgkmcnt(0)
	s_add_u32 s2, s2, s8
	v_or_b32_e32 v1, s6, v0
	s_addc_u32 s3, s3, s9
	v_cmp_eq_u32_e32 vcc, 0, v1
	s_and_saveexec_b64 s[8:9], vcc
	s_cbranch_execz .LBB265_2
; %bb.1:
	v_mov_b32_e32 v1, 0
	v_mov_b32_e32 v2, s15
	global_store_dword v1, v2, s[0:1]
.LBB265_2:
	s_or_b64 exec, exec, s[8:9]
	v_and_b32_e32 v4, 7, v0
	v_cmp_gt_u32_e32 vcc, 6, v4
	s_and_saveexec_b64 s[8:9], vcc
	s_cbranch_execz .LBB265_6
; %bb.3:
	s_load_dwordx2 s[12:13], s[2:3], 0x0
	s_load_dword s14, s[4:5], 0xc
	v_lshrrev_b32_e32 v3, 3, v0
	v_mov_b32_e32 v1, 0
	s_waitcnt lgkmcnt(0)
	s_sub_i32 s2, s12, s14
	s_sub_i32 s13, s13, s14
	;; [unrolled: 1-line block ×3, first 2 shown]
	s_mul_i32 s7, s7, 6
	s_mul_i32 s3, s2, 36
	v_mul_lo_u32 v6, s7, v4
	s_add_i32 s7, s7, s15
	s_add_i32 s7, s7, s3
	s_mul_i32 s3, s6, 6
	v_add3_u32 v0, v4, s3, 1
	v_lshlrev_b64 v[8:9], 2, v[0:1]
	v_mov_b32_e32 v0, s1
	v_add_co_u32_e32 v8, vcc, s0, v8
	v_add_u32_e32 v2, s7, v6
	v_addc_co_u32_e32 v9, vcc, v0, v9, vcc
	global_store_dword v[8:9], v2, off
	v_add_u32_e32 v2, s2, v3
	v_cmp_gt_i32_e32 vcc, s13, v2
	s_and_b64 exec, exec, vcc
	s_cbranch_execz .LBB265_6
; %bb.4:
	s_load_dwordx2 s[2:3], s[4:5], 0x20
	s_load_dwordx2 s[6:7], s[4:5], 0x30
	s_load_dword s0, s[4:5], 0x0
	s_load_dwordx2 s[8:9], s[4:5], 0x10
	s_load_dwordx2 s[10:11], s[4:5], 0x40
	v_mul_u32_u24_e32 v9, 5, v4
	v_mul_u32_u24_e32 v0, 6, v3
	s_waitcnt lgkmcnt(0)
	s_cmp_eq_u32 s0, 0
	v_mad_u64_u32 v[4:5], s[0:1], v2, 36, v[4:5]
	s_mul_i32 s0, s12, 36
	v_add3_u32 v0, v6, s0, v0
	s_mul_i32 s0, s14, 36
	s_cselect_b64 vcc, -1, 0
	v_subrev_u32_e32 v6, s0, v0
	s_mov_b64 s[4:5], 0
	v_mov_b32_e32 v5, s3
	v_mov_b32_e32 v8, s15
	;; [unrolled: 1-line block ×5, first 2 shown]
.LBB265_5:                              ; =>This Inner Loop Header: Depth=1
	v_ashrrev_i32_e32 v3, 31, v2
	v_add_u32_e32 v7, v9, v4
	v_lshlrev_b64 v[14:15], 2, v[2:3]
	v_cndmask_b32_e32 v0, v4, v7, vcc
	v_add_co_u32_e64 v14, s[0:1], s2, v14
	v_add_u32_e32 v13, 6, v4
	v_add_u32_e32 v3, 1, v7
	v_addc_co_u32_e64 v15, s[0:1], v5, v15, s[0:1]
	v_lshlrev_b64 v[16:17], 4, v[0:1]
	v_cndmask_b32_e32 v0, v13, v3, vcc
	v_add_co_u32_e64 v22, s[0:1], s8, v16
	v_add_u32_e32 v18, 12, v4
	v_add_u32_e32 v20, 2, v7
	global_load_dword v3, v[14:15], off
	v_addc_co_u32_e64 v23, s[0:1], v12, v17, s[0:1]
	v_lshlrev_b64 v[14:15], 4, v[0:1]
	v_cndmask_b32_e32 v0, v18, v20, vcc
	v_add_co_u32_e64 v24, s[0:1], s8, v14
	v_add_u32_e32 v19, 18, v4
	v_add_u32_e32 v21, 3, v7
	v_addc_co_u32_e64 v25, s[0:1], v12, v15, s[0:1]
	v_lshlrev_b64 v[26:27], 4, v[0:1]
	v_cndmask_b32_e32 v0, v19, v21, vcc
	v_add_co_u32_e64 v30, s[0:1], s8, v26
	v_add_u32_e32 v28, 24, v4
	v_add_u32_e32 v32, 4, v7
	global_load_dwordx4 v[14:17], v[22:23], off
	global_load_dwordx4 v[18:21], v[24:25], off
	v_addc_co_u32_e64 v31, s[0:1], v12, v27, s[0:1]
	v_lshlrev_b64 v[22:23], 4, v[0:1]
	v_cndmask_b32_e32 v0, v28, v32, vcc
	v_add_co_u32_e64 v32, s[0:1], s8, v22
	v_add_u32_e32 v29, 30, v4
	v_add_u32_e32 v7, 5, v7
	v_addc_co_u32_e64 v33, s[0:1], v12, v23, s[0:1]
	v_lshlrev_b64 v[34:35], 4, v[0:1]
	v_cndmask_b32_e32 v0, v29, v7, vcc
	v_add_co_u32_e64 v38, s[0:1], s8, v34
	global_load_dwordx4 v[22:25], v[30:31], off
	global_load_dwordx4 v[26:29], v[32:33], off
	v_addc_co_u32_e64 v39, s[0:1], v12, v35, s[0:1]
	v_lshlrev_b64 v[30:31], 4, v[0:1]
	v_add_co_u32_e64 v40, s[0:1], s8, v30
	v_addc_co_u32_e64 v41, s[0:1], v12, v31, s[0:1]
	global_load_dwordx4 v[30:33], v[38:39], off
	global_load_dwordx4 v[34:37], v[40:41], off
	v_ashrrev_i32_e32 v7, 31, v6
	v_lshlrev_b64 v[38:39], 2, v[6:7]
	v_add_co_u32_e64 v42, s[0:1], s10, v38
	v_lshlrev_b64 v[40:41], 4, v[6:7]
	v_addc_co_u32_e64 v43, s[0:1], v10, v39, s[0:1]
	v_add_co_u32_e64 v44, s[0:1], s6, v40
	v_add_u32_e32 v2, 32, v2
	v_addc_co_u32_e64 v45, s[0:1], v11, v41, s[0:1]
	v_cmp_le_i32_e64 s[0:1], s13, v2
	v_add_u32_e32 v4, 0x480, v4
	v_add_u32_e32 v6, 0xc0, v6
	s_or_b64 s[4:5], s[0:1], s[4:5]
	s_waitcnt vmcnt(6)
	v_subrev_u32_e32 v0, s14, v3
	v_mad_u64_u32 v[38:39], s[0:1], v0, 6, v[8:9]
	v_add_u32_e32 v39, 1, v38
	v_add_u32_e32 v40, 2, v38
	;; [unrolled: 1-line block ×3, first 2 shown]
	s_waitcnt vmcnt(5)
	global_store_dwordx4 v[44:45], v[14:17], off
	s_waitcnt vmcnt(5)
	global_store_dwordx4 v[44:45], v[18:21], off offset:16
	v_add_u32_e32 v14, 4, v38
	v_add_u32_e32 v15, 5, v38
	s_waitcnt vmcnt(5)
	global_store_dwordx4 v[44:45], v[22:25], off offset:32
	global_store_dwordx4 v[42:43], v[38:41], off
	global_store_dwordx2 v[42:43], v[14:15], off offset:16
	s_waitcnt vmcnt(7)
	global_store_dwordx4 v[44:45], v[26:29], off offset:48
	s_waitcnt vmcnt(7)
	global_store_dwordx4 v[44:45], v[30:33], off offset:64
	;; [unrolled: 2-line block ×3, first 2 shown]
	s_andn2_b64 exec, exec, s[4:5]
	s_cbranch_execnz .LBB265_5
.LBB265_6:
	s_endpgm
	.section	.rodata,"a",@progbits
	.p2align	6, 0x0
	.amdhsa_kernel _ZN9rocsparseL32bsr2csr_block_per_row_2_7_kernelILj256ELj6E21rocsparse_complex_numIdEiiEEv20rocsparse_direction_T3_S4_21rocsparse_index_base_PKT1_PKT2_PKS4_S4_S5_PS6_PS9_PS4_
		.amdhsa_group_segment_fixed_size 0
		.amdhsa_private_segment_fixed_size 0
		.amdhsa_kernarg_size 72
		.amdhsa_user_sgpr_count 6
		.amdhsa_user_sgpr_private_segment_buffer 1
		.amdhsa_user_sgpr_dispatch_ptr 0
		.amdhsa_user_sgpr_queue_ptr 0
		.amdhsa_user_sgpr_kernarg_segment_ptr 1
		.amdhsa_user_sgpr_dispatch_id 0
		.amdhsa_user_sgpr_flat_scratch_init 0
		.amdhsa_user_sgpr_kernarg_preload_length 0
		.amdhsa_user_sgpr_kernarg_preload_offset 0
		.amdhsa_user_sgpr_private_segment_size 0
		.amdhsa_uses_dynamic_stack 0
		.amdhsa_system_sgpr_private_segment_wavefront_offset 0
		.amdhsa_system_sgpr_workgroup_id_x 1
		.amdhsa_system_sgpr_workgroup_id_y 0
		.amdhsa_system_sgpr_workgroup_id_z 0
		.amdhsa_system_sgpr_workgroup_info 0
		.amdhsa_system_vgpr_workitem_id 0
		.amdhsa_next_free_vgpr 46
		.amdhsa_next_free_sgpr 16
		.amdhsa_accum_offset 48
		.amdhsa_reserve_vcc 1
		.amdhsa_reserve_flat_scratch 0
		.amdhsa_float_round_mode_32 0
		.amdhsa_float_round_mode_16_64 0
		.amdhsa_float_denorm_mode_32 3
		.amdhsa_float_denorm_mode_16_64 3
		.amdhsa_dx10_clamp 1
		.amdhsa_ieee_mode 1
		.amdhsa_fp16_overflow 0
		.amdhsa_tg_split 0
		.amdhsa_exception_fp_ieee_invalid_op 0
		.amdhsa_exception_fp_denorm_src 0
		.amdhsa_exception_fp_ieee_div_zero 0
		.amdhsa_exception_fp_ieee_overflow 0
		.amdhsa_exception_fp_ieee_underflow 0
		.amdhsa_exception_fp_ieee_inexact 0
		.amdhsa_exception_int_div_zero 0
	.end_amdhsa_kernel
	.section	.text._ZN9rocsparseL32bsr2csr_block_per_row_2_7_kernelILj256ELj6E21rocsparse_complex_numIdEiiEEv20rocsparse_direction_T3_S4_21rocsparse_index_base_PKT1_PKT2_PKS4_S4_S5_PS6_PS9_PS4_,"axG",@progbits,_ZN9rocsparseL32bsr2csr_block_per_row_2_7_kernelILj256ELj6E21rocsparse_complex_numIdEiiEEv20rocsparse_direction_T3_S4_21rocsparse_index_base_PKT1_PKT2_PKS4_S4_S5_PS6_PS9_PS4_,comdat
.Lfunc_end265:
	.size	_ZN9rocsparseL32bsr2csr_block_per_row_2_7_kernelILj256ELj6E21rocsparse_complex_numIdEiiEEv20rocsparse_direction_T3_S4_21rocsparse_index_base_PKT1_PKT2_PKS4_S4_S5_PS6_PS9_PS4_, .Lfunc_end265-_ZN9rocsparseL32bsr2csr_block_per_row_2_7_kernelILj256ELj6E21rocsparse_complex_numIdEiiEEv20rocsparse_direction_T3_S4_21rocsparse_index_base_PKT1_PKT2_PKS4_S4_S5_PS6_PS9_PS4_
                                        ; -- End function
	.section	.AMDGPU.csdata,"",@progbits
; Kernel info:
; codeLenInByte = 848
; NumSgprs: 20
; NumVgprs: 46
; NumAgprs: 0
; TotalNumVgprs: 46
; ScratchSize: 0
; MemoryBound: 0
; FloatMode: 240
; IeeeMode: 1
; LDSByteSize: 0 bytes/workgroup (compile time only)
; SGPRBlocks: 2
; VGPRBlocks: 5
; NumSGPRsForWavesPerEU: 20
; NumVGPRsForWavesPerEU: 46
; AccumOffset: 48
; Occupancy: 8
; WaveLimiterHint : 0
; COMPUTE_PGM_RSRC2:SCRATCH_EN: 0
; COMPUTE_PGM_RSRC2:USER_SGPR: 6
; COMPUTE_PGM_RSRC2:TRAP_HANDLER: 0
; COMPUTE_PGM_RSRC2:TGID_X_EN: 1
; COMPUTE_PGM_RSRC2:TGID_Y_EN: 0
; COMPUTE_PGM_RSRC2:TGID_Z_EN: 0
; COMPUTE_PGM_RSRC2:TIDIG_COMP_CNT: 0
; COMPUTE_PGM_RSRC3_GFX90A:ACCUM_OFFSET: 11
; COMPUTE_PGM_RSRC3_GFX90A:TG_SPLIT: 0
	.section	.text._ZN9rocsparseL32bsr2csr_block_per_row_2_7_kernelILj256ELj7E21rocsparse_complex_numIdEiiEEv20rocsparse_direction_T3_S4_21rocsparse_index_base_PKT1_PKT2_PKS4_S4_S5_PS6_PS9_PS4_,"axG",@progbits,_ZN9rocsparseL32bsr2csr_block_per_row_2_7_kernelILj256ELj7E21rocsparse_complex_numIdEiiEEv20rocsparse_direction_T3_S4_21rocsparse_index_base_PKT1_PKT2_PKS4_S4_S5_PS6_PS9_PS4_,comdat
	.globl	_ZN9rocsparseL32bsr2csr_block_per_row_2_7_kernelILj256ELj7E21rocsparse_complex_numIdEiiEEv20rocsparse_direction_T3_S4_21rocsparse_index_base_PKT1_PKT2_PKS4_S4_S5_PS6_PS9_PS4_ ; -- Begin function _ZN9rocsparseL32bsr2csr_block_per_row_2_7_kernelILj256ELj7E21rocsparse_complex_numIdEiiEEv20rocsparse_direction_T3_S4_21rocsparse_index_base_PKT1_PKT2_PKS4_S4_S5_PS6_PS9_PS4_
	.p2align	8
	.type	_ZN9rocsparseL32bsr2csr_block_per_row_2_7_kernelILj256ELj7E21rocsparse_complex_numIdEiiEEv20rocsparse_direction_T3_S4_21rocsparse_index_base_PKT1_PKT2_PKS4_S4_S5_PS6_PS9_PS4_,@function
_ZN9rocsparseL32bsr2csr_block_per_row_2_7_kernelILj256ELj7E21rocsparse_complex_numIdEiiEEv20rocsparse_direction_T3_S4_21rocsparse_index_base_PKT1_PKT2_PKS4_S4_S5_PS6_PS9_PS4_: ; @_ZN9rocsparseL32bsr2csr_block_per_row_2_7_kernelILj256ELj7E21rocsparse_complex_numIdEiiEEv20rocsparse_direction_T3_S4_21rocsparse_index_base_PKT1_PKT2_PKS4_S4_S5_PS6_PS9_PS4_
; %bb.0:
	s_load_dwordx2 s[2:3], s[4:5], 0x18
	s_load_dword s15, s[4:5], 0x2c
	s_load_dwordx2 s[0:1], s[4:5], 0x38
	s_ashr_i32 s7, s6, 31
	s_lshl_b64 s[8:9], s[6:7], 2
	s_waitcnt lgkmcnt(0)
	s_add_u32 s2, s2, s8
	v_or_b32_e32 v1, s6, v0
	s_addc_u32 s3, s3, s9
	v_cmp_eq_u32_e32 vcc, 0, v1
	s_and_saveexec_b64 s[8:9], vcc
	s_cbranch_execz .LBB266_2
; %bb.1:
	v_mov_b32_e32 v1, 0
	v_mov_b32_e32 v2, s15
	global_store_dword v1, v2, s[0:1]
.LBB266_2:
	s_or_b64 exec, exec, s[8:9]
	v_and_b32_e32 v4, 7, v0
	v_cmp_ne_u32_e32 vcc, 7, v4
	s_and_saveexec_b64 s[8:9], vcc
	s_cbranch_execz .LBB266_6
; %bb.3:
	s_load_dwordx2 s[12:13], s[2:3], 0x0
	s_load_dword s14, s[4:5], 0xc
	v_lshrrev_b32_e32 v3, 3, v0
	v_mov_b32_e32 v1, 0
	s_waitcnt lgkmcnt(0)
	s_sub_i32 s2, s12, s14
	s_sub_i32 s13, s13, s14
	;; [unrolled: 1-line block ×3, first 2 shown]
	s_mul_i32 s7, s7, 7
	s_mul_i32 s3, s2, 49
	v_mul_lo_u32 v6, s7, v4
	s_add_i32 s7, s7, s15
	s_add_i32 s7, s7, s3
	s_mul_i32 s3, s6, 7
	v_add3_u32 v0, v4, s3, 1
	v_lshlrev_b64 v[8:9], 2, v[0:1]
	v_mov_b32_e32 v0, s1
	v_add_co_u32_e32 v8, vcc, s0, v8
	v_add_u32_e32 v2, s7, v6
	v_addc_co_u32_e32 v9, vcc, v0, v9, vcc
	global_store_dword v[8:9], v2, off
	v_add_u32_e32 v2, s2, v3
	v_cmp_gt_i32_e32 vcc, s13, v2
	s_and_b64 exec, exec, vcc
	s_cbranch_execz .LBB266_6
; %bb.4:
	s_load_dwordx2 s[2:3], s[4:5], 0x20
	s_load_dwordx2 s[6:7], s[4:5], 0x30
	s_load_dword s0, s[4:5], 0x0
	s_load_dwordx2 s[8:9], s[4:5], 0x10
	s_load_dwordx2 s[10:11], s[4:5], 0x40
	v_mul_u32_u24_e32 v9, 6, v4
	v_mul_u32_u24_e32 v0, 7, v3
	s_waitcnt lgkmcnt(0)
	s_cmp_eq_u32 s0, 0
	v_mad_u64_u32 v[4:5], s[0:1], v2, 49, v[4:5]
	s_mul_i32 s0, s12, 49
	v_add3_u32 v0, v6, s0, v0
	s_mul_i32 s0, s14, 49
	s_cselect_b64 vcc, -1, 0
	v_subrev_u32_e32 v6, s0, v0
	s_mov_b64 s[4:5], 0
	v_mov_b32_e32 v5, s3
	v_mov_b32_e32 v8, s15
	;; [unrolled: 1-line block ×5, first 2 shown]
.LBB266_5:                              ; =>This Inner Loop Header: Depth=1
	v_ashrrev_i32_e32 v3, 31, v2
	v_add_u32_e32 v7, v9, v4
	v_lshlrev_b64 v[14:15], 2, v[2:3]
	v_cndmask_b32_e32 v0, v4, v7, vcc
	v_add_co_u32_e64 v14, s[0:1], s2, v14
	v_add_u32_e32 v13, 7, v4
	v_add_u32_e32 v3, 1, v7
	v_addc_co_u32_e64 v15, s[0:1], v5, v15, s[0:1]
	v_lshlrev_b64 v[16:17], 4, v[0:1]
	v_cndmask_b32_e32 v0, v13, v3, vcc
	v_add_co_u32_e64 v22, s[0:1], s8, v16
	v_add_u32_e32 v18, 14, v4
	v_add_u32_e32 v20, 2, v7
	global_load_dword v3, v[14:15], off
	v_addc_co_u32_e64 v23, s[0:1], v12, v17, s[0:1]
	v_lshlrev_b64 v[14:15], 4, v[0:1]
	v_cndmask_b32_e32 v0, v18, v20, vcc
	v_add_co_u32_e64 v24, s[0:1], s8, v14
	v_add_u32_e32 v19, 21, v4
	v_add_u32_e32 v21, 3, v7
	v_addc_co_u32_e64 v25, s[0:1], v12, v15, s[0:1]
	v_lshlrev_b64 v[26:27], 4, v[0:1]
	v_cndmask_b32_e32 v0, v19, v21, vcc
	v_add_co_u32_e64 v30, s[0:1], s8, v26
	v_add_u32_e32 v28, 28, v4
	v_add_u32_e32 v32, 4, v7
	global_load_dwordx4 v[14:17], v[22:23], off
	global_load_dwordx4 v[18:21], v[24:25], off
	v_addc_co_u32_e64 v31, s[0:1], v12, v27, s[0:1]
	v_lshlrev_b64 v[22:23], 4, v[0:1]
	v_cndmask_b32_e32 v0, v28, v32, vcc
	v_add_co_u32_e64 v32, s[0:1], s8, v22
	v_add_u32_e32 v29, 35, v4
	v_add_u32_e32 v37, 5, v7
	v_addc_co_u32_e64 v33, s[0:1], v12, v23, s[0:1]
	v_lshlrev_b64 v[34:35], 4, v[0:1]
	v_cndmask_b32_e32 v0, v29, v37, vcc
	v_add_co_u32_e64 v38, s[0:1], s8, v34
	global_load_dwordx4 v[22:25], v[30:31], off
	global_load_dwordx4 v[26:29], v[32:33], off
	v_addc_co_u32_e64 v39, s[0:1], v12, v35, s[0:1]
	v_lshlrev_b64 v[30:31], 4, v[0:1]
	v_add_u32_e32 v36, 42, v4
	v_add_u32_e32 v7, 6, v7
	v_add_co_u32_e64 v40, s[0:1], s8, v30
	v_cndmask_b32_e32 v0, v36, v7, vcc
	v_addc_co_u32_e64 v41, s[0:1], v12, v31, s[0:1]
	global_load_dwordx4 v[30:33], v[38:39], off
	global_load_dwordx4 v[34:37], v[40:41], off
	v_lshlrev_b64 v[42:43], 4, v[0:1]
	v_add_co_u32_e64 v38, s[0:1], s8, v42
	v_addc_co_u32_e64 v39, s[0:1], v12, v43, s[0:1]
	global_load_dwordx4 v[38:41], v[38:39], off
	v_ashrrev_i32_e32 v7, 31, v6
	v_lshlrev_b64 v[42:43], 2, v[6:7]
	v_add_co_u32_e64 v46, s[0:1], s10, v42
	v_lshlrev_b64 v[44:45], 4, v[6:7]
	v_addc_co_u32_e64 v47, s[0:1], v10, v43, s[0:1]
	v_add_co_u32_e64 v48, s[0:1], s6, v44
	v_add_u32_e32 v2, 32, v2
	v_addc_co_u32_e64 v49, s[0:1], v11, v45, s[0:1]
	v_cmp_le_i32_e64 s[0:1], s13, v2
	v_add_u32_e32 v4, 0x620, v4
	v_add_u32_e32 v6, 0xe0, v6
	s_or_b64 s[4:5], s[0:1], s[4:5]
	s_waitcnt vmcnt(7)
	v_subrev_u32_e32 v0, s14, v3
	v_mad_u64_u32 v[42:43], s[0:1], v0, 7, v[8:9]
	v_add_u32_e32 v43, 1, v42
	v_add_u32_e32 v44, 2, v42
	;; [unrolled: 1-line block ×3, first 2 shown]
	s_waitcnt vmcnt(6)
	global_store_dwordx4 v[48:49], v[14:17], off
	s_waitcnt vmcnt(6)
	global_store_dwordx4 v[48:49], v[18:21], off offset:16
	v_add_u32_e32 v14, 4, v42
	v_add_u32_e32 v15, 5, v42
	;; [unrolled: 1-line block ×3, first 2 shown]
	s_waitcnt vmcnt(6)
	global_store_dwordx4 v[48:49], v[22:25], off offset:32
	global_store_dwordx4 v[46:47], v[42:45], off
	global_store_dwordx3 v[46:47], v[14:16], off offset:16
	s_waitcnt vmcnt(8)
	global_store_dwordx4 v[48:49], v[26:29], off offset:48
	s_waitcnt vmcnt(8)
	global_store_dwordx4 v[48:49], v[30:33], off offset:64
	;; [unrolled: 2-line block ×4, first 2 shown]
	s_andn2_b64 exec, exec, s[4:5]
	s_cbranch_execnz .LBB266_5
.LBB266_6:
	s_endpgm
	.section	.rodata,"a",@progbits
	.p2align	6, 0x0
	.amdhsa_kernel _ZN9rocsparseL32bsr2csr_block_per_row_2_7_kernelILj256ELj7E21rocsparse_complex_numIdEiiEEv20rocsparse_direction_T3_S4_21rocsparse_index_base_PKT1_PKT2_PKS4_S4_S5_PS6_PS9_PS4_
		.amdhsa_group_segment_fixed_size 0
		.amdhsa_private_segment_fixed_size 0
		.amdhsa_kernarg_size 72
		.amdhsa_user_sgpr_count 6
		.amdhsa_user_sgpr_private_segment_buffer 1
		.amdhsa_user_sgpr_dispatch_ptr 0
		.amdhsa_user_sgpr_queue_ptr 0
		.amdhsa_user_sgpr_kernarg_segment_ptr 1
		.amdhsa_user_sgpr_dispatch_id 0
		.amdhsa_user_sgpr_flat_scratch_init 0
		.amdhsa_user_sgpr_kernarg_preload_length 0
		.amdhsa_user_sgpr_kernarg_preload_offset 0
		.amdhsa_user_sgpr_private_segment_size 0
		.amdhsa_uses_dynamic_stack 0
		.amdhsa_system_sgpr_private_segment_wavefront_offset 0
		.amdhsa_system_sgpr_workgroup_id_x 1
		.amdhsa_system_sgpr_workgroup_id_y 0
		.amdhsa_system_sgpr_workgroup_id_z 0
		.amdhsa_system_sgpr_workgroup_info 0
		.amdhsa_system_vgpr_workitem_id 0
		.amdhsa_next_free_vgpr 50
		.amdhsa_next_free_sgpr 16
		.amdhsa_accum_offset 52
		.amdhsa_reserve_vcc 1
		.amdhsa_reserve_flat_scratch 0
		.amdhsa_float_round_mode_32 0
		.amdhsa_float_round_mode_16_64 0
		.amdhsa_float_denorm_mode_32 3
		.amdhsa_float_denorm_mode_16_64 3
		.amdhsa_dx10_clamp 1
		.amdhsa_ieee_mode 1
		.amdhsa_fp16_overflow 0
		.amdhsa_tg_split 0
		.amdhsa_exception_fp_ieee_invalid_op 0
		.amdhsa_exception_fp_denorm_src 0
		.amdhsa_exception_fp_ieee_div_zero 0
		.amdhsa_exception_fp_ieee_overflow 0
		.amdhsa_exception_fp_ieee_underflow 0
		.amdhsa_exception_fp_ieee_inexact 0
		.amdhsa_exception_int_div_zero 0
	.end_amdhsa_kernel
	.section	.text._ZN9rocsparseL32bsr2csr_block_per_row_2_7_kernelILj256ELj7E21rocsparse_complex_numIdEiiEEv20rocsparse_direction_T3_S4_21rocsparse_index_base_PKT1_PKT2_PKS4_S4_S5_PS6_PS9_PS4_,"axG",@progbits,_ZN9rocsparseL32bsr2csr_block_per_row_2_7_kernelILj256ELj7E21rocsparse_complex_numIdEiiEEv20rocsparse_direction_T3_S4_21rocsparse_index_base_PKT1_PKT2_PKS4_S4_S5_PS6_PS9_PS4_,comdat
.Lfunc_end266:
	.size	_ZN9rocsparseL32bsr2csr_block_per_row_2_7_kernelILj256ELj7E21rocsparse_complex_numIdEiiEEv20rocsparse_direction_T3_S4_21rocsparse_index_base_PKT1_PKT2_PKS4_S4_S5_PS6_PS9_PS4_, .Lfunc_end266-_ZN9rocsparseL32bsr2csr_block_per_row_2_7_kernelILj256ELj7E21rocsparse_complex_numIdEiiEEv20rocsparse_direction_T3_S4_21rocsparse_index_base_PKT1_PKT2_PKS4_S4_S5_PS6_PS9_PS4_
                                        ; -- End function
	.section	.AMDGPU.csdata,"",@progbits
; Kernel info:
; codeLenInByte = 908
; NumSgprs: 20
; NumVgprs: 50
; NumAgprs: 0
; TotalNumVgprs: 50
; ScratchSize: 0
; MemoryBound: 0
; FloatMode: 240
; IeeeMode: 1
; LDSByteSize: 0 bytes/workgroup (compile time only)
; SGPRBlocks: 2
; VGPRBlocks: 6
; NumSGPRsForWavesPerEU: 20
; NumVGPRsForWavesPerEU: 50
; AccumOffset: 52
; Occupancy: 8
; WaveLimiterHint : 0
; COMPUTE_PGM_RSRC2:SCRATCH_EN: 0
; COMPUTE_PGM_RSRC2:USER_SGPR: 6
; COMPUTE_PGM_RSRC2:TRAP_HANDLER: 0
; COMPUTE_PGM_RSRC2:TGID_X_EN: 1
; COMPUTE_PGM_RSRC2:TGID_Y_EN: 0
; COMPUTE_PGM_RSRC2:TGID_Z_EN: 0
; COMPUTE_PGM_RSRC2:TIDIG_COMP_CNT: 0
; COMPUTE_PGM_RSRC3_GFX90A:ACCUM_OFFSET: 12
; COMPUTE_PGM_RSRC3_GFX90A:TG_SPLIT: 0
	.section	.text._ZN9rocsparseL33bsr2csr_block_per_row_8_32_kernelILj1024ELj8E21rocsparse_complex_numIdEiiEEv20rocsparse_direction_T3_S4_21rocsparse_index_base_PKT1_PKT2_PKS4_S4_S5_PS6_PS9_PS4_,"axG",@progbits,_ZN9rocsparseL33bsr2csr_block_per_row_8_32_kernelILj1024ELj8E21rocsparse_complex_numIdEiiEEv20rocsparse_direction_T3_S4_21rocsparse_index_base_PKT1_PKT2_PKS4_S4_S5_PS6_PS9_PS4_,comdat
	.globl	_ZN9rocsparseL33bsr2csr_block_per_row_8_32_kernelILj1024ELj8E21rocsparse_complex_numIdEiiEEv20rocsparse_direction_T3_S4_21rocsparse_index_base_PKT1_PKT2_PKS4_S4_S5_PS6_PS9_PS4_ ; -- Begin function _ZN9rocsparseL33bsr2csr_block_per_row_8_32_kernelILj1024ELj8E21rocsparse_complex_numIdEiiEEv20rocsparse_direction_T3_S4_21rocsparse_index_base_PKT1_PKT2_PKS4_S4_S5_PS6_PS9_PS4_
	.p2align	8
	.type	_ZN9rocsparseL33bsr2csr_block_per_row_8_32_kernelILj1024ELj8E21rocsparse_complex_numIdEiiEEv20rocsparse_direction_T3_S4_21rocsparse_index_base_PKT1_PKT2_PKS4_S4_S5_PS6_PS9_PS4_,@function
_ZN9rocsparseL33bsr2csr_block_per_row_8_32_kernelILj1024ELj8E21rocsparse_complex_numIdEiiEEv20rocsparse_direction_T3_S4_21rocsparse_index_base_PKT1_PKT2_PKS4_S4_S5_PS6_PS9_PS4_: ; @_ZN9rocsparseL33bsr2csr_block_per_row_8_32_kernelILj1024ELj8E21rocsparse_complex_numIdEiiEEv20rocsparse_direction_T3_S4_21rocsparse_index_base_PKT1_PKT2_PKS4_S4_S5_PS6_PS9_PS4_
; %bb.0:
	s_load_dwordx2 s[8:9], s[4:5], 0x18
	s_load_dwordx2 s[0:1], s[4:5], 0x28
	;; [unrolled: 1-line block ×3, first 2 shown]
	s_ashr_i32 s7, s6, 31
	s_lshl_b64 s[10:11], s[6:7], 2
	s_waitcnt lgkmcnt(0)
	s_add_u32 s8, s8, s10
	v_or_b32_e32 v1, s6, v0
	s_addc_u32 s9, s9, s11
	v_cmp_eq_u32_e32 vcc, 0, v1
	s_and_saveexec_b64 s[10:11], vcc
	s_cbranch_execz .LBB267_2
; %bb.1:
	v_mov_b32_e32 v1, 0
	v_mov_b32_e32 v2, s1
	global_store_dword v1, v2, s[2:3]
.LBB267_2:
	s_or_b64 exec, exec, s[10:11]
	v_and_b32_e32 v6, 7, v0
	v_bfe_u32 v8, v0, 3, 3
	v_max_i32_e32 v1, v8, v6
	v_cmp_gt_i32_e32 vcc, s0, v1
	s_and_saveexec_b64 s[10:11], vcc
	s_cbranch_execz .LBB267_6
; %bb.3:
	s_load_dwordx2 s[10:11], s[8:9], 0x0
	s_load_dword s12, s[4:5], 0xc
	s_mul_i32 s6, s6, s0
	v_add_u32_e32 v2, s6, v8
	s_mul_i32 s15, s0, s0
	v_ashrrev_i32_e32 v3, 31, v2
	s_waitcnt lgkmcnt(0)
	s_sub_i32 s14, s10, s12
	s_sub_i32 s13, s11, s12
	;; [unrolled: 1-line block ×3, first 2 shown]
	s_mul_i32 s8, s16, s0
	v_lshrrev_b32_e32 v1, 6, v0
	s_mul_i32 s7, s14, s15
	v_mul_lo_u32 v0, s8, v8
	s_add_i32 s8, s8, s1
	v_lshlrev_b64 v[2:3], 2, v[2:3]
	s_add_i32 s8, s8, s7
	v_mov_b32_e32 v4, s3
	v_add_co_u32_e32 v2, vcc, s2, v2
	v_add_u32_e32 v0, s8, v0
	v_addc_co_u32_e32 v3, vcc, v4, v3, vcc
	global_store_dword v[2:3], v0, off offset:4
	v_add_u32_e32 v0, s14, v1
	v_cmp_gt_i32_e32 vcc, s13, v0
	s_and_b64 exec, exec, vcc
	s_cbranch_execz .LBB267_6
; %bb.4:
	s_load_dwordx2 s[2:3], s[4:5], 0x20
	s_load_dwordx2 s[6:7], s[4:5], 0x30
	s_load_dword s17, s[4:5], 0x0
	s_load_dwordx2 s[8:9], s[4:5], 0x10
	s_load_dwordx2 s[10:11], s[4:5], 0x40
	v_mad_u64_u32 v[4:5], s[4:5], v6, s0, v[8:9]
	s_waitcnt lgkmcnt(0)
	s_cmp_eq_u32 s17, 0
	v_mad_u64_u32 v[10:11], s[4:5], v8, s0, v[6:7]
	s_cselect_b64 vcc, -1, 0
	v_cndmask_b32_e32 v4, v4, v10, vcc
	v_mad_u64_u32 v[4:5], s[4:5], s15, v0, v[4:5]
	s_mul_i32 s4, s0, s14
	v_mul_lo_u32 v3, s16, v8
	v_add3_u32 v1, v1, s4, v3
	v_add_u32_e32 v2, s1, v6
	v_mad_u64_u32 v[6:7], s[4:5], s0, v1, v[6:7]
	s_lshl_b32 s1, s15, 4
	s_lshl_b32 s14, s0, 4
	s_mov_b64 s[4:5], 0
	v_mov_b32_e32 v3, s3
	v_mov_b32_e32 v8, s11
	;; [unrolled: 1-line block ×4, first 2 shown]
.LBB267_5:                              ; =>This Inner Loop Header: Depth=1
	v_ashrrev_i32_e32 v1, 31, v0
	v_lshlrev_b64 v[12:13], 2, v[0:1]
	v_add_co_u32_e32 v12, vcc, s2, v12
	v_addc_co_u32_e32 v13, vcc, v3, v13, vcc
	v_ashrrev_i32_e32 v5, 31, v4
	global_load_dword v1, v[12:13], off
	v_lshlrev_b64 v[12:13], 4, v[4:5]
	v_add_co_u32_e32 v12, vcc, s8, v12
	v_addc_co_u32_e32 v13, vcc, v10, v13, vcc
	global_load_dwordx4 v[12:15], v[12:13], off
	v_ashrrev_i32_e32 v7, 31, v6
	v_lshlrev_b64 v[16:17], 2, v[6:7]
	v_add_co_u32_e32 v16, vcc, s10, v16
	v_lshlrev_b64 v[18:19], 4, v[6:7]
	v_addc_co_u32_e32 v17, vcc, v8, v17, vcc
	v_add_co_u32_e32 v18, vcc, s6, v18
	v_add_u32_e32 v0, 16, v0
	v_addc_co_u32_e32 v19, vcc, v9, v19, vcc
	v_cmp_le_i32_e32 vcc, s13, v0
	v_add_u32_e32 v4, s1, v4
	s_or_b64 s[4:5], vcc, s[4:5]
	v_add_u32_e32 v6, s14, v6
	s_waitcnt vmcnt(1)
	v_subrev_u32_e32 v1, s12, v1
	s_waitcnt vmcnt(0)
	global_store_dwordx4 v[18:19], v[12:15], off
	s_nop 0
	v_mad_u64_u32 v[12:13], s[16:17], v1, s0, v[2:3]
	global_store_dword v[16:17], v12, off
	s_andn2_b64 exec, exec, s[4:5]
	s_cbranch_execnz .LBB267_5
.LBB267_6:
	s_endpgm
	.section	.rodata,"a",@progbits
	.p2align	6, 0x0
	.amdhsa_kernel _ZN9rocsparseL33bsr2csr_block_per_row_8_32_kernelILj1024ELj8E21rocsparse_complex_numIdEiiEEv20rocsparse_direction_T3_S4_21rocsparse_index_base_PKT1_PKT2_PKS4_S4_S5_PS6_PS9_PS4_
		.amdhsa_group_segment_fixed_size 0
		.amdhsa_private_segment_fixed_size 0
		.amdhsa_kernarg_size 72
		.amdhsa_user_sgpr_count 6
		.amdhsa_user_sgpr_private_segment_buffer 1
		.amdhsa_user_sgpr_dispatch_ptr 0
		.amdhsa_user_sgpr_queue_ptr 0
		.amdhsa_user_sgpr_kernarg_segment_ptr 1
		.amdhsa_user_sgpr_dispatch_id 0
		.amdhsa_user_sgpr_flat_scratch_init 0
		.amdhsa_user_sgpr_kernarg_preload_length 0
		.amdhsa_user_sgpr_kernarg_preload_offset 0
		.amdhsa_user_sgpr_private_segment_size 0
		.amdhsa_uses_dynamic_stack 0
		.amdhsa_system_sgpr_private_segment_wavefront_offset 0
		.amdhsa_system_sgpr_workgroup_id_x 1
		.amdhsa_system_sgpr_workgroup_id_y 0
		.amdhsa_system_sgpr_workgroup_id_z 0
		.amdhsa_system_sgpr_workgroup_info 0
		.amdhsa_system_vgpr_workitem_id 0
		.amdhsa_next_free_vgpr 20
		.amdhsa_next_free_sgpr 18
		.amdhsa_accum_offset 20
		.amdhsa_reserve_vcc 1
		.amdhsa_reserve_flat_scratch 0
		.amdhsa_float_round_mode_32 0
		.amdhsa_float_round_mode_16_64 0
		.amdhsa_float_denorm_mode_32 3
		.amdhsa_float_denorm_mode_16_64 3
		.amdhsa_dx10_clamp 1
		.amdhsa_ieee_mode 1
		.amdhsa_fp16_overflow 0
		.amdhsa_tg_split 0
		.amdhsa_exception_fp_ieee_invalid_op 0
		.amdhsa_exception_fp_denorm_src 0
		.amdhsa_exception_fp_ieee_div_zero 0
		.amdhsa_exception_fp_ieee_overflow 0
		.amdhsa_exception_fp_ieee_underflow 0
		.amdhsa_exception_fp_ieee_inexact 0
		.amdhsa_exception_int_div_zero 0
	.end_amdhsa_kernel
	.section	.text._ZN9rocsparseL33bsr2csr_block_per_row_8_32_kernelILj1024ELj8E21rocsparse_complex_numIdEiiEEv20rocsparse_direction_T3_S4_21rocsparse_index_base_PKT1_PKT2_PKS4_S4_S5_PS6_PS9_PS4_,"axG",@progbits,_ZN9rocsparseL33bsr2csr_block_per_row_8_32_kernelILj1024ELj8E21rocsparse_complex_numIdEiiEEv20rocsparse_direction_T3_S4_21rocsparse_index_base_PKT1_PKT2_PKS4_S4_S5_PS6_PS9_PS4_,comdat
.Lfunc_end267:
	.size	_ZN9rocsparseL33bsr2csr_block_per_row_8_32_kernelILj1024ELj8E21rocsparse_complex_numIdEiiEEv20rocsparse_direction_T3_S4_21rocsparse_index_base_PKT1_PKT2_PKS4_S4_S5_PS6_PS9_PS4_, .Lfunc_end267-_ZN9rocsparseL33bsr2csr_block_per_row_8_32_kernelILj1024ELj8E21rocsparse_complex_numIdEiiEEv20rocsparse_direction_T3_S4_21rocsparse_index_base_PKT1_PKT2_PKS4_S4_S5_PS6_PS9_PS4_
                                        ; -- End function
	.section	.AMDGPU.csdata,"",@progbits
; Kernel info:
; codeLenInByte = 536
; NumSgprs: 22
; NumVgprs: 20
; NumAgprs: 0
; TotalNumVgprs: 20
; ScratchSize: 0
; MemoryBound: 0
; FloatMode: 240
; IeeeMode: 1
; LDSByteSize: 0 bytes/workgroup (compile time only)
; SGPRBlocks: 2
; VGPRBlocks: 2
; NumSGPRsForWavesPerEU: 22
; NumVGPRsForWavesPerEU: 20
; AccumOffset: 20
; Occupancy: 8
; WaveLimiterHint : 0
; COMPUTE_PGM_RSRC2:SCRATCH_EN: 0
; COMPUTE_PGM_RSRC2:USER_SGPR: 6
; COMPUTE_PGM_RSRC2:TRAP_HANDLER: 0
; COMPUTE_PGM_RSRC2:TGID_X_EN: 1
; COMPUTE_PGM_RSRC2:TGID_Y_EN: 0
; COMPUTE_PGM_RSRC2:TGID_Z_EN: 0
; COMPUTE_PGM_RSRC2:TIDIG_COMP_CNT: 0
; COMPUTE_PGM_RSRC3_GFX90A:ACCUM_OFFSET: 4
; COMPUTE_PGM_RSRC3_GFX90A:TG_SPLIT: 0
	.section	.text._ZN9rocsparseL33bsr2csr_block_per_row_8_32_kernelILj1024ELj16E21rocsparse_complex_numIdEiiEEv20rocsparse_direction_T3_S4_21rocsparse_index_base_PKT1_PKT2_PKS4_S4_S5_PS6_PS9_PS4_,"axG",@progbits,_ZN9rocsparseL33bsr2csr_block_per_row_8_32_kernelILj1024ELj16E21rocsparse_complex_numIdEiiEEv20rocsparse_direction_T3_S4_21rocsparse_index_base_PKT1_PKT2_PKS4_S4_S5_PS6_PS9_PS4_,comdat
	.globl	_ZN9rocsparseL33bsr2csr_block_per_row_8_32_kernelILj1024ELj16E21rocsparse_complex_numIdEiiEEv20rocsparse_direction_T3_S4_21rocsparse_index_base_PKT1_PKT2_PKS4_S4_S5_PS6_PS9_PS4_ ; -- Begin function _ZN9rocsparseL33bsr2csr_block_per_row_8_32_kernelILj1024ELj16E21rocsparse_complex_numIdEiiEEv20rocsparse_direction_T3_S4_21rocsparse_index_base_PKT1_PKT2_PKS4_S4_S5_PS6_PS9_PS4_
	.p2align	8
	.type	_ZN9rocsparseL33bsr2csr_block_per_row_8_32_kernelILj1024ELj16E21rocsparse_complex_numIdEiiEEv20rocsparse_direction_T3_S4_21rocsparse_index_base_PKT1_PKT2_PKS4_S4_S5_PS6_PS9_PS4_,@function
_ZN9rocsparseL33bsr2csr_block_per_row_8_32_kernelILj1024ELj16E21rocsparse_complex_numIdEiiEEv20rocsparse_direction_T3_S4_21rocsparse_index_base_PKT1_PKT2_PKS4_S4_S5_PS6_PS9_PS4_: ; @_ZN9rocsparseL33bsr2csr_block_per_row_8_32_kernelILj1024ELj16E21rocsparse_complex_numIdEiiEEv20rocsparse_direction_T3_S4_21rocsparse_index_base_PKT1_PKT2_PKS4_S4_S5_PS6_PS9_PS4_
; %bb.0:
	s_load_dwordx2 s[8:9], s[4:5], 0x18
	s_load_dwordx2 s[0:1], s[4:5], 0x28
	;; [unrolled: 1-line block ×3, first 2 shown]
	s_ashr_i32 s7, s6, 31
	s_lshl_b64 s[10:11], s[6:7], 2
	s_waitcnt lgkmcnt(0)
	s_add_u32 s8, s8, s10
	v_or_b32_e32 v1, s6, v0
	s_addc_u32 s9, s9, s11
	v_cmp_eq_u32_e32 vcc, 0, v1
	s_and_saveexec_b64 s[10:11], vcc
	s_cbranch_execz .LBB268_2
; %bb.1:
	v_mov_b32_e32 v1, 0
	v_mov_b32_e32 v2, s1
	global_store_dword v1, v2, s[2:3]
.LBB268_2:
	s_or_b64 exec, exec, s[10:11]
	v_and_b32_e32 v6, 15, v0
	v_bfe_u32 v8, v0, 4, 4
	v_max_i32_e32 v1, v8, v6
	v_cmp_gt_i32_e32 vcc, s0, v1
	s_and_saveexec_b64 s[10:11], vcc
	s_cbranch_execz .LBB268_6
; %bb.3:
	s_load_dwordx2 s[10:11], s[8:9], 0x0
	s_load_dword s12, s[4:5], 0xc
	s_mul_i32 s6, s6, s0
	v_add_u32_e32 v2, s6, v8
	s_mul_i32 s15, s0, s0
	v_ashrrev_i32_e32 v3, 31, v2
	s_waitcnt lgkmcnt(0)
	s_sub_i32 s14, s10, s12
	s_sub_i32 s13, s11, s12
	;; [unrolled: 1-line block ×3, first 2 shown]
	s_mul_i32 s8, s16, s0
	v_lshrrev_b32_e32 v1, 8, v0
	s_mul_i32 s7, s14, s15
	v_mul_lo_u32 v0, s8, v8
	s_add_i32 s8, s8, s1
	v_lshlrev_b64 v[2:3], 2, v[2:3]
	s_add_i32 s8, s8, s7
	v_mov_b32_e32 v4, s3
	v_add_co_u32_e32 v2, vcc, s2, v2
	v_add_u32_e32 v0, s8, v0
	v_addc_co_u32_e32 v3, vcc, v4, v3, vcc
	global_store_dword v[2:3], v0, off offset:4
	v_add_u32_e32 v0, s14, v1
	v_cmp_gt_i32_e32 vcc, s13, v0
	s_and_b64 exec, exec, vcc
	s_cbranch_execz .LBB268_6
; %bb.4:
	s_load_dwordx2 s[2:3], s[4:5], 0x20
	s_load_dwordx2 s[6:7], s[4:5], 0x30
	s_load_dword s17, s[4:5], 0x0
	s_load_dwordx2 s[8:9], s[4:5], 0x10
	s_load_dwordx2 s[10:11], s[4:5], 0x40
	v_mad_u64_u32 v[4:5], s[4:5], v6, s0, v[8:9]
	s_waitcnt lgkmcnt(0)
	s_cmp_eq_u32 s17, 0
	v_mad_u64_u32 v[10:11], s[4:5], v8, s0, v[6:7]
	s_cselect_b64 vcc, -1, 0
	v_cndmask_b32_e32 v4, v4, v10, vcc
	v_mad_u64_u32 v[4:5], s[4:5], s15, v0, v[4:5]
	s_mul_i32 s4, s0, s14
	v_mul_lo_u32 v3, s16, v8
	v_add3_u32 v1, v1, s4, v3
	v_add_u32_e32 v2, s1, v6
	v_mad_u64_u32 v[6:7], s[4:5], s0, v1, v[6:7]
	s_lshl_b32 s1, s15, 2
	s_lshl_b32 s14, s0, 2
	s_mov_b64 s[4:5], 0
	v_mov_b32_e32 v3, s3
	v_mov_b32_e32 v8, s11
	;; [unrolled: 1-line block ×4, first 2 shown]
.LBB268_5:                              ; =>This Inner Loop Header: Depth=1
	v_ashrrev_i32_e32 v1, 31, v0
	v_lshlrev_b64 v[12:13], 2, v[0:1]
	v_add_co_u32_e32 v12, vcc, s2, v12
	v_addc_co_u32_e32 v13, vcc, v3, v13, vcc
	v_ashrrev_i32_e32 v5, 31, v4
	global_load_dword v1, v[12:13], off
	v_lshlrev_b64 v[12:13], 4, v[4:5]
	v_add_co_u32_e32 v12, vcc, s8, v12
	v_addc_co_u32_e32 v13, vcc, v10, v13, vcc
	global_load_dwordx4 v[12:15], v[12:13], off
	v_ashrrev_i32_e32 v7, 31, v6
	v_lshlrev_b64 v[16:17], 2, v[6:7]
	v_add_co_u32_e32 v16, vcc, s10, v16
	v_lshlrev_b64 v[18:19], 4, v[6:7]
	v_addc_co_u32_e32 v17, vcc, v8, v17, vcc
	v_add_co_u32_e32 v18, vcc, s6, v18
	v_add_u32_e32 v0, 4, v0
	v_addc_co_u32_e32 v19, vcc, v9, v19, vcc
	v_cmp_le_i32_e32 vcc, s13, v0
	v_add_u32_e32 v4, s1, v4
	s_or_b64 s[4:5], vcc, s[4:5]
	v_add_u32_e32 v6, s14, v6
	s_waitcnt vmcnt(1)
	v_subrev_u32_e32 v1, s12, v1
	s_waitcnt vmcnt(0)
	global_store_dwordx4 v[18:19], v[12:15], off
	s_nop 0
	v_mad_u64_u32 v[12:13], s[16:17], v1, s0, v[2:3]
	global_store_dword v[16:17], v12, off
	s_andn2_b64 exec, exec, s[4:5]
	s_cbranch_execnz .LBB268_5
.LBB268_6:
	s_endpgm
	.section	.rodata,"a",@progbits
	.p2align	6, 0x0
	.amdhsa_kernel _ZN9rocsparseL33bsr2csr_block_per_row_8_32_kernelILj1024ELj16E21rocsparse_complex_numIdEiiEEv20rocsparse_direction_T3_S4_21rocsparse_index_base_PKT1_PKT2_PKS4_S4_S5_PS6_PS9_PS4_
		.amdhsa_group_segment_fixed_size 0
		.amdhsa_private_segment_fixed_size 0
		.amdhsa_kernarg_size 72
		.amdhsa_user_sgpr_count 6
		.amdhsa_user_sgpr_private_segment_buffer 1
		.amdhsa_user_sgpr_dispatch_ptr 0
		.amdhsa_user_sgpr_queue_ptr 0
		.amdhsa_user_sgpr_kernarg_segment_ptr 1
		.amdhsa_user_sgpr_dispatch_id 0
		.amdhsa_user_sgpr_flat_scratch_init 0
		.amdhsa_user_sgpr_kernarg_preload_length 0
		.amdhsa_user_sgpr_kernarg_preload_offset 0
		.amdhsa_user_sgpr_private_segment_size 0
		.amdhsa_uses_dynamic_stack 0
		.amdhsa_system_sgpr_private_segment_wavefront_offset 0
		.amdhsa_system_sgpr_workgroup_id_x 1
		.amdhsa_system_sgpr_workgroup_id_y 0
		.amdhsa_system_sgpr_workgroup_id_z 0
		.amdhsa_system_sgpr_workgroup_info 0
		.amdhsa_system_vgpr_workitem_id 0
		.amdhsa_next_free_vgpr 20
		.amdhsa_next_free_sgpr 18
		.amdhsa_accum_offset 20
		.amdhsa_reserve_vcc 1
		.amdhsa_reserve_flat_scratch 0
		.amdhsa_float_round_mode_32 0
		.amdhsa_float_round_mode_16_64 0
		.amdhsa_float_denorm_mode_32 3
		.amdhsa_float_denorm_mode_16_64 3
		.amdhsa_dx10_clamp 1
		.amdhsa_ieee_mode 1
		.amdhsa_fp16_overflow 0
		.amdhsa_tg_split 0
		.amdhsa_exception_fp_ieee_invalid_op 0
		.amdhsa_exception_fp_denorm_src 0
		.amdhsa_exception_fp_ieee_div_zero 0
		.amdhsa_exception_fp_ieee_overflow 0
		.amdhsa_exception_fp_ieee_underflow 0
		.amdhsa_exception_fp_ieee_inexact 0
		.amdhsa_exception_int_div_zero 0
	.end_amdhsa_kernel
	.section	.text._ZN9rocsparseL33bsr2csr_block_per_row_8_32_kernelILj1024ELj16E21rocsparse_complex_numIdEiiEEv20rocsparse_direction_T3_S4_21rocsparse_index_base_PKT1_PKT2_PKS4_S4_S5_PS6_PS9_PS4_,"axG",@progbits,_ZN9rocsparseL33bsr2csr_block_per_row_8_32_kernelILj1024ELj16E21rocsparse_complex_numIdEiiEEv20rocsparse_direction_T3_S4_21rocsparse_index_base_PKT1_PKT2_PKS4_S4_S5_PS6_PS9_PS4_,comdat
.Lfunc_end268:
	.size	_ZN9rocsparseL33bsr2csr_block_per_row_8_32_kernelILj1024ELj16E21rocsparse_complex_numIdEiiEEv20rocsparse_direction_T3_S4_21rocsparse_index_base_PKT1_PKT2_PKS4_S4_S5_PS6_PS9_PS4_, .Lfunc_end268-_ZN9rocsparseL33bsr2csr_block_per_row_8_32_kernelILj1024ELj16E21rocsparse_complex_numIdEiiEEv20rocsparse_direction_T3_S4_21rocsparse_index_base_PKT1_PKT2_PKS4_S4_S5_PS6_PS9_PS4_
                                        ; -- End function
	.section	.AMDGPU.csdata,"",@progbits
; Kernel info:
; codeLenInByte = 536
; NumSgprs: 22
; NumVgprs: 20
; NumAgprs: 0
; TotalNumVgprs: 20
; ScratchSize: 0
; MemoryBound: 0
; FloatMode: 240
; IeeeMode: 1
; LDSByteSize: 0 bytes/workgroup (compile time only)
; SGPRBlocks: 2
; VGPRBlocks: 2
; NumSGPRsForWavesPerEU: 22
; NumVGPRsForWavesPerEU: 20
; AccumOffset: 20
; Occupancy: 8
; WaveLimiterHint : 0
; COMPUTE_PGM_RSRC2:SCRATCH_EN: 0
; COMPUTE_PGM_RSRC2:USER_SGPR: 6
; COMPUTE_PGM_RSRC2:TRAP_HANDLER: 0
; COMPUTE_PGM_RSRC2:TGID_X_EN: 1
; COMPUTE_PGM_RSRC2:TGID_Y_EN: 0
; COMPUTE_PGM_RSRC2:TGID_Z_EN: 0
; COMPUTE_PGM_RSRC2:TIDIG_COMP_CNT: 0
; COMPUTE_PGM_RSRC3_GFX90A:ACCUM_OFFSET: 4
; COMPUTE_PGM_RSRC3_GFX90A:TG_SPLIT: 0
	.section	.text._ZN9rocsparseL33bsr2csr_block_per_row_8_32_kernelILj1024ELj32E21rocsparse_complex_numIdEiiEEv20rocsparse_direction_T3_S4_21rocsparse_index_base_PKT1_PKT2_PKS4_S4_S5_PS6_PS9_PS4_,"axG",@progbits,_ZN9rocsparseL33bsr2csr_block_per_row_8_32_kernelILj1024ELj32E21rocsparse_complex_numIdEiiEEv20rocsparse_direction_T3_S4_21rocsparse_index_base_PKT1_PKT2_PKS4_S4_S5_PS6_PS9_PS4_,comdat
	.globl	_ZN9rocsparseL33bsr2csr_block_per_row_8_32_kernelILj1024ELj32E21rocsparse_complex_numIdEiiEEv20rocsparse_direction_T3_S4_21rocsparse_index_base_PKT1_PKT2_PKS4_S4_S5_PS6_PS9_PS4_ ; -- Begin function _ZN9rocsparseL33bsr2csr_block_per_row_8_32_kernelILj1024ELj32E21rocsparse_complex_numIdEiiEEv20rocsparse_direction_T3_S4_21rocsparse_index_base_PKT1_PKT2_PKS4_S4_S5_PS6_PS9_PS4_
	.p2align	8
	.type	_ZN9rocsparseL33bsr2csr_block_per_row_8_32_kernelILj1024ELj32E21rocsparse_complex_numIdEiiEEv20rocsparse_direction_T3_S4_21rocsparse_index_base_PKT1_PKT2_PKS4_S4_S5_PS6_PS9_PS4_,@function
_ZN9rocsparseL33bsr2csr_block_per_row_8_32_kernelILj1024ELj32E21rocsparse_complex_numIdEiiEEv20rocsparse_direction_T3_S4_21rocsparse_index_base_PKT1_PKT2_PKS4_S4_S5_PS6_PS9_PS4_: ; @_ZN9rocsparseL33bsr2csr_block_per_row_8_32_kernelILj1024ELj32E21rocsparse_complex_numIdEiiEEv20rocsparse_direction_T3_S4_21rocsparse_index_base_PKT1_PKT2_PKS4_S4_S5_PS6_PS9_PS4_
; %bb.0:
	s_load_dwordx2 s[2:3], s[4:5], 0x18
	s_load_dwordx2 s[0:1], s[4:5], 0x28
	;; [unrolled: 1-line block ×3, first 2 shown]
	s_ashr_i32 s7, s6, 31
	s_lshl_b64 s[10:11], s[6:7], 2
	s_waitcnt lgkmcnt(0)
	s_add_u32 s2, s2, s10
	v_or_b32_e32 v1, s6, v0
	s_addc_u32 s3, s3, s11
	v_cmp_eq_u32_e32 vcc, 0, v1
	s_and_saveexec_b64 s[10:11], vcc
	s_cbranch_execz .LBB269_2
; %bb.1:
	v_mov_b32_e32 v1, 0
	v_mov_b32_e32 v2, s1
	global_store_dword v1, v2, s[8:9]
.LBB269_2:
	s_or_b64 exec, exec, s[10:11]
	v_and_b32_e32 v2, 31, v0
	v_lshrrev_b32_e32 v4, 5, v0
	v_max_i32_e32 v0, v4, v2
	v_cmp_gt_i32_e32 vcc, s0, v0
	s_and_saveexec_b64 s[10:11], vcc
	s_cbranch_execz .LBB269_6
; %bb.3:
	s_load_dwordx2 s[10:11], s[2:3], 0x0
	s_load_dword s12, s[4:5], 0xc
	s_mul_i32 s13, s0, s0
	s_mul_i32 s6, s6, s0
	v_mov_b32_e32 v5, s9
	s_waitcnt lgkmcnt(0)
	s_sub_i32 s2, s10, s12
	s_sub_i32 s14, s11, s12
	;; [unrolled: 1-line block ×3, first 2 shown]
	s_mul_i32 s7, s3, s0
	s_mul_i32 s15, s2, s13
	v_mul_lo_u32 v0, s7, v4
	s_add_i32 s7, s7, s1
	s_add_i32 s7, s7, s15
	v_add_u32_e32 v3, s7, v0
	v_add_u32_e32 v0, s6, v4
	v_ashrrev_i32_e32 v1, 31, v0
	v_lshlrev_b64 v[0:1], 2, v[0:1]
	v_add_co_u32_e32 v0, vcc, s8, v0
	v_addc_co_u32_e32 v1, vcc, v5, v1, vcc
	s_cmp_ge_i32 s10, s11
	global_store_dword v[0:1], v3, off offset:4
	s_cbranch_scc1 .LBB269_6
; %bb.4:
	s_load_dwordx2 s[16:17], s[4:5], 0x20
	s_load_dwordx2 s[6:7], s[4:5], 0x30
	s_load_dword s18, s[4:5], 0x0
	s_load_dwordx2 s[8:9], s[4:5], 0x10
	s_load_dwordx2 s[10:11], s[4:5], 0x40
	v_add_u32_e32 v5, s1, v2
	v_mad_u64_u32 v[0:1], s[4:5], v2, s0, v[4:5]
	s_mul_i32 s1, s0, s2
	v_mul_lo_u32 v1, v4, s3
	s_waitcnt lgkmcnt(0)
	s_cmp_eq_u32 s18, 0
	v_add_u32_e32 v1, s1, v1
	v_mad_u64_u32 v[6:7], s[4:5], v4, s0, v[2:3]
	s_cselect_b64 vcc, -1, 0
	v_mad_u64_u32 v[2:3], s[4:5], s0, v1, v[2:3]
	s_ashr_i32 s3, s2, 31
	s_lshl_b64 s[4:5], s[2:3], 2
	v_cndmask_b32_e32 v0, v0, v6, vcc
	s_add_u32 s4, s16, s4
	v_add_u32_e32 v0, s15, v0
	s_addc_u32 s5, s17, s5
	v_mov_b32_e32 v4, s11
	v_mov_b32_e32 v6, s7
	;; [unrolled: 1-line block ×3, first 2 shown]
.LBB269_5:                              ; =>This Inner Loop Header: Depth=1
	v_ashrrev_i32_e32 v1, 31, v0
	v_lshlrev_b64 v[8:9], 4, v[0:1]
	v_add_co_u32_e32 v8, vcc, s8, v8
	v_addc_co_u32_e32 v9, vcc, v7, v9, vcc
	global_load_dwordx4 v[8:11], v[8:9], off
	s_load_dword s1, s[4:5], 0x0
	v_ashrrev_i32_e32 v3, 31, v2
	v_lshlrev_b64 v[12:13], 2, v[2:3]
	s_add_i32 s2, s2, 1
	v_add_co_u32_e32 v12, vcc, s10, v12
	s_waitcnt lgkmcnt(0)
	s_sub_i32 s1, s1, s12
	v_lshlrev_b64 v[14:15], 4, v[2:3]
	v_addc_co_u32_e32 v13, vcc, v4, v13, vcc
	s_add_u32 s4, s4, 4
	v_add_co_u32_e32 v14, vcc, s6, v14
	s_mul_i32 s1, s1, s0
	s_addc_u32 s5, s5, 0
	v_add_u32_e32 v0, s13, v0
	v_add_u32_e32 v2, s0, v2
	v_addc_co_u32_e32 v15, vcc, v6, v15, vcc
	v_add_u32_e32 v1, s1, v5
	s_cmp_lt_i32 s2, s14
	global_store_dword v[12:13], v1, off
	s_waitcnt vmcnt(1)
	global_store_dwordx4 v[14:15], v[8:11], off
	s_cbranch_scc1 .LBB269_5
.LBB269_6:
	s_endpgm
	.section	.rodata,"a",@progbits
	.p2align	6, 0x0
	.amdhsa_kernel _ZN9rocsparseL33bsr2csr_block_per_row_8_32_kernelILj1024ELj32E21rocsparse_complex_numIdEiiEEv20rocsparse_direction_T3_S4_21rocsparse_index_base_PKT1_PKT2_PKS4_S4_S5_PS6_PS9_PS4_
		.amdhsa_group_segment_fixed_size 0
		.amdhsa_private_segment_fixed_size 0
		.amdhsa_kernarg_size 72
		.amdhsa_user_sgpr_count 6
		.amdhsa_user_sgpr_private_segment_buffer 1
		.amdhsa_user_sgpr_dispatch_ptr 0
		.amdhsa_user_sgpr_queue_ptr 0
		.amdhsa_user_sgpr_kernarg_segment_ptr 1
		.amdhsa_user_sgpr_dispatch_id 0
		.amdhsa_user_sgpr_flat_scratch_init 0
		.amdhsa_user_sgpr_kernarg_preload_length 0
		.amdhsa_user_sgpr_kernarg_preload_offset 0
		.amdhsa_user_sgpr_private_segment_size 0
		.amdhsa_uses_dynamic_stack 0
		.amdhsa_system_sgpr_private_segment_wavefront_offset 0
		.amdhsa_system_sgpr_workgroup_id_x 1
		.amdhsa_system_sgpr_workgroup_id_y 0
		.amdhsa_system_sgpr_workgroup_id_z 0
		.amdhsa_system_sgpr_workgroup_info 0
		.amdhsa_system_vgpr_workitem_id 0
		.amdhsa_next_free_vgpr 16
		.amdhsa_next_free_sgpr 19
		.amdhsa_accum_offset 16
		.amdhsa_reserve_vcc 1
		.amdhsa_reserve_flat_scratch 0
		.amdhsa_float_round_mode_32 0
		.amdhsa_float_round_mode_16_64 0
		.amdhsa_float_denorm_mode_32 3
		.amdhsa_float_denorm_mode_16_64 3
		.amdhsa_dx10_clamp 1
		.amdhsa_ieee_mode 1
		.amdhsa_fp16_overflow 0
		.amdhsa_tg_split 0
		.amdhsa_exception_fp_ieee_invalid_op 0
		.amdhsa_exception_fp_denorm_src 0
		.amdhsa_exception_fp_ieee_div_zero 0
		.amdhsa_exception_fp_ieee_overflow 0
		.amdhsa_exception_fp_ieee_underflow 0
		.amdhsa_exception_fp_ieee_inexact 0
		.amdhsa_exception_int_div_zero 0
	.end_amdhsa_kernel
	.section	.text._ZN9rocsparseL33bsr2csr_block_per_row_8_32_kernelILj1024ELj32E21rocsparse_complex_numIdEiiEEv20rocsparse_direction_T3_S4_21rocsparse_index_base_PKT1_PKT2_PKS4_S4_S5_PS6_PS9_PS4_,"axG",@progbits,_ZN9rocsparseL33bsr2csr_block_per_row_8_32_kernelILj1024ELj32E21rocsparse_complex_numIdEiiEEv20rocsparse_direction_T3_S4_21rocsparse_index_base_PKT1_PKT2_PKS4_S4_S5_PS6_PS9_PS4_,comdat
.Lfunc_end269:
	.size	_ZN9rocsparseL33bsr2csr_block_per_row_8_32_kernelILj1024ELj32E21rocsparse_complex_numIdEiiEEv20rocsparse_direction_T3_S4_21rocsparse_index_base_PKT1_PKT2_PKS4_S4_S5_PS6_PS9_PS4_, .Lfunc_end269-_ZN9rocsparseL33bsr2csr_block_per_row_8_32_kernelILj1024ELj32E21rocsparse_complex_numIdEiiEEv20rocsparse_direction_T3_S4_21rocsparse_index_base_PKT1_PKT2_PKS4_S4_S5_PS6_PS9_PS4_
                                        ; -- End function
	.section	.AMDGPU.csdata,"",@progbits
; Kernel info:
; codeLenInByte = 488
; NumSgprs: 23
; NumVgprs: 16
; NumAgprs: 0
; TotalNumVgprs: 16
; ScratchSize: 0
; MemoryBound: 0
; FloatMode: 240
; IeeeMode: 1
; LDSByteSize: 0 bytes/workgroup (compile time only)
; SGPRBlocks: 2
; VGPRBlocks: 1
; NumSGPRsForWavesPerEU: 23
; NumVGPRsForWavesPerEU: 16
; AccumOffset: 16
; Occupancy: 8
; WaveLimiterHint : 0
; COMPUTE_PGM_RSRC2:SCRATCH_EN: 0
; COMPUTE_PGM_RSRC2:USER_SGPR: 6
; COMPUTE_PGM_RSRC2:TRAP_HANDLER: 0
; COMPUTE_PGM_RSRC2:TGID_X_EN: 1
; COMPUTE_PGM_RSRC2:TGID_Y_EN: 0
; COMPUTE_PGM_RSRC2:TGID_Z_EN: 0
; COMPUTE_PGM_RSRC2:TIDIG_COMP_CNT: 0
; COMPUTE_PGM_RSRC3_GFX90A:ACCUM_OFFSET: 3
; COMPUTE_PGM_RSRC3_GFX90A:TG_SPLIT: 0
	.section	.text._ZN9rocsparseL35bsr2csr_block_per_row_33_256_kernelILj1024ELj64ELj32E21rocsparse_complex_numIdEiiEEv20rocsparse_direction_T4_S4_21rocsparse_index_base_PKT2_PKT3_PKS4_S4_S5_PS6_PS9_PS4_,"axG",@progbits,_ZN9rocsparseL35bsr2csr_block_per_row_33_256_kernelILj1024ELj64ELj32E21rocsparse_complex_numIdEiiEEv20rocsparse_direction_T4_S4_21rocsparse_index_base_PKT2_PKT3_PKS4_S4_S5_PS6_PS9_PS4_,comdat
	.globl	_ZN9rocsparseL35bsr2csr_block_per_row_33_256_kernelILj1024ELj64ELj32E21rocsparse_complex_numIdEiiEEv20rocsparse_direction_T4_S4_21rocsparse_index_base_PKT2_PKT3_PKS4_S4_S5_PS6_PS9_PS4_ ; -- Begin function _ZN9rocsparseL35bsr2csr_block_per_row_33_256_kernelILj1024ELj64ELj32E21rocsparse_complex_numIdEiiEEv20rocsparse_direction_T4_S4_21rocsparse_index_base_PKT2_PKT3_PKS4_S4_S5_PS6_PS9_PS4_
	.p2align	8
	.type	_ZN9rocsparseL35bsr2csr_block_per_row_33_256_kernelILj1024ELj64ELj32E21rocsparse_complex_numIdEiiEEv20rocsparse_direction_T4_S4_21rocsparse_index_base_PKT2_PKT3_PKS4_S4_S5_PS6_PS9_PS4_,@function
_ZN9rocsparseL35bsr2csr_block_per_row_33_256_kernelILj1024ELj64ELj32E21rocsparse_complex_numIdEiiEEv20rocsparse_direction_T4_S4_21rocsparse_index_base_PKT2_PKT3_PKS4_S4_S5_PS6_PS9_PS4_: ; @_ZN9rocsparseL35bsr2csr_block_per_row_33_256_kernelILj1024ELj64ELj32E21rocsparse_complex_numIdEiiEEv20rocsparse_direction_T4_S4_21rocsparse_index_base_PKT2_PKT3_PKS4_S4_S5_PS6_PS9_PS4_
; %bb.0:
	s_load_dwordx2 s[0:1], s[4:5], 0x18
	s_load_dwordx2 s[8:9], s[4:5], 0x28
	;; [unrolled: 1-line block ×3, first 2 shown]
	s_ashr_i32 s7, s6, 31
	s_lshl_b64 s[2:3], s[6:7], 2
	s_waitcnt lgkmcnt(0)
	s_add_u32 s0, s0, s2
	s_addc_u32 s1, s1, s3
	s_load_dwordx2 s[22:23], s[0:1], 0x0
	v_or_b32_e32 v1, s6, v0
	v_cmp_eq_u32_e32 vcc, 0, v1
	s_and_saveexec_b64 s[0:1], vcc
	s_cbranch_execz .LBB270_2
; %bb.1:
	v_mov_b32_e32 v1, 0
	v_mov_b32_e32 v2, s9
	global_store_dword v1, v2, s[12:13]
.LBB270_2:
	s_or_b64 exec, exec, s[0:1]
	s_load_dword s24, s[4:5], 0xc
	v_lshrrev_b32_e32 v1, 5, v0
	s_mul_i32 s14, s6, s8
	s_waitcnt lgkmcnt(0)
	s_sub_i32 s10, s22, s24
	s_sub_i32 s25, s23, s24
	s_mul_i32 s11, s10, s8
	s_sub_i32 s18, s25, s10
	s_mul_i32 s0, s11, s8
	s_mul_i32 s15, s18, s8
	s_add_i32 s16, s0, s9
	s_add_i32 s16, s16, s15
	v_cmp_gt_i32_e64 s[0:1], s8, v1
	s_and_saveexec_b64 s[2:3], s[0:1]
	s_cbranch_execz .LBB270_4
; %bb.3:
	v_mul_lo_u32 v2, v1, s15
	v_add_u32_e32 v4, s16, v2
	v_add_u32_e32 v2, s14, v1
	v_ashrrev_i32_e32 v3, 31, v2
	v_lshlrev_b64 v[2:3], 2, v[2:3]
	v_mov_b32_e32 v5, s13
	v_add_co_u32_e32 v2, vcc, s12, v2
	v_addc_co_u32_e32 v3, vcc, v5, v3, vcc
	global_store_dword v[2:3], v4, off offset:4
.LBB270_4:
	s_or_b64 exec, exec, s[2:3]
	v_or_b32_e32 v2, 32, v1
	v_cmp_gt_i32_e64 s[2:3], s8, v2
	s_and_saveexec_b64 s[6:7], s[2:3]
	s_cbranch_execz .LBB270_6
; %bb.5:
	s_add_u32 s12, s12, 4
	s_addc_u32 s13, s13, 0
	v_mul_lo_u32 v2, v2, s15
	s_ashr_i32 s15, s14, 31
	v_add_u32_e32 v4, s16, v2
	v_mov_b32_e32 v3, s15
	v_add_co_u32_e32 v2, vcc, s14, v1
	v_addc_co_u32_e32 v3, vcc, 0, v3, vcc
	v_lshlrev_b64 v[2:3], 2, v[2:3]
	v_mov_b32_e32 v5, s13
	v_add_co_u32_e32 v2, vcc, s12, v2
	v_addc_co_u32_e32 v3, vcc, v5, v3, vcc
	global_store_dword v[2:3], v4, off offset:128
.LBB270_6:
	s_or_b64 exec, exec, s[6:7]
	s_cmp_lt_i32 s22, s23
	s_cbranch_scc0 .LBB270_17
; %bb.7:
	s_load_dwordx2 s[28:29], s[4:5], 0x20
	s_load_dwordx2 s[12:13], s[4:5], 0x30
	s_load_dword s6, s[4:5], 0x0
	s_load_dwordx2 s[14:15], s[4:5], 0x10
	s_load_dwordx2 s[16:17], s[4:5], 0x40
	v_and_b32_e32 v0, 31, v0
	v_mul_lo_u32 v7, v1, s18
	v_or_b32_e32 v2, 32, v0
	s_waitcnt lgkmcnt(0)
	s_cmp_eq_u32 s6, 0
	v_cmp_gt_i32_e64 s[4:5], s8, v0
	v_cmp_gt_i32_e64 s[6:7], s8, v2
	v_add_u32_e32 v8, s11, v7
	s_cselect_b64 vcc, -1, 0
	s_and_b64 s[18:19], s[0:1], s[4:5]
	s_and_b64 s[20:21], s[0:1], s[6:7]
	v_add_u32_e32 v4, s11, v1
	v_add_u32_e32 v6, s11, v0
	v_lshl_add_u32 v7, s23, 5, v8
	s_lshl_b32 s0, s22, 5
	s_ashr_i32 s11, s10, 31
	s_and_b64 s[4:5], s[2:3], s[4:5]
	s_and_b64 s[2:3], s[2:3], s[6:7]
	v_subrev_u32_e32 v7, s0, v7
	s_lshl_b64 s[0:1], s[10:11], 2
	v_add_u32_e32 v3, 32, v4
	v_add_u32_e32 v5, 32, v6
	s_add_u32 s6, s28, s0
	s_mul_i32 s26, s8, s8
	v_mul_lo_u32 v3, s8, v3
	v_mul_lo_u32 v4, s8, v4
	;; [unrolled: 1-line block ×6, first 2 shown]
	s_addc_u32 s7, s29, s1
	s_branch .LBB270_9
.LBB270_8:                              ;   in Loop: Header=BB270_9 Depth=1
	s_or_b64 exec, exec, s[22:23]
	s_add_i32 s10, s10, 1
	s_add_u32 s6, s6, 4
	s_addc_u32 s7, s7, 0
	v_add_u32_e32 v3, s26, v3
	v_add_u32_e32 v4, s26, v4
	v_add_u32_e32 v1, s26, v1
	v_add_u32_e32 v7, s8, v7
	s_cmp_ge_i32 s10, s25
	v_add_u32_e32 v8, s8, v8
	s_cbranch_scc1 .LBB270_17
.LBB270_9:                              ; =>This Inner Loop Header: Depth=1
	s_load_dword s0, s[6:7], 0x0
	s_waitcnt lgkmcnt(0)
	s_sub_i32 s0, s0, s24
	s_mul_i32 s11, s0, s8
	s_add_i32 s11, s11, s9
	v_add_u32_e32 v9, s11, v0
	s_and_saveexec_b64 s[22:23], s[18:19]
	s_cbranch_execz .LBB270_11
; %bb.10:                               ;   in Loop: Header=BB270_9 Depth=1
	v_add_u32_e32 v10, v0, v4
	v_add_u32_e32 v11, v6, v1
	v_cndmask_b32_e32 v10, v11, v10, vcc
	v_ashrrev_i32_e32 v11, 31, v10
	v_lshlrev_b64 v[10:11], 4, v[10:11]
	v_mov_b32_e32 v12, s15
	v_add_co_u32_e64 v10, s[0:1], s14, v10
	v_addc_co_u32_e64 v11, s[0:1], v12, v11, s[0:1]
	global_load_dwordx4 v[10:13], v[10:11], off
	v_add_u32_e32 v14, v0, v8
	v_ashrrev_i32_e32 v15, 31, v14
	v_lshlrev_b64 v[16:17], 2, v[14:15]
	v_mov_b32_e32 v18, s17
	v_add_co_u32_e64 v16, s[0:1], s16, v16
	v_addc_co_u32_e64 v17, s[0:1], v18, v17, s[0:1]
	v_lshlrev_b64 v[14:15], 4, v[14:15]
	global_store_dword v[16:17], v9, off
	v_mov_b32_e32 v16, s13
	v_add_co_u32_e64 v14, s[0:1], s12, v14
	v_addc_co_u32_e64 v15, s[0:1], v16, v15, s[0:1]
	s_waitcnt vmcnt(1)
	global_store_dwordx4 v[14:15], v[10:13], off
.LBB270_11:                             ;   in Loop: Header=BB270_9 Depth=1
	s_or_b64 exec, exec, s[22:23]
	v_add_u32_e32 v10, s11, v2
	v_add_u32_e32 v11, v5, v1
	s_and_saveexec_b64 s[22:23], s[20:21]
	s_cbranch_execnz .LBB270_14
; %bb.12:                               ;   in Loop: Header=BB270_9 Depth=1
	s_or_b64 exec, exec, s[22:23]
	v_add_u32_e32 v12, v0, v3
	s_and_saveexec_b64 s[22:23], s[4:5]
	s_cbranch_execnz .LBB270_15
.LBB270_13:                             ;   in Loop: Header=BB270_9 Depth=1
	s_or_b64 exec, exec, s[22:23]
	s_and_saveexec_b64 s[22:23], s[2:3]
	s_cbranch_execz .LBB270_8
	s_branch .LBB270_16
.LBB270_14:                             ;   in Loop: Header=BB270_9 Depth=1
	v_add3_u32 v12, v0, v4, 32
	v_cndmask_b32_e32 v12, v11, v12, vcc
	v_ashrrev_i32_e32 v13, 31, v12
	v_lshlrev_b64 v[12:13], 4, v[12:13]
	v_mov_b32_e32 v14, s15
	v_add_co_u32_e64 v12, s[0:1], s14, v12
	v_addc_co_u32_e64 v13, s[0:1], v14, v13, s[0:1]
	global_load_dwordx4 v[12:15], v[12:13], off
	v_add3_u32 v16, v0, v8, 32
	v_ashrrev_i32_e32 v17, 31, v16
	v_lshlrev_b64 v[18:19], 2, v[16:17]
	v_mov_b32_e32 v20, s17
	v_add_co_u32_e64 v18, s[0:1], s16, v18
	v_addc_co_u32_e64 v19, s[0:1], v20, v19, s[0:1]
	v_lshlrev_b64 v[16:17], 4, v[16:17]
	global_store_dword v[18:19], v10, off
	v_mov_b32_e32 v18, s13
	v_add_co_u32_e64 v16, s[0:1], s12, v16
	v_addc_co_u32_e64 v17, s[0:1], v18, v17, s[0:1]
	s_waitcnt vmcnt(1)
	global_store_dwordx4 v[16:17], v[12:15], off
	s_or_b64 exec, exec, s[22:23]
	v_add_u32_e32 v12, v0, v3
	s_and_saveexec_b64 s[22:23], s[4:5]
	s_cbranch_execz .LBB270_13
.LBB270_15:                             ;   in Loop: Header=BB270_9 Depth=1
	v_add3_u32 v13, v6, v1, 32
	v_cndmask_b32_e32 v14, v13, v12, vcc
	v_ashrrev_i32_e32 v15, 31, v14
	v_lshlrev_b64 v[14:15], 4, v[14:15]
	v_mov_b32_e32 v13, s15
	v_add_co_u32_e64 v14, s[0:1], s14, v14
	v_addc_co_u32_e64 v15, s[0:1], v13, v15, s[0:1]
	global_load_dwordx4 v[14:17], v[14:15], off
	v_add_u32_e32 v18, v0, v7
	v_ashrrev_i32_e32 v19, 31, v18
	v_lshlrev_b64 v[20:21], 2, v[18:19]
	v_mov_b32_e32 v13, s17
	v_add_co_u32_e64 v20, s[0:1], s16, v20
	v_addc_co_u32_e64 v21, s[0:1], v13, v21, s[0:1]
	v_lshlrev_b64 v[18:19], 4, v[18:19]
	global_store_dword v[20:21], v9, off
	v_mov_b32_e32 v9, s13
	v_add_co_u32_e64 v18, s[0:1], s12, v18
	v_addc_co_u32_e64 v19, s[0:1], v9, v19, s[0:1]
	s_waitcnt vmcnt(1)
	global_store_dwordx4 v[18:19], v[14:17], off
	s_or_b64 exec, exec, s[22:23]
	s_and_saveexec_b64 s[22:23], s[2:3]
	s_cbranch_execz .LBB270_8
.LBB270_16:                             ;   in Loop: Header=BB270_9 Depth=1
	v_cndmask_b32_e32 v9, v11, v12, vcc
	v_add_u32_e32 v12, 32, v9
	v_ashrrev_i32_e32 v13, 31, v12
	v_lshlrev_b64 v[12:13], 4, v[12:13]
	v_mov_b32_e32 v9, s15
	v_add_co_u32_e64 v12, s[0:1], s14, v12
	v_addc_co_u32_e64 v13, s[0:1], v9, v13, s[0:1]
	global_load_dwordx4 v[12:15], v[12:13], off
	v_add3_u32 v16, v0, v7, 32
	v_ashrrev_i32_e32 v17, 31, v16
	v_lshlrev_b64 v[18:19], 2, v[16:17]
	v_mov_b32_e32 v9, s17
	v_add_co_u32_e64 v18, s[0:1], s16, v18
	v_addc_co_u32_e64 v19, s[0:1], v9, v19, s[0:1]
	global_store_dword v[18:19], v10, off
	v_lshlrev_b64 v[10:11], 4, v[16:17]
	v_mov_b32_e32 v9, s13
	v_add_co_u32_e64 v10, s[0:1], s12, v10
	v_addc_co_u32_e64 v11, s[0:1], v9, v11, s[0:1]
	s_waitcnt vmcnt(1)
	global_store_dwordx4 v[10:11], v[12:15], off
	s_branch .LBB270_8
.LBB270_17:
	s_endpgm
	.section	.rodata,"a",@progbits
	.p2align	6, 0x0
	.amdhsa_kernel _ZN9rocsparseL35bsr2csr_block_per_row_33_256_kernelILj1024ELj64ELj32E21rocsparse_complex_numIdEiiEEv20rocsparse_direction_T4_S4_21rocsparse_index_base_PKT2_PKT3_PKS4_S4_S5_PS6_PS9_PS4_
		.amdhsa_group_segment_fixed_size 0
		.amdhsa_private_segment_fixed_size 0
		.amdhsa_kernarg_size 72
		.amdhsa_user_sgpr_count 6
		.amdhsa_user_sgpr_private_segment_buffer 1
		.amdhsa_user_sgpr_dispatch_ptr 0
		.amdhsa_user_sgpr_queue_ptr 0
		.amdhsa_user_sgpr_kernarg_segment_ptr 1
		.amdhsa_user_sgpr_dispatch_id 0
		.amdhsa_user_sgpr_flat_scratch_init 0
		.amdhsa_user_sgpr_kernarg_preload_length 0
		.amdhsa_user_sgpr_kernarg_preload_offset 0
		.amdhsa_user_sgpr_private_segment_size 0
		.amdhsa_uses_dynamic_stack 0
		.amdhsa_system_sgpr_private_segment_wavefront_offset 0
		.amdhsa_system_sgpr_workgroup_id_x 1
		.amdhsa_system_sgpr_workgroup_id_y 0
		.amdhsa_system_sgpr_workgroup_id_z 0
		.amdhsa_system_sgpr_workgroup_info 0
		.amdhsa_system_vgpr_workitem_id 0
		.amdhsa_next_free_vgpr 22
		.amdhsa_next_free_sgpr 30
		.amdhsa_accum_offset 24
		.amdhsa_reserve_vcc 1
		.amdhsa_reserve_flat_scratch 0
		.amdhsa_float_round_mode_32 0
		.amdhsa_float_round_mode_16_64 0
		.amdhsa_float_denorm_mode_32 3
		.amdhsa_float_denorm_mode_16_64 3
		.amdhsa_dx10_clamp 1
		.amdhsa_ieee_mode 1
		.amdhsa_fp16_overflow 0
		.amdhsa_tg_split 0
		.amdhsa_exception_fp_ieee_invalid_op 0
		.amdhsa_exception_fp_denorm_src 0
		.amdhsa_exception_fp_ieee_div_zero 0
		.amdhsa_exception_fp_ieee_overflow 0
		.amdhsa_exception_fp_ieee_underflow 0
		.amdhsa_exception_fp_ieee_inexact 0
		.amdhsa_exception_int_div_zero 0
	.end_amdhsa_kernel
	.section	.text._ZN9rocsparseL35bsr2csr_block_per_row_33_256_kernelILj1024ELj64ELj32E21rocsparse_complex_numIdEiiEEv20rocsparse_direction_T4_S4_21rocsparse_index_base_PKT2_PKT3_PKS4_S4_S5_PS6_PS9_PS4_,"axG",@progbits,_ZN9rocsparseL35bsr2csr_block_per_row_33_256_kernelILj1024ELj64ELj32E21rocsparse_complex_numIdEiiEEv20rocsparse_direction_T4_S4_21rocsparse_index_base_PKT2_PKT3_PKS4_S4_S5_PS6_PS9_PS4_,comdat
.Lfunc_end270:
	.size	_ZN9rocsparseL35bsr2csr_block_per_row_33_256_kernelILj1024ELj64ELj32E21rocsparse_complex_numIdEiiEEv20rocsparse_direction_T4_S4_21rocsparse_index_base_PKT2_PKT3_PKS4_S4_S5_PS6_PS9_PS4_, .Lfunc_end270-_ZN9rocsparseL35bsr2csr_block_per_row_33_256_kernelILj1024ELj64ELj32E21rocsparse_complex_numIdEiiEEv20rocsparse_direction_T4_S4_21rocsparse_index_base_PKT2_PKT3_PKS4_S4_S5_PS6_PS9_PS4_
                                        ; -- End function
	.section	.AMDGPU.csdata,"",@progbits
; Kernel info:
; codeLenInByte = 1228
; NumSgprs: 34
; NumVgprs: 22
; NumAgprs: 0
; TotalNumVgprs: 22
; ScratchSize: 0
; MemoryBound: 0
; FloatMode: 240
; IeeeMode: 1
; LDSByteSize: 0 bytes/workgroup (compile time only)
; SGPRBlocks: 4
; VGPRBlocks: 2
; NumSGPRsForWavesPerEU: 34
; NumVGPRsForWavesPerEU: 22
; AccumOffset: 24
; Occupancy: 8
; WaveLimiterHint : 0
; COMPUTE_PGM_RSRC2:SCRATCH_EN: 0
; COMPUTE_PGM_RSRC2:USER_SGPR: 6
; COMPUTE_PGM_RSRC2:TRAP_HANDLER: 0
; COMPUTE_PGM_RSRC2:TGID_X_EN: 1
; COMPUTE_PGM_RSRC2:TGID_Y_EN: 0
; COMPUTE_PGM_RSRC2:TGID_Z_EN: 0
; COMPUTE_PGM_RSRC2:TIDIG_COMP_CNT: 0
; COMPUTE_PGM_RSRC3_GFX90A:ACCUM_OFFSET: 5
; COMPUTE_PGM_RSRC3_GFX90A:TG_SPLIT: 0
	.section	.text._ZN9rocsparseL35bsr2csr_block_per_row_33_256_kernelILj1024ELj128ELj32E21rocsparse_complex_numIdEiiEEv20rocsparse_direction_T4_S4_21rocsparse_index_base_PKT2_PKT3_PKS4_S4_S5_PS6_PS9_PS4_,"axG",@progbits,_ZN9rocsparseL35bsr2csr_block_per_row_33_256_kernelILj1024ELj128ELj32E21rocsparse_complex_numIdEiiEEv20rocsparse_direction_T4_S4_21rocsparse_index_base_PKT2_PKT3_PKS4_S4_S5_PS6_PS9_PS4_,comdat
	.globl	_ZN9rocsparseL35bsr2csr_block_per_row_33_256_kernelILj1024ELj128ELj32E21rocsparse_complex_numIdEiiEEv20rocsparse_direction_T4_S4_21rocsparse_index_base_PKT2_PKT3_PKS4_S4_S5_PS6_PS9_PS4_ ; -- Begin function _ZN9rocsparseL35bsr2csr_block_per_row_33_256_kernelILj1024ELj128ELj32E21rocsparse_complex_numIdEiiEEv20rocsparse_direction_T4_S4_21rocsparse_index_base_PKT2_PKT3_PKS4_S4_S5_PS6_PS9_PS4_
	.p2align	8
	.type	_ZN9rocsparseL35bsr2csr_block_per_row_33_256_kernelILj1024ELj128ELj32E21rocsparse_complex_numIdEiiEEv20rocsparse_direction_T4_S4_21rocsparse_index_base_PKT2_PKT3_PKS4_S4_S5_PS6_PS9_PS4_,@function
_ZN9rocsparseL35bsr2csr_block_per_row_33_256_kernelILj1024ELj128ELj32E21rocsparse_complex_numIdEiiEEv20rocsparse_direction_T4_S4_21rocsparse_index_base_PKT2_PKT3_PKS4_S4_S5_PS6_PS9_PS4_: ; @_ZN9rocsparseL35bsr2csr_block_per_row_33_256_kernelILj1024ELj128ELj32E21rocsparse_complex_numIdEiiEEv20rocsparse_direction_T4_S4_21rocsparse_index_base_PKT2_PKT3_PKS4_S4_S5_PS6_PS9_PS4_
; %bb.0:
	s_load_dwordx2 s[0:1], s[4:5], 0x18
	s_load_dwordx2 s[16:17], s[4:5], 0x28
	;; [unrolled: 1-line block ×3, first 2 shown]
	s_ashr_i32 s7, s6, 31
	s_lshl_b64 s[8:9], s[6:7], 2
	s_waitcnt lgkmcnt(0)
	s_add_u32 s0, s0, s8
	s_addc_u32 s1, s1, s9
	s_load_dwordx2 s[48:49], s[0:1], 0x0
	v_or_b32_e32 v1, s6, v0
	v_cmp_eq_u32_e32 vcc, 0, v1
	s_and_saveexec_b64 s[0:1], vcc
	s_cbranch_execz .LBB271_2
; %bb.1:
	v_mov_b32_e32 v1, 0
	v_mov_b32_e32 v2, s17
	global_store_dword v1, v2, s[2:3]
.LBB271_2:
	s_or_b64 exec, exec, s[0:1]
	s_load_dword s33, s[4:5], 0xc
	v_lshrrev_b32_e32 v6, 5, v0
	s_mul_i32 s13, s6, s16
	s_waitcnt lgkmcnt(0)
	s_sub_i32 s18, s48, s33
	s_sub_i32 s50, s49, s33
	s_mul_i32 s19, s18, s16
	s_sub_i32 s12, s50, s18
	s_mul_i32 s0, s19, s16
	s_mul_i32 s14, s12, s16
	s_add_i32 s15, s0, s17
	s_add_i32 s15, s15, s14
	v_cmp_gt_i32_e64 s[0:1], s16, v6
	s_and_saveexec_b64 s[6:7], s[0:1]
	s_cbranch_execz .LBB271_4
; %bb.3:
	v_add_u32_e32 v2, s13, v6
	v_ashrrev_i32_e32 v3, 31, v2
	v_lshlrev_b64 v[2:3], 2, v[2:3]
	v_mul_lo_u32 v1, v6, s14
	v_mov_b32_e32 v4, s3
	v_add_co_u32_e32 v2, vcc, s2, v2
	v_add_u32_e32 v1, s15, v1
	v_addc_co_u32_e32 v3, vcc, v4, v3, vcc
	global_store_dword v[2:3], v1, off offset:4
.LBB271_4:
	s_or_b64 exec, exec, s[6:7]
	s_add_u32 s20, s2, 4
	v_or_b32_e32 v1, 32, v6
	s_addc_u32 s21, s3, 0
	v_cmp_gt_i32_e64 s[2:3], s16, v1
	s_and_saveexec_b64 s[6:7], s[2:3]
	s_cbranch_execz .LBB271_6
; %bb.5:
	s_ashr_i32 s8, s13, 31
	v_mov_b32_e32 v3, s8
	v_add_co_u32_e32 v2, vcc, s13, v6
	v_addc_co_u32_e32 v3, vcc, 0, v3, vcc
	v_lshlrev_b64 v[2:3], 2, v[2:3]
	v_mul_lo_u32 v1, v1, s14
	v_mov_b32_e32 v4, s21
	v_add_co_u32_e32 v2, vcc, s20, v2
	v_add_u32_e32 v1, s15, v1
	v_addc_co_u32_e32 v3, vcc, v4, v3, vcc
	global_store_dword v[2:3], v1, off offset:128
.LBB271_6:
	s_or_b64 exec, exec, s[6:7]
	v_or_b32_e32 v1, 64, v6
	v_cmp_gt_i32_e64 s[6:7], s16, v1
	s_and_saveexec_b64 s[8:9], s[6:7]
	s_cbranch_execz .LBB271_8
; %bb.7:
	s_ashr_i32 s10, s13, 31
	v_mov_b32_e32 v3, s10
	v_add_co_u32_e32 v2, vcc, s13, v6
	v_addc_co_u32_e32 v3, vcc, 0, v3, vcc
	v_lshlrev_b64 v[2:3], 2, v[2:3]
	v_mul_lo_u32 v1, v1, s14
	v_mov_b32_e32 v4, s21
	v_add_co_u32_e32 v2, vcc, s20, v2
	v_add_u32_e32 v1, s15, v1
	v_addc_co_u32_e32 v3, vcc, v4, v3, vcc
	global_store_dword v[2:3], v1, off offset:256
.LBB271_8:
	s_or_b64 exec, exec, s[8:9]
	v_or_b32_e32 v1, 0x60, v6
	v_cmp_gt_i32_e64 s[8:9], s16, v1
	s_and_saveexec_b64 s[10:11], s[8:9]
	s_cbranch_execz .LBB271_10
; %bb.9:
	v_mul_lo_u32 v1, v1, s14
	s_ashr_i32 s14, s13, 31
	v_mov_b32_e32 v3, s14
	v_add_co_u32_e32 v2, vcc, s13, v6
	v_addc_co_u32_e32 v3, vcc, 0, v3, vcc
	v_lshlrev_b64 v[2:3], 2, v[2:3]
	v_mov_b32_e32 v4, s21
	v_add_co_u32_e32 v2, vcc, s20, v2
	v_add_u32_e32 v1, s15, v1
	v_addc_co_u32_e32 v3, vcc, v4, v3, vcc
	global_store_dword v[2:3], v1, off offset:384
.LBB271_10:
	s_or_b64 exec, exec, s[10:11]
	s_cmp_lt_i32 s48, s49
	s_cbranch_scc0 .LBB271_45
; %bb.11:
	s_load_dwordx2 s[54:55], s[4:5], 0x20
	s_load_dwordx2 s[20:21], s[4:5], 0x30
	;; [unrolled: 1-line block ×3, first 2 shown]
	s_load_dword s10, s[4:5], 0x0
	s_load_dwordx2 s[24:25], s[4:5], 0x40
	v_and_b32_e32 v8, 31, v0
	v_add_u32_e32 v0, s19, v6
	v_add_u32_e32 v1, 32, v0
	v_or_b32_e32 v9, 32, v8
	v_or_b32_e32 v10, 64, v8
	;; [unrolled: 1-line block ×3, first 2 shown]
	v_mul_lo_u32 v12, s16, v1
	v_add_u32_e32 v1, 64, v0
	v_add_u32_e32 v7, s19, v8
	s_waitcnt lgkmcnt(0)
	s_cmp_eq_u32 s10, 0
	v_mul_lo_u32 v16, v6, s12
	v_cmp_gt_i32_e64 s[4:5], s16, v8
	v_cmp_gt_i32_e64 s[10:11], s16, v9
	;; [unrolled: 1-line block ×4, first 2 shown]
	v_mul_lo_u32 v13, s16, v1
	v_add_u32_e32 v1, 0x60, v0
	v_mul_lo_u32 v15, s16, v0
	v_add_u32_e32 v0, 0x60, v7
	s_cselect_b64 vcc, -1, 0
	s_and_b64 s[26:27], s[0:1], s[4:5]
	s_and_b64 s[28:29], s[0:1], s[10:11]
	;; [unrolled: 1-line block ×4, first 2 shown]
	v_mul_lo_u32 v14, s16, v1
	v_mad_u64_u32 v[0:1], s[0:1], s16, v0, v[6:7]
	v_add_u32_e32 v1, 64, v7
	v_mad_u64_u32 v[2:3], s[0:1], s16, v1, v[6:7]
	v_add_u32_e32 v1, 32, v7
	v_mad_u64_u32 v[4:5], s[0:1], s16, v1, v[6:7]
	v_mad_u64_u32 v[6:7], s[0:1], s16, v7, v[6:7]
	v_add_u32_e32 v7, s19, v16
	v_lshl_add_u32 v1, s49, 5, v7
	s_lshl_b32 s0, s48, 5
	v_subrev_u32_e32 v1, s0, v1
	v_lshl_add_u32 v3, s49, 6, v7
	s_lshl_b32 s0, s48, 6
	v_subrev_u32_e32 v3, s0, v3
	s_mul_i32 s0, s49, 0x60
	v_add_u32_e32 v5, s0, v7
	s_mul_i32 s0, s48, 0x60
	s_ashr_i32 s19, s18, 31
	s_and_b64 s[36:37], s[2:3], s[4:5]
	s_and_b64 s[38:39], s[2:3], s[10:11]
	;; [unrolled: 1-line block ×12, first 2 shown]
	v_subrev_u32_e32 v5, s0, v5
	s_lshl_b64 s[0:1], s[18:19], 2
	s_add_u32 s14, s54, s0
	s_mul_i32 s51, s16, s16
	s_mov_b32 s52, 0
	s_movk_i32 s53, 0x60
	v_mul_lo_u32 v1, s16, v1
	v_mul_lo_u32 v3, s16, v3
	;; [unrolled: 1-line block ×4, first 2 shown]
	s_addc_u32 s15, s55, s1
	s_branch .LBB271_13
.LBB271_12:                             ;   in Loop: Header=BB271_13 Depth=1
	s_or_b64 exec, exec, s[48:49]
	s_add_i32 s18, s18, 1
	s_add_i32 s52, s52, s51
	s_add_u32 s14, s14, 4
	s_addc_u32 s15, s15, 0
	v_add_u32_e32 v12, s51, v12
	v_add_u32_e32 v13, s51, v13
	;; [unrolled: 1-line block ×7, first 2 shown]
	s_cmp_ge_i32 s18, s50
	v_add_u32_e32 v7, s16, v7
	s_cbranch_scc1 .LBB271_45
.LBB271_13:                             ; =>This Inner Loop Header: Depth=1
	s_load_dword s0, s[14:15], 0x0
	v_add_u32_e32 v20, s52, v6
	s_waitcnt lgkmcnt(0)
	s_sub_i32 s0, s0, s33
	s_mul_i32 s19, s0, s16
	s_add_i32 s19, s19, s17
	v_add_u32_e32 v16, s19, v8
	s_and_saveexec_b64 s[48:49], s[26:27]
	s_cbranch_execz .LBB271_15
; %bb.14:                               ;   in Loop: Header=BB271_13 Depth=1
	v_add_u32_e32 v17, v8, v15
	v_cndmask_b32_e32 v18, v20, v17, vcc
	v_ashrrev_i32_e32 v19, 31, v18
	v_lshlrev_b64 v[18:19], 4, v[18:19]
	v_mov_b32_e32 v17, s23
	v_add_co_u32_e64 v18, s[0:1], s22, v18
	v_addc_co_u32_e64 v19, s[0:1], v17, v19, s[0:1]
	global_load_dwordx4 v[22:25], v[18:19], off
	v_add_u32_e32 v18, v8, v7
	v_ashrrev_i32_e32 v19, 31, v18
	v_lshlrev_b64 v[26:27], 2, v[18:19]
	v_mov_b32_e32 v17, s25
	v_add_co_u32_e64 v26, s[0:1], s24, v26
	v_addc_co_u32_e64 v27, s[0:1], v17, v27, s[0:1]
	v_lshlrev_b64 v[18:19], 4, v[18:19]
	v_mov_b32_e32 v17, s21
	v_add_co_u32_e64 v18, s[0:1], s20, v18
	v_addc_co_u32_e64 v19, s[0:1], v17, v19, s[0:1]
	global_store_dword v[26:27], v16, off
	s_waitcnt vmcnt(1)
	global_store_dwordx4 v[18:19], v[22:25], off
.LBB271_15:                             ;   in Loop: Header=BB271_13 Depth=1
	s_or_b64 exec, exec, s[48:49]
	v_add_u32_e32 v17, s19, v9
	v_add_u32_e32 v21, s52, v4
	s_and_saveexec_b64 s[48:49], s[28:29]
	s_cbranch_execz .LBB271_17
; %bb.16:                               ;   in Loop: Header=BB271_13 Depth=1
	v_add3_u32 v18, v8, v15, 32
	v_cndmask_b32_e32 v18, v21, v18, vcc
	v_ashrrev_i32_e32 v19, 31, v18
	v_lshlrev_b64 v[18:19], 4, v[18:19]
	v_mov_b32_e32 v22, s23
	v_add_co_u32_e64 v18, s[0:1], s22, v18
	v_addc_co_u32_e64 v19, s[0:1], v22, v19, s[0:1]
	global_load_dwordx4 v[22:25], v[18:19], off
	v_add3_u32 v18, v8, v7, 32
	v_ashrrev_i32_e32 v19, 31, v18
	v_lshlrev_b64 v[26:27], 2, v[18:19]
	v_mov_b32_e32 v28, s25
	v_add_co_u32_e64 v26, s[0:1], s24, v26
	v_addc_co_u32_e64 v27, s[0:1], v28, v27, s[0:1]
	v_lshlrev_b64 v[18:19], 4, v[18:19]
	global_store_dword v[26:27], v17, off
	v_mov_b32_e32 v26, s21
	v_add_co_u32_e64 v18, s[0:1], s20, v18
	v_addc_co_u32_e64 v19, s[0:1], v26, v19, s[0:1]
	s_waitcnt vmcnt(1)
	global_store_dwordx4 v[18:19], v[22:25], off
.LBB271_17:                             ;   in Loop: Header=BB271_13 Depth=1
	s_or_b64 exec, exec, s[48:49]
	v_add_u32_e32 v18, s19, v10
	v_add_u32_e32 v22, s52, v2
	s_and_saveexec_b64 s[48:49], s[30:31]
	s_cbranch_execz .LBB271_19
; %bb.18:                               ;   in Loop: Header=BB271_13 Depth=1
	v_add3_u32 v19, v8, v15, 64
	v_cndmask_b32_e32 v24, v22, v19, vcc
	v_ashrrev_i32_e32 v25, 31, v24
	v_lshlrev_b64 v[24:25], 4, v[24:25]
	v_mov_b32_e32 v19, s23
	v_add_co_u32_e64 v24, s[0:1], s22, v24
	v_addc_co_u32_e64 v25, s[0:1], v19, v25, s[0:1]
	global_load_dwordx4 v[24:27], v[24:25], off
	v_add3_u32 v28, v8, v7, 64
	v_ashrrev_i32_e32 v29, 31, v28
	v_lshlrev_b64 v[30:31], 2, v[28:29]
	v_mov_b32_e32 v19, s25
	v_add_co_u32_e64 v30, s[0:1], s24, v30
	v_addc_co_u32_e64 v31, s[0:1], v19, v31, s[0:1]
	v_lshlrev_b64 v[28:29], 4, v[28:29]
	v_mov_b32_e32 v19, s21
	v_add_co_u32_e64 v28, s[0:1], s20, v28
	v_addc_co_u32_e64 v29, s[0:1], v19, v29, s[0:1]
	global_store_dword v[30:31], v18, off
	s_waitcnt vmcnt(1)
	global_store_dwordx4 v[28:29], v[24:27], off
.LBB271_19:                             ;   in Loop: Header=BB271_13 Depth=1
	s_or_b64 exec, exec, s[48:49]
	v_add_u32_e32 v19, s19, v11
	v_add_u32_e32 v23, s52, v0
	s_and_saveexec_b64 s[48:49], s[34:35]
	s_cbranch_execnz .LBB271_32
; %bb.20:                               ;   in Loop: Header=BB271_13 Depth=1
	s_or_b64 exec, exec, s[48:49]
	v_add_u32_e32 v24, v8, v12
	s_and_saveexec_b64 s[48:49], s[36:37]
	s_cbranch_execnz .LBB271_33
.LBB271_21:                             ;   in Loop: Header=BB271_13 Depth=1
	s_or_b64 exec, exec, s[48:49]
	s_and_saveexec_b64 s[48:49], s[38:39]
	s_cbranch_execnz .LBB271_34
.LBB271_22:                             ;   in Loop: Header=BB271_13 Depth=1
	s_or_b64 exec, exec, s[48:49]
	s_and_saveexec_b64 s[48:49], s[40:41]
	s_cbranch_execnz .LBB271_35
.LBB271_23:                             ;   in Loop: Header=BB271_13 Depth=1
	s_or_b64 exec, exec, s[48:49]
	s_and_saveexec_b64 s[48:49], s[2:3]
	s_cbranch_execnz .LBB271_36
.LBB271_24:                             ;   in Loop: Header=BB271_13 Depth=1
	s_or_b64 exec, exec, s[48:49]
	v_add_u32_e32 v24, v8, v13
	s_and_saveexec_b64 s[48:49], s[42:43]
	s_cbranch_execnz .LBB271_37
.LBB271_25:                             ;   in Loop: Header=BB271_13 Depth=1
	s_or_b64 exec, exec, s[48:49]
	s_and_saveexec_b64 s[48:49], s[44:45]
	s_cbranch_execnz .LBB271_38
.LBB271_26:                             ;   in Loop: Header=BB271_13 Depth=1
	s_or_b64 exec, exec, s[48:49]
	s_and_saveexec_b64 s[48:49], s[46:47]
	s_cbranch_execnz .LBB271_39
.LBB271_27:                             ;   in Loop: Header=BB271_13 Depth=1
	s_or_b64 exec, exec, s[48:49]
	s_and_saveexec_b64 s[48:49], s[6:7]
	s_cbranch_execnz .LBB271_40
.LBB271_28:                             ;   in Loop: Header=BB271_13 Depth=1
	s_or_b64 exec, exec, s[48:49]
	v_add_u32_e32 v24, v8, v14
	s_and_saveexec_b64 s[48:49], s[4:5]
	s_cbranch_execnz .LBB271_41
.LBB271_29:                             ;   in Loop: Header=BB271_13 Depth=1
	s_or_b64 exec, exec, s[48:49]
	s_and_saveexec_b64 s[48:49], s[10:11]
	s_cbranch_execnz .LBB271_42
.LBB271_30:                             ;   in Loop: Header=BB271_13 Depth=1
	s_or_b64 exec, exec, s[48:49]
	s_and_saveexec_b64 s[48:49], s[12:13]
	s_cbranch_execnz .LBB271_43
.LBB271_31:                             ;   in Loop: Header=BB271_13 Depth=1
	s_or_b64 exec, exec, s[48:49]
	s_and_saveexec_b64 s[48:49], s[8:9]
	s_cbranch_execz .LBB271_12
	s_branch .LBB271_44
.LBB271_32:                             ;   in Loop: Header=BB271_13 Depth=1
	v_add3_u32 v24, v8, v15, s53
	v_cndmask_b32_e32 v24, v23, v24, vcc
	v_ashrrev_i32_e32 v25, 31, v24
	v_lshlrev_b64 v[24:25], 4, v[24:25]
	v_mov_b32_e32 v26, s23
	v_add_co_u32_e64 v24, s[0:1], s22, v24
	v_addc_co_u32_e64 v25, s[0:1], v26, v25, s[0:1]
	global_load_dwordx4 v[24:27], v[24:25], off
	v_add3_u32 v28, v8, v7, s53
	v_ashrrev_i32_e32 v29, 31, v28
	v_lshlrev_b64 v[30:31], 2, v[28:29]
	v_mov_b32_e32 v32, s25
	v_add_co_u32_e64 v30, s[0:1], s24, v30
	v_addc_co_u32_e64 v31, s[0:1], v32, v31, s[0:1]
	v_lshlrev_b64 v[28:29], 4, v[28:29]
	global_store_dword v[30:31], v19, off
	v_mov_b32_e32 v30, s21
	v_add_co_u32_e64 v28, s[0:1], s20, v28
	v_addc_co_u32_e64 v29, s[0:1], v30, v29, s[0:1]
	s_waitcnt vmcnt(1)
	global_store_dwordx4 v[28:29], v[24:27], off
	s_or_b64 exec, exec, s[48:49]
	v_add_u32_e32 v24, v8, v12
	s_and_saveexec_b64 s[48:49], s[36:37]
	s_cbranch_execz .LBB271_21
.LBB271_33:                             ;   in Loop: Header=BB271_13 Depth=1
	v_add3_u32 v25, v6, s52, 32
	v_cndmask_b32_e32 v26, v25, v24, vcc
	v_ashrrev_i32_e32 v27, 31, v26
	v_lshlrev_b64 v[26:27], 4, v[26:27]
	v_mov_b32_e32 v25, s23
	v_add_co_u32_e64 v26, s[0:1], s22, v26
	v_addc_co_u32_e64 v27, s[0:1], v25, v27, s[0:1]
	global_load_dwordx4 v[26:29], v[26:27], off
	v_add_u32_e32 v30, v8, v1
	v_ashrrev_i32_e32 v31, 31, v30
	v_lshlrev_b64 v[32:33], 2, v[30:31]
	v_mov_b32_e32 v25, s25
	v_add_co_u32_e64 v32, s[0:1], s24, v32
	v_addc_co_u32_e64 v33, s[0:1], v25, v33, s[0:1]
	v_lshlrev_b64 v[30:31], 4, v[30:31]
	v_mov_b32_e32 v25, s21
	v_add_co_u32_e64 v30, s[0:1], s20, v30
	v_addc_co_u32_e64 v31, s[0:1], v25, v31, s[0:1]
	global_store_dword v[32:33], v16, off
	s_waitcnt vmcnt(1)
	global_store_dwordx4 v[30:31], v[26:29], off
	s_or_b64 exec, exec, s[48:49]
	s_and_saveexec_b64 s[48:49], s[38:39]
	s_cbranch_execz .LBB271_22
.LBB271_34:                             ;   in Loop: Header=BB271_13 Depth=1
	v_cndmask_b32_e32 v24, v21, v24, vcc
	v_add_u32_e32 v24, 32, v24
	v_ashrrev_i32_e32 v25, 31, v24
	v_lshlrev_b64 v[24:25], 4, v[24:25]
	v_mov_b32_e32 v26, s23
	v_add_co_u32_e64 v24, s[0:1], s22, v24
	v_addc_co_u32_e64 v25, s[0:1], v26, v25, s[0:1]
	global_load_dwordx4 v[24:27], v[24:25], off
	v_add3_u32 v28, v8, v1, 32
	v_ashrrev_i32_e32 v29, 31, v28
	v_lshlrev_b64 v[30:31], 2, v[28:29]
	v_mov_b32_e32 v32, s25
	v_add_co_u32_e64 v30, s[0:1], s24, v30
	v_addc_co_u32_e64 v31, s[0:1], v32, v31, s[0:1]
	v_lshlrev_b64 v[28:29], 4, v[28:29]
	global_store_dword v[30:31], v17, off
	v_mov_b32_e32 v30, s21
	v_add_co_u32_e64 v28, s[0:1], s20, v28
	v_addc_co_u32_e64 v29, s[0:1], v30, v29, s[0:1]
	s_waitcnt vmcnt(1)
	global_store_dwordx4 v[28:29], v[24:27], off
	s_or_b64 exec, exec, s[48:49]
	s_and_saveexec_b64 s[48:49], s[40:41]
	s_cbranch_execz .LBB271_23
.LBB271_35:                             ;   in Loop: Header=BB271_13 Depth=1
	v_add3_u32 v24, v8, v12, 64
	v_add3_u32 v25, v2, s52, 32
	v_cndmask_b32_e32 v24, v25, v24, vcc
	v_ashrrev_i32_e32 v25, 31, v24
	v_lshlrev_b64 v[24:25], 4, v[24:25]
	v_mov_b32_e32 v26, s23
	v_add_co_u32_e64 v24, s[0:1], s22, v24
	v_addc_co_u32_e64 v25, s[0:1], v26, v25, s[0:1]
	global_load_dwordx4 v[24:27], v[24:25], off
	v_add3_u32 v28, v8, v1, 64
	v_ashrrev_i32_e32 v29, 31, v28
	v_lshlrev_b64 v[30:31], 2, v[28:29]
	v_mov_b32_e32 v32, s25
	v_add_co_u32_e64 v30, s[0:1], s24, v30
	v_addc_co_u32_e64 v31, s[0:1], v32, v31, s[0:1]
	v_lshlrev_b64 v[28:29], 4, v[28:29]
	global_store_dword v[30:31], v18, off
	v_mov_b32_e32 v30, s21
	v_add_co_u32_e64 v28, s[0:1], s20, v28
	v_addc_co_u32_e64 v29, s[0:1], v30, v29, s[0:1]
	s_waitcnt vmcnt(1)
	global_store_dwordx4 v[28:29], v[24:27], off
	s_or_b64 exec, exec, s[48:49]
	s_and_saveexec_b64 s[48:49], s[2:3]
	s_cbranch_execz .LBB271_24
.LBB271_36:                             ;   in Loop: Header=BB271_13 Depth=1
	v_add3_u32 v24, v8, v12, s53
	v_add3_u32 v25, v0, s52, 32
	v_cndmask_b32_e32 v24, v25, v24, vcc
	v_ashrrev_i32_e32 v25, 31, v24
	v_lshlrev_b64 v[24:25], 4, v[24:25]
	v_mov_b32_e32 v26, s23
	v_add_co_u32_e64 v24, s[0:1], s22, v24
	v_addc_co_u32_e64 v25, s[0:1], v26, v25, s[0:1]
	global_load_dwordx4 v[24:27], v[24:25], off
	v_add3_u32 v28, v8, v1, s53
	v_ashrrev_i32_e32 v29, 31, v28
	v_lshlrev_b64 v[30:31], 2, v[28:29]
	v_mov_b32_e32 v32, s25
	v_add_co_u32_e64 v30, s[0:1], s24, v30
	v_addc_co_u32_e64 v31, s[0:1], v32, v31, s[0:1]
	v_lshlrev_b64 v[28:29], 4, v[28:29]
	global_store_dword v[30:31], v19, off
	v_mov_b32_e32 v30, s21
	v_add_co_u32_e64 v28, s[0:1], s20, v28
	v_addc_co_u32_e64 v29, s[0:1], v30, v29, s[0:1]
	s_waitcnt vmcnt(1)
	global_store_dwordx4 v[28:29], v[24:27], off
	s_or_b64 exec, exec, s[48:49]
	v_add_u32_e32 v24, v8, v13
	s_and_saveexec_b64 s[48:49], s[42:43]
	s_cbranch_execz .LBB271_25
.LBB271_37:                             ;   in Loop: Header=BB271_13 Depth=1
	v_add3_u32 v25, v6, s52, 64
	v_cndmask_b32_e32 v26, v25, v24, vcc
	v_ashrrev_i32_e32 v27, 31, v26
	v_lshlrev_b64 v[26:27], 4, v[26:27]
	v_mov_b32_e32 v25, s23
	v_add_co_u32_e64 v26, s[0:1], s22, v26
	v_addc_co_u32_e64 v27, s[0:1], v25, v27, s[0:1]
	global_load_dwordx4 v[26:29], v[26:27], off
	v_add_u32_e32 v30, v8, v3
	v_ashrrev_i32_e32 v31, 31, v30
	v_lshlrev_b64 v[32:33], 2, v[30:31]
	v_mov_b32_e32 v25, s25
	v_add_co_u32_e64 v32, s[0:1], s24, v32
	v_addc_co_u32_e64 v33, s[0:1], v25, v33, s[0:1]
	v_lshlrev_b64 v[30:31], 4, v[30:31]
	v_mov_b32_e32 v25, s21
	v_add_co_u32_e64 v30, s[0:1], s20, v30
	v_addc_co_u32_e64 v31, s[0:1], v25, v31, s[0:1]
	global_store_dword v[32:33], v16, off
	s_waitcnt vmcnt(1)
	global_store_dwordx4 v[30:31], v[26:29], off
	s_or_b64 exec, exec, s[48:49]
	s_and_saveexec_b64 s[48:49], s[44:45]
	s_cbranch_execz .LBB271_26
.LBB271_38:                             ;   in Loop: Header=BB271_13 Depth=1
	v_add3_u32 v25, v8, v13, 32
	v_add3_u32 v26, v4, s52, 64
	v_cndmask_b32_e32 v26, v26, v25, vcc
	v_ashrrev_i32_e32 v27, 31, v26
	v_lshlrev_b64 v[26:27], 4, v[26:27]
	v_mov_b32_e32 v25, s23
	v_add_co_u32_e64 v26, s[0:1], s22, v26
	v_addc_co_u32_e64 v27, s[0:1], v25, v27, s[0:1]
	global_load_dwordx4 v[26:29], v[26:27], off
	v_add3_u32 v30, v8, v3, 32
	v_ashrrev_i32_e32 v31, 31, v30
	v_lshlrev_b64 v[32:33], 2, v[30:31]
	v_mov_b32_e32 v25, s25
	v_add_co_u32_e64 v32, s[0:1], s24, v32
	v_addc_co_u32_e64 v33, s[0:1], v25, v33, s[0:1]
	v_lshlrev_b64 v[30:31], 4, v[30:31]
	v_mov_b32_e32 v25, s21
	v_add_co_u32_e64 v30, s[0:1], s20, v30
	v_addc_co_u32_e64 v31, s[0:1], v25, v31, s[0:1]
	global_store_dword v[32:33], v17, off
	s_waitcnt vmcnt(1)
	global_store_dwordx4 v[30:31], v[26:29], off
	s_or_b64 exec, exec, s[48:49]
	s_and_saveexec_b64 s[48:49], s[46:47]
	s_cbranch_execz .LBB271_27
.LBB271_39:                             ;   in Loop: Header=BB271_13 Depth=1
	v_cndmask_b32_e32 v24, v22, v24, vcc
	v_add_u32_e32 v24, 64, v24
	v_ashrrev_i32_e32 v25, 31, v24
	v_lshlrev_b64 v[24:25], 4, v[24:25]
	v_mov_b32_e32 v26, s23
	v_add_co_u32_e64 v24, s[0:1], s22, v24
	v_addc_co_u32_e64 v25, s[0:1], v26, v25, s[0:1]
	global_load_dwordx4 v[24:27], v[24:25], off
	v_add3_u32 v28, v8, v3, 64
	v_ashrrev_i32_e32 v29, 31, v28
	v_lshlrev_b64 v[30:31], 2, v[28:29]
	v_mov_b32_e32 v32, s25
	v_add_co_u32_e64 v30, s[0:1], s24, v30
	v_addc_co_u32_e64 v31, s[0:1], v32, v31, s[0:1]
	v_lshlrev_b64 v[28:29], 4, v[28:29]
	global_store_dword v[30:31], v18, off
	v_mov_b32_e32 v30, s21
	v_add_co_u32_e64 v28, s[0:1], s20, v28
	v_addc_co_u32_e64 v29, s[0:1], v30, v29, s[0:1]
	s_waitcnt vmcnt(1)
	global_store_dwordx4 v[28:29], v[24:27], off
	s_or_b64 exec, exec, s[48:49]
	s_and_saveexec_b64 s[48:49], s[6:7]
	s_cbranch_execz .LBB271_28
.LBB271_40:                             ;   in Loop: Header=BB271_13 Depth=1
	v_add3_u32 v24, v8, v13, s53
	v_add3_u32 v25, v0, s52, 64
	v_cndmask_b32_e32 v24, v25, v24, vcc
	v_ashrrev_i32_e32 v25, 31, v24
	v_lshlrev_b64 v[24:25], 4, v[24:25]
	v_mov_b32_e32 v26, s23
	v_add_co_u32_e64 v24, s[0:1], s22, v24
	v_addc_co_u32_e64 v25, s[0:1], v26, v25, s[0:1]
	global_load_dwordx4 v[24:27], v[24:25], off
	v_add3_u32 v28, v8, v3, s53
	v_ashrrev_i32_e32 v29, 31, v28
	v_lshlrev_b64 v[30:31], 2, v[28:29]
	v_mov_b32_e32 v32, s25
	v_add_co_u32_e64 v30, s[0:1], s24, v30
	v_addc_co_u32_e64 v31, s[0:1], v32, v31, s[0:1]
	v_lshlrev_b64 v[28:29], 4, v[28:29]
	global_store_dword v[30:31], v19, off
	v_mov_b32_e32 v30, s21
	v_add_co_u32_e64 v28, s[0:1], s20, v28
	v_addc_co_u32_e64 v29, s[0:1], v30, v29, s[0:1]
	s_waitcnt vmcnt(1)
	global_store_dwordx4 v[28:29], v[24:27], off
	s_or_b64 exec, exec, s[48:49]
	v_add_u32_e32 v24, v8, v14
	s_and_saveexec_b64 s[48:49], s[4:5]
	s_cbranch_execz .LBB271_29
.LBB271_41:                             ;   in Loop: Header=BB271_13 Depth=1
	v_add_u32_e32 v20, 0x60, v20
	v_cndmask_b32_e32 v26, v20, v24, vcc
	v_ashrrev_i32_e32 v27, 31, v26
	v_lshlrev_b64 v[26:27], 4, v[26:27]
	v_mov_b32_e32 v20, s23
	v_add_co_u32_e64 v26, s[0:1], s22, v26
	v_addc_co_u32_e64 v27, s[0:1], v20, v27, s[0:1]
	global_load_dwordx4 v[26:29], v[26:27], off
	v_add_u32_e32 v30, v8, v5
	v_ashrrev_i32_e32 v31, 31, v30
	v_lshlrev_b64 v[32:33], 2, v[30:31]
	v_mov_b32_e32 v20, s25
	v_add_co_u32_e64 v32, s[0:1], s24, v32
	v_addc_co_u32_e64 v33, s[0:1], v20, v33, s[0:1]
	v_lshlrev_b64 v[30:31], 4, v[30:31]
	global_store_dword v[32:33], v16, off
	v_mov_b32_e32 v16, s21
	v_add_co_u32_e64 v30, s[0:1], s20, v30
	v_addc_co_u32_e64 v31, s[0:1], v16, v31, s[0:1]
	s_waitcnt vmcnt(1)
	global_store_dwordx4 v[30:31], v[26:29], off
	s_or_b64 exec, exec, s[48:49]
	s_and_saveexec_b64 s[48:49], s[10:11]
	s_cbranch_execz .LBB271_30
.LBB271_42:                             ;   in Loop: Header=BB271_13 Depth=1
	v_add3_u32 v16, v8, v14, 32
	v_add_u32_e32 v20, 0x60, v21
	v_cndmask_b32_e32 v20, v20, v16, vcc
	v_ashrrev_i32_e32 v21, 31, v20
	v_lshlrev_b64 v[20:21], 4, v[20:21]
	v_mov_b32_e32 v16, s23
	v_add_co_u32_e64 v20, s[0:1], s22, v20
	v_addc_co_u32_e64 v21, s[0:1], v16, v21, s[0:1]
	global_load_dwordx4 v[26:29], v[20:21], off
	v_add3_u32 v20, v8, v5, 32
	v_ashrrev_i32_e32 v21, 31, v20
	v_lshlrev_b64 v[30:31], 2, v[20:21]
	v_mov_b32_e32 v16, s25
	v_add_co_u32_e64 v30, s[0:1], s24, v30
	v_addc_co_u32_e64 v31, s[0:1], v16, v31, s[0:1]
	global_store_dword v[30:31], v17, off
	v_lshlrev_b64 v[16:17], 4, v[20:21]
	v_mov_b32_e32 v20, s21
	v_add_co_u32_e64 v16, s[0:1], s20, v16
	v_addc_co_u32_e64 v17, s[0:1], v20, v17, s[0:1]
	s_waitcnt vmcnt(1)
	global_store_dwordx4 v[16:17], v[26:29], off
	s_or_b64 exec, exec, s[48:49]
	s_and_saveexec_b64 s[48:49], s[12:13]
	s_cbranch_execz .LBB271_31
.LBB271_43:                             ;   in Loop: Header=BB271_13 Depth=1
	v_add3_u32 v16, v8, v14, 64
	v_add_u32_e32 v17, 0x60, v22
	v_cndmask_b32_e32 v16, v17, v16, vcc
	v_ashrrev_i32_e32 v17, 31, v16
	v_lshlrev_b64 v[16:17], 4, v[16:17]
	v_mov_b32_e32 v20, s23
	v_add_co_u32_e64 v16, s[0:1], s22, v16
	v_addc_co_u32_e64 v17, s[0:1], v20, v17, s[0:1]
	global_load_dwordx4 v[26:29], v[16:17], off
	v_add3_u32 v16, v8, v5, 64
	v_ashrrev_i32_e32 v17, 31, v16
	v_lshlrev_b64 v[20:21], 2, v[16:17]
	v_mov_b32_e32 v22, s25
	v_add_co_u32_e64 v20, s[0:1], s24, v20
	v_addc_co_u32_e64 v21, s[0:1], v22, v21, s[0:1]
	v_lshlrev_b64 v[16:17], 4, v[16:17]
	global_store_dword v[20:21], v18, off
	v_mov_b32_e32 v18, s21
	v_add_co_u32_e64 v16, s[0:1], s20, v16
	v_addc_co_u32_e64 v17, s[0:1], v18, v17, s[0:1]
	s_waitcnt vmcnt(1)
	global_store_dwordx4 v[16:17], v[26:29], off
	s_or_b64 exec, exec, s[48:49]
	s_and_saveexec_b64 s[48:49], s[8:9]
	s_cbranch_execz .LBB271_12
.LBB271_44:                             ;   in Loop: Header=BB271_13 Depth=1
	v_cndmask_b32_e32 v16, v23, v24, vcc
	v_add_u32_e32 v16, 0x60, v16
	v_ashrrev_i32_e32 v17, 31, v16
	v_lshlrev_b64 v[16:17], 4, v[16:17]
	v_mov_b32_e32 v18, s23
	v_add_co_u32_e64 v16, s[0:1], s22, v16
	v_addc_co_u32_e64 v17, s[0:1], v18, v17, s[0:1]
	global_load_dwordx4 v[20:23], v[16:17], off
	v_add3_u32 v16, v8, v5, s53
	v_ashrrev_i32_e32 v17, 31, v16
	v_lshlrev_b64 v[24:25], 2, v[16:17]
	v_mov_b32_e32 v18, s25
	v_add_co_u32_e64 v24, s[0:1], s24, v24
	v_addc_co_u32_e64 v25, s[0:1], v18, v25, s[0:1]
	v_lshlrev_b64 v[16:17], 4, v[16:17]
	v_mov_b32_e32 v18, s21
	v_add_co_u32_e64 v16, s[0:1], s20, v16
	v_addc_co_u32_e64 v17, s[0:1], v18, v17, s[0:1]
	global_store_dword v[24:25], v19, off
	s_waitcnt vmcnt(1)
	global_store_dwordx4 v[16:17], v[20:23], off
	s_branch .LBB271_12
.LBB271_45:
	s_endpgm
	.section	.rodata,"a",@progbits
	.p2align	6, 0x0
	.amdhsa_kernel _ZN9rocsparseL35bsr2csr_block_per_row_33_256_kernelILj1024ELj128ELj32E21rocsparse_complex_numIdEiiEEv20rocsparse_direction_T4_S4_21rocsparse_index_base_PKT2_PKT3_PKS4_S4_S5_PS6_PS9_PS4_
		.amdhsa_group_segment_fixed_size 0
		.amdhsa_private_segment_fixed_size 0
		.amdhsa_kernarg_size 72
		.amdhsa_user_sgpr_count 6
		.amdhsa_user_sgpr_private_segment_buffer 1
		.amdhsa_user_sgpr_dispatch_ptr 0
		.amdhsa_user_sgpr_queue_ptr 0
		.amdhsa_user_sgpr_kernarg_segment_ptr 1
		.amdhsa_user_sgpr_dispatch_id 0
		.amdhsa_user_sgpr_flat_scratch_init 0
		.amdhsa_user_sgpr_kernarg_preload_length 0
		.amdhsa_user_sgpr_kernarg_preload_offset 0
		.amdhsa_user_sgpr_private_segment_size 0
		.amdhsa_uses_dynamic_stack 0
		.amdhsa_system_sgpr_private_segment_wavefront_offset 0
		.amdhsa_system_sgpr_workgroup_id_x 1
		.amdhsa_system_sgpr_workgroup_id_y 0
		.amdhsa_system_sgpr_workgroup_id_z 0
		.amdhsa_system_sgpr_workgroup_info 0
		.amdhsa_system_vgpr_workitem_id 0
		.amdhsa_next_free_vgpr 34
		.amdhsa_next_free_sgpr 56
		.amdhsa_accum_offset 36
		.amdhsa_reserve_vcc 1
		.amdhsa_reserve_flat_scratch 0
		.amdhsa_float_round_mode_32 0
		.amdhsa_float_round_mode_16_64 0
		.amdhsa_float_denorm_mode_32 3
		.amdhsa_float_denorm_mode_16_64 3
		.amdhsa_dx10_clamp 1
		.amdhsa_ieee_mode 1
		.amdhsa_fp16_overflow 0
		.amdhsa_tg_split 0
		.amdhsa_exception_fp_ieee_invalid_op 0
		.amdhsa_exception_fp_denorm_src 0
		.amdhsa_exception_fp_ieee_div_zero 0
		.amdhsa_exception_fp_ieee_overflow 0
		.amdhsa_exception_fp_ieee_underflow 0
		.amdhsa_exception_fp_ieee_inexact 0
		.amdhsa_exception_int_div_zero 0
	.end_amdhsa_kernel
	.section	.text._ZN9rocsparseL35bsr2csr_block_per_row_33_256_kernelILj1024ELj128ELj32E21rocsparse_complex_numIdEiiEEv20rocsparse_direction_T4_S4_21rocsparse_index_base_PKT2_PKT3_PKS4_S4_S5_PS6_PS9_PS4_,"axG",@progbits,_ZN9rocsparseL35bsr2csr_block_per_row_33_256_kernelILj1024ELj128ELj32E21rocsparse_complex_numIdEiiEEv20rocsparse_direction_T4_S4_21rocsparse_index_base_PKT2_PKT3_PKS4_S4_S5_PS6_PS9_PS4_,comdat
.Lfunc_end271:
	.size	_ZN9rocsparseL35bsr2csr_block_per_row_33_256_kernelILj1024ELj128ELj32E21rocsparse_complex_numIdEiiEEv20rocsparse_direction_T4_S4_21rocsparse_index_base_PKT2_PKT3_PKS4_S4_S5_PS6_PS9_PS4_, .Lfunc_end271-_ZN9rocsparseL35bsr2csr_block_per_row_33_256_kernelILj1024ELj128ELj32E21rocsparse_complex_numIdEiiEEv20rocsparse_direction_T4_S4_21rocsparse_index_base_PKT2_PKT3_PKS4_S4_S5_PS6_PS9_PS4_
                                        ; -- End function
	.section	.AMDGPU.csdata,"",@progbits
; Kernel info:
; codeLenInByte = 3616
; NumSgprs: 60
; NumVgprs: 34
; NumAgprs: 0
; TotalNumVgprs: 34
; ScratchSize: 0
; MemoryBound: 0
; FloatMode: 240
; IeeeMode: 1
; LDSByteSize: 0 bytes/workgroup (compile time only)
; SGPRBlocks: 7
; VGPRBlocks: 4
; NumSGPRsForWavesPerEU: 60
; NumVGPRsForWavesPerEU: 34
; AccumOffset: 36
; Occupancy: 8
; WaveLimiterHint : 0
; COMPUTE_PGM_RSRC2:SCRATCH_EN: 0
; COMPUTE_PGM_RSRC2:USER_SGPR: 6
; COMPUTE_PGM_RSRC2:TRAP_HANDLER: 0
; COMPUTE_PGM_RSRC2:TGID_X_EN: 1
; COMPUTE_PGM_RSRC2:TGID_Y_EN: 0
; COMPUTE_PGM_RSRC2:TGID_Z_EN: 0
; COMPUTE_PGM_RSRC2:TIDIG_COMP_CNT: 0
; COMPUTE_PGM_RSRC3_GFX90A:ACCUM_OFFSET: 8
; COMPUTE_PGM_RSRC3_GFX90A:TG_SPLIT: 0
	.section	.text._ZN9rocsparseL35bsr2csr_block_per_row_33_256_kernelILj1024ELj256ELj32E21rocsparse_complex_numIdEiiEEv20rocsparse_direction_T4_S4_21rocsparse_index_base_PKT2_PKT3_PKS4_S4_S5_PS6_PS9_PS4_,"axG",@progbits,_ZN9rocsparseL35bsr2csr_block_per_row_33_256_kernelILj1024ELj256ELj32E21rocsparse_complex_numIdEiiEEv20rocsparse_direction_T4_S4_21rocsparse_index_base_PKT2_PKT3_PKS4_S4_S5_PS6_PS9_PS4_,comdat
	.globl	_ZN9rocsparseL35bsr2csr_block_per_row_33_256_kernelILj1024ELj256ELj32E21rocsparse_complex_numIdEiiEEv20rocsparse_direction_T4_S4_21rocsparse_index_base_PKT2_PKT3_PKS4_S4_S5_PS6_PS9_PS4_ ; -- Begin function _ZN9rocsparseL35bsr2csr_block_per_row_33_256_kernelILj1024ELj256ELj32E21rocsparse_complex_numIdEiiEEv20rocsparse_direction_T4_S4_21rocsparse_index_base_PKT2_PKT3_PKS4_S4_S5_PS6_PS9_PS4_
	.p2align	8
	.type	_ZN9rocsparseL35bsr2csr_block_per_row_33_256_kernelILj1024ELj256ELj32E21rocsparse_complex_numIdEiiEEv20rocsparse_direction_T4_S4_21rocsparse_index_base_PKT2_PKT3_PKS4_S4_S5_PS6_PS9_PS4_,@function
_ZN9rocsparseL35bsr2csr_block_per_row_33_256_kernelILj1024ELj256ELj32E21rocsparse_complex_numIdEiiEEv20rocsparse_direction_T4_S4_21rocsparse_index_base_PKT2_PKT3_PKS4_S4_S5_PS6_PS9_PS4_: ; @_ZN9rocsparseL35bsr2csr_block_per_row_33_256_kernelILj1024ELj256ELj32E21rocsparse_complex_numIdEiiEEv20rocsparse_direction_T4_S4_21rocsparse_index_base_PKT2_PKT3_PKS4_S4_S5_PS6_PS9_PS4_
; %bb.0:
	s_load_dwordx2 s[0:1], s[4:5], 0x18
	s_load_dwordx2 s[36:37], s[4:5], 0x28
	;; [unrolled: 1-line block ×3, first 2 shown]
	s_ashr_i32 s7, s6, 31
	s_lshl_b64 s[8:9], s[6:7], 2
	s_waitcnt lgkmcnt(0)
	s_add_u32 s0, s0, s8
	s_addc_u32 s1, s1, s9
	s_load_dwordx2 s[88:89], s[0:1], 0x0
	v_or_b32_e32 v1, s6, v0
	v_cmp_eq_u32_e32 vcc, 0, v1
	s_and_saveexec_b64 s[0:1], vcc
	s_cbranch_execz .LBB272_2
; %bb.1:
	v_mov_b32_e32 v1, 0
	v_mov_b32_e32 v2, s37
	global_store_dword v1, v2, s[2:3]
.LBB272_2:
	s_or_b64 exec, exec, s[0:1]
	s_load_dword s0, s[4:5], 0xc
                                        ; implicit-def: $vgpr59 : SGPR spill to VGPR lane
	v_lshrrev_b32_e32 v18, 5, v0
	s_mul_i32 s20, s6, s36
	s_waitcnt lgkmcnt(0)
	s_sub_i32 s38, s88, s0
	v_writelane_b32 v59, s0, 0
	s_sub_i32 s0, s89, s0
	s_mul_i32 s33, s38, s36
	s_mov_b32 s95, s0
	s_sub_i32 s90, s0, s38
	s_mul_i32 s0, s33, s36
	s_mul_i32 s21, s90, s36
	s_add_i32 s22, s0, s37
	s_add_i32 s22, s22, s21
	v_cmp_gt_i32_e64 s[0:1], s36, v18
	s_and_saveexec_b64 s[6:7], s[0:1]
	s_cbranch_execz .LBB272_4
; %bb.3:
	v_add_u32_e32 v2, s20, v18
	v_ashrrev_i32_e32 v3, 31, v2
	v_lshlrev_b64 v[2:3], 2, v[2:3]
	v_mul_lo_u32 v1, v18, s21
	v_mov_b32_e32 v4, s3
	v_add_co_u32_e32 v2, vcc, s2, v2
	v_add_u32_e32 v1, s22, v1
	v_addc_co_u32_e32 v3, vcc, v4, v3, vcc
	global_store_dword v[2:3], v1, off offset:4
.LBB272_4:
	s_or_b64 exec, exec, s[6:7]
	s_add_u32 s23, s2, 4
	v_or_b32_e32 v1, 32, v18
	s_addc_u32 s24, s3, 0
	v_cmp_gt_i32_e64 s[2:3], s36, v1
	s_and_saveexec_b64 s[6:7], s[2:3]
	s_cbranch_execz .LBB272_6
; %bb.5:
	s_ashr_i32 s8, s20, 31
	v_mov_b32_e32 v3, s8
	v_add_co_u32_e32 v2, vcc, s20, v18
	v_addc_co_u32_e32 v3, vcc, 0, v3, vcc
	v_lshlrev_b64 v[2:3], 2, v[2:3]
	v_mul_lo_u32 v1, v1, s21
	v_mov_b32_e32 v4, s24
	v_add_co_u32_e32 v2, vcc, s23, v2
	v_add_u32_e32 v1, s22, v1
	v_addc_co_u32_e32 v3, vcc, v4, v3, vcc
	global_store_dword v[2:3], v1, off offset:128
.LBB272_6:
	s_or_b64 exec, exec, s[6:7]
	v_or_b32_e32 v1, 64, v18
	v_cmp_gt_i32_e64 s[6:7], s36, v1
	s_and_saveexec_b64 s[8:9], s[6:7]
	s_cbranch_execz .LBB272_8
; %bb.7:
	s_ashr_i32 s10, s20, 31
	v_mov_b32_e32 v3, s10
	v_add_co_u32_e32 v2, vcc, s20, v18
	v_addc_co_u32_e32 v3, vcc, 0, v3, vcc
	v_lshlrev_b64 v[2:3], 2, v[2:3]
	v_mul_lo_u32 v1, v1, s21
	v_mov_b32_e32 v4, s24
	v_add_co_u32_e32 v2, vcc, s23, v2
	v_add_u32_e32 v1, s22, v1
	v_addc_co_u32_e32 v3, vcc, v4, v3, vcc
	global_store_dword v[2:3], v1, off offset:256
.LBB272_8:
	s_or_b64 exec, exec, s[8:9]
	v_or_b32_e32 v1, 0x60, v18
	;; [unrolled: 18-line block ×6, first 2 shown]
	v_cmp_gt_i32_e64 s[16:17], s36, v1
	s_and_saveexec_b64 s[18:19], s[16:17]
	s_cbranch_execz .LBB272_18
; %bb.17:
	v_mul_lo_u32 v1, v1, s21
	s_ashr_i32 s21, s20, 31
	v_mov_b32_e32 v3, s21
	v_add_co_u32_e32 v2, vcc, s20, v18
	v_addc_co_u32_e32 v3, vcc, 0, v3, vcc
	v_lshlrev_b64 v[2:3], 2, v[2:3]
	v_mov_b32_e32 v4, s24
	v_add_co_u32_e32 v2, vcc, s23, v2
	v_add_u32_e32 v1, s22, v1
	v_addc_co_u32_e32 v3, vcc, v4, v3, vcc
	global_store_dword v[2:3], v1, off offset:896
.LBB272_18:
	s_or_b64 exec, exec, s[18:19]
	s_cmp_lt_i32 s88, s89
	s_cbranch_scc0 .LBB272_149
; %bb.19:
	s_load_dword s22, s[4:5], 0x0
	v_and_b32_e32 v0, 31, v0
	v_or_b32_e32 v1, 32, v0
	v_add_u32_e32 v19, s33, v0
	v_add_u32_e32 v32, s33, v18
	v_cmp_gt_i32_e64 s[18:19], s36, v0
	s_waitcnt lgkmcnt(0)
	s_cmp_eq_u32 s22, 0
	v_mad_u64_u32 v[2:3], s[44:45], s36, v19, v[18:19]
	v_mad_u64_u32 v[4:5], s[44:45], s36, v32, v[0:1]
	s_cselect_b64 vcc, -1, 0
	s_and_b64 s[44:45], s[0:1], s[18:19]
	v_cmp_gt_i32_e64 s[20:21], s36, v1
	v_writelane_b32 v59, s44, 1
	v_or_b32_e32 v34, 64, v0
	v_writelane_b32 v59, s45, 2
	s_and_b64 s[44:45], s[0:1], s[20:21]
	v_cmp_gt_i32_e64 s[22:23], s36, v34
	v_writelane_b32 v59, s44, 3
	v_or_b32_e32 v35, 0x60, v0
	v_writelane_b32 v59, s45, 4
	;; [unrolled: 5-line block ×6, first 2 shown]
	s_and_b64 s[44:45], s[0:1], s[30:31]
	v_cmp_gt_i32_e64 s[34:35], s36, v39
	v_writelane_b32 v59, s44, 13
	v_writelane_b32 v59, s45, 14
	s_and_b64 s[0:1], s[0:1], s[34:35]
	v_writelane_b32 v59, s0, 15
	v_writelane_b32 v59, s1, 16
	s_and_b64 s[0:1], s[2:3], s[18:19]
	;; [unrolled: 3-line block ×21, first 2 shown]
	v_writelane_b32 v59, s0, 55
	v_writelane_b32 v59, s1, 56
	s_load_dwordx2 s[0:1], s[4:5], 0x20
	s_ashr_i32 s39, s38, 31
	s_and_b64 s[44:45], s[8:9], s[26:27]
	s_and_b64 s[46:47], s[8:9], s[28:29]
	;; [unrolled: 1-line block ×36, first 2 shown]
	s_lshl_b32 s91, s88, 7
	s_lshl_b32 s92, s88, 6
	s_lshl_b32 s93, s88, 5
	s_lshl_b64 s[34:35], s[38:39], 2
	v_mul_lo_u32 v3, v18, s90
	s_waitcnt lgkmcnt(0)
	s_add_u32 s34, s0, s34
	v_add_u32_e32 v40, s33, v3
	s_mul_i32 s0, s89, 0xe0
	v_add_u32_e32 v3, s0, v40
	s_mul_i32 s0, s88, 0xe0
	v_subrev_u32_e32 v3, s0, v3
	s_mul_i32 s0, s89, 0xc0
	v_add_u32_e32 v5, s0, v40
	s_mul_i32 s0, s88, 0xc0
	v_subrev_u32_e32 v5, s0, v5
	s_mul_i32 s0, s89, 0xa0
	v_add_u32_e32 v6, s0, v40
	s_mul_i32 s0, s88, 0xa0
	v_subrev_u32_e32 v41, s0, v6
	v_lshl_add_u32 v6, s89, 7, v40
	s_mul_i32 s0, s89, 0x60
	v_subrev_u32_e32 v42, s91, v6
	v_add_u32_e32 v6, s0, v40
	s_mul_i32 s0, s88, 0x60
	v_lshl_add_u32 v7, s89, 6, v40
	v_subrev_u32_e32 v43, s0, v6
	v_add_u32_e32 v6, 0xe0, v19
	s_addc_u32 s35, s1, s35
	v_subrev_u32_e32 v44, s92, v7
	v_mad_u64_u32 v[6:7], s[0:1], s36, v6, v[18:19]
	v_lshl_add_u32 v8, s89, 5, v40
	v_add_u32_e32 v7, 0xc0, v19
	v_subrev_u32_e32 v45, s93, v8
	v_mad_u64_u32 v[8:9], s[0:1], s36, v7, v[18:19]
	v_add_u32_e32 v7, 0xa0, v19
	v_mad_u64_u32 v[10:11], s[0:1], s36, v7, v[18:19]
	v_add_u32_e32 v7, 0x80, v19
	;; [unrolled: 2-line block ×8, first 2 shown]
	s_load_dwordx2 s[40:41], s[4:5], 0x30
	s_load_dwordx2 s[42:43], s[4:5], 0x10
	v_mad_u64_u32 v[24:25], s[0:1], s36, v7, v[0:1]
	s_load_dwordx2 s[4:5], s[4:5], 0x40
	v_add_u32_e32 v7, 0x80, v32
	v_mad_u64_u32 v[26:27], s[0:1], s36, v7, v[0:1]
	v_add_u32_e32 v7, 0xa0, v32
	v_mad_u64_u32 v[28:29], s[0:1], s36, v7, v[0:1]
	;; [unrolled: 2-line block ×4, first 2 shown]
	v_mul_lo_u32 v3, s36, v3
	v_mul_lo_u32 v5, s36, v5
	;; [unrolled: 1-line block ×8, first 2 shown]
	v_cndmask_b32_e32 v19, v2, v4, vcc
	s_mov_b32 s39, 0
	s_movk_i32 s33, 0x60
	s_movk_i32 s90, 0x80
	;; [unrolled: 1-line block ×5, first 2 shown]
	s_branch .LBB272_21
.LBB272_20:                             ;   in Loop: Header=BB272_21 Depth=1
	s_or_b64 exec, exec, s[88:89]
	s_mul_i32 s0, s36, s36
	s_add_i32 s38, s38, 1
	s_add_i32 s39, s39, s0
	s_add_u32 s34, s34, 4
	s_addc_u32 s35, s35, 0
	v_add_u32_e32 v3, s36, v3
	v_add_u32_e32 v5, s36, v5
	;; [unrolled: 1-line block ×7, first 2 shown]
	s_cmp_ge_i32 s38, s95
	v_add_u32_e32 v17, s36, v17
	s_cbranch_scc1 .LBB272_149
.LBB272_21:                             ; =>This Inner Loop Header: Depth=1
	s_load_dword s0, s[34:35], 0x0
	v_readlane_b32 s1, v59, 0
	s_waitcnt lgkmcnt(0)
	s_sub_i32 s0, s0, s1
	s_mul_i32 s94, s0, s36
	s_add_i32 s94, s94, s37
	v_add_u32_e32 v21, s94, v0
	s_mov_b64 s[88:89], exec
	v_readlane_b32 s0, v59, 1
	v_readlane_b32 s1, v59, 2
	s_and_b64 s[0:1], s[88:89], s[0:1]
	s_mov_b64 exec, s[0:1]
	s_cbranch_execz .LBB272_23
; %bb.22:                               ;   in Loop: Header=BB272_21 Depth=1
	v_add_u32_e32 v40, s39, v19
	v_ashrrev_i32_e32 v41, 31, v40
	v_lshlrev_b64 v[40:41], 4, v[40:41]
	v_mov_b32_e32 v23, s43
	v_add_co_u32_e64 v40, s[0:1], s42, v40
	v_addc_co_u32_e64 v41, s[0:1], v23, v41, s[0:1]
	global_load_dwordx4 v[40:43], v[40:41], off
	v_add_u32_e32 v44, v0, v17
	v_ashrrev_i32_e32 v45, 31, v44
	v_lshlrev_b64 v[46:47], 2, v[44:45]
	v_mov_b32_e32 v23, s5
	v_add_co_u32_e64 v46, s[0:1], s4, v46
	v_addc_co_u32_e64 v47, s[0:1], v23, v47, s[0:1]
	v_lshlrev_b64 v[44:45], 4, v[44:45]
	v_mov_b32_e32 v23, s41
	v_add_co_u32_e64 v44, s[0:1], s40, v44
	v_addc_co_u32_e64 v45, s[0:1], v23, v45, s[0:1]
	global_store_dword v[46:47], v21, off
	s_waitcnt vmcnt(1)
	global_store_dwordx4 v[44:45], v[40:43], off
.LBB272_23:                             ;   in Loop: Header=BB272_21 Depth=1
	s_or_b64 exec, exec, s[88:89]
	v_add_u32_e32 v23, s94, v1
	v_add_u32_e32 v41, s39, v18
	s_mov_b64 s[88:89], exec
	v_readlane_b32 s0, v59, 3
	v_readlane_b32 s1, v59, 4
	s_and_b64 s[0:1], s[88:89], s[0:1]
	s_mov_b64 exec, s[0:1]
	s_cbranch_execz .LBB272_25
; %bb.24:                               ;   in Loop: Header=BB272_21 Depth=1
	v_add3_u32 v25, v4, s39, 32
	v_cndmask_b32_e32 v42, v41, v25, vcc
	v_ashrrev_i32_e32 v43, 31, v42
	v_lshlrev_b64 v[42:43], 4, v[42:43]
	v_mov_b32_e32 v25, s43
	v_add_co_u32_e64 v42, s[0:1], s42, v42
	v_addc_co_u32_e64 v43, s[0:1], v25, v43, s[0:1]
	global_load_dwordx4 v[42:45], v[42:43], off
	v_add3_u32 v46, v0, v17, 32
	v_ashrrev_i32_e32 v47, 31, v46
	v_lshlrev_b64 v[48:49], 2, v[46:47]
	v_mov_b32_e32 v25, s5
	v_add_co_u32_e64 v48, s[0:1], s4, v48
	v_addc_co_u32_e64 v49, s[0:1], v25, v49, s[0:1]
	v_lshlrev_b64 v[46:47], 4, v[46:47]
	v_mov_b32_e32 v25, s41
	v_add_co_u32_e64 v46, s[0:1], s40, v46
	v_addc_co_u32_e64 v47, s[0:1], v25, v47, s[0:1]
	global_store_dword v[48:49], v23, off
	s_waitcnt vmcnt(1)
	global_store_dwordx4 v[46:47], v[42:45], off
.LBB272_25:                             ;   in Loop: Header=BB272_21 Depth=1
	s_or_b64 exec, exec, s[88:89]
	v_add_u32_e32 v25, s94, v34
	v_add_u32_e32 v42, s39, v16
	s_mov_b64 s[88:89], exec
	v_readlane_b32 s0, v59, 5
	v_readlane_b32 s1, v59, 6
	s_and_b64 s[0:1], s[88:89], s[0:1]
	s_mov_b64 exec, s[0:1]
	s_cbranch_execz .LBB272_27
; %bb.26:                               ;   in Loop: Header=BB272_21 Depth=1
	v_add3_u32 v27, v4, s39, 64
	v_cndmask_b32_e32 v44, v42, v27, vcc
	v_ashrrev_i32_e32 v45, 31, v44
	v_lshlrev_b64 v[44:45], 4, v[44:45]
	v_mov_b32_e32 v27, s43
	v_add_co_u32_e64 v44, s[0:1], s42, v44
	v_addc_co_u32_e64 v45, s[0:1], v27, v45, s[0:1]
	global_load_dwordx4 v[44:47], v[44:45], off
	v_add3_u32 v48, v0, v17, 64
	v_ashrrev_i32_e32 v49, 31, v48
	v_lshlrev_b64 v[50:51], 2, v[48:49]
	v_mov_b32_e32 v27, s5
	v_add_co_u32_e64 v50, s[0:1], s4, v50
	v_addc_co_u32_e64 v51, s[0:1], v27, v51, s[0:1]
	v_lshlrev_b64 v[48:49], 4, v[48:49]
	v_mov_b32_e32 v27, s41
	v_add_co_u32_e64 v48, s[0:1], s40, v48
	v_addc_co_u32_e64 v49, s[0:1], v27, v49, s[0:1]
	global_store_dword v[50:51], v25, off
	s_waitcnt vmcnt(1)
	global_store_dwordx4 v[48:49], v[44:47], off
.LBB272_27:                             ;   in Loop: Header=BB272_21 Depth=1
	s_or_b64 exec, exec, s[88:89]
	v_add_u32_e32 v27, s94, v35
	v_add_u32_e32 v48, s39, v4
	;; [unrolled: 1-line block ×3, first 2 shown]
	s_mov_b64 s[88:89], exec
	v_readlane_b32 s0, v59, 7
	v_readlane_b32 s1, v59, 8
	s_and_b64 s[0:1], s[88:89], s[0:1]
	s_mov_b64 exec, s[0:1]
	s_cbranch_execz .LBB272_29
; %bb.28:                               ;   in Loop: Header=BB272_21 Depth=1
	v_add_u32_e32 v29, 0x60, v48
	v_cndmask_b32_e32 v44, v43, v29, vcc
	v_ashrrev_i32_e32 v45, 31, v44
	v_lshlrev_b64 v[44:45], 4, v[44:45]
	v_mov_b32_e32 v29, s43
	v_add_co_u32_e64 v44, s[0:1], s42, v44
	v_addc_co_u32_e64 v45, s[0:1], v29, v45, s[0:1]
	global_load_dwordx4 v[44:47], v[44:45], off
	v_add3_u32 v50, v0, v17, s33
	v_ashrrev_i32_e32 v51, 31, v50
	v_lshlrev_b64 v[52:53], 2, v[50:51]
	v_mov_b32_e32 v29, s5
	v_add_co_u32_e64 v52, s[0:1], s4, v52
	v_addc_co_u32_e64 v53, s[0:1], v29, v53, s[0:1]
	v_lshlrev_b64 v[50:51], 4, v[50:51]
	v_mov_b32_e32 v29, s41
	v_add_co_u32_e64 v50, s[0:1], s40, v50
	v_addc_co_u32_e64 v51, s[0:1], v29, v51, s[0:1]
	global_store_dword v[52:53], v27, off
	s_waitcnt vmcnt(1)
	global_store_dwordx4 v[50:51], v[44:47], off
.LBB272_29:                             ;   in Loop: Header=BB272_21 Depth=1
	s_or_b64 exec, exec, s[88:89]
	v_add_u32_e32 v29, s94, v36
	v_add_u32_e32 v44, s39, v12
	s_mov_b64 s[88:89], exec
	v_readlane_b32 s0, v59, 9
	v_readlane_b32 s1, v59, 10
	s_and_b64 s[0:1], s[88:89], s[0:1]
	s_mov_b64 exec, s[0:1]
	s_cbranch_execz .LBB272_31
; %bb.30:                               ;   in Loop: Header=BB272_21 Depth=1
	v_add_u32_e32 v31, 0x80, v48
	v_cndmask_b32_e32 v46, v44, v31, vcc
	v_ashrrev_i32_e32 v47, 31, v46
	v_lshlrev_b64 v[46:47], 4, v[46:47]
	v_mov_b32_e32 v31, s43
	v_add_co_u32_e64 v46, s[0:1], s42, v46
	v_addc_co_u32_e64 v47, s[0:1], v31, v47, s[0:1]
	global_load_dwordx4 v[50:53], v[46:47], off
	v_add3_u32 v46, v0, v17, s90
	v_ashrrev_i32_e32 v47, 31, v46
	v_lshlrev_b64 v[54:55], 2, v[46:47]
	v_mov_b32_e32 v31, s5
	v_add_co_u32_e64 v54, s[0:1], s4, v54
	v_addc_co_u32_e64 v55, s[0:1], v31, v55, s[0:1]
	v_lshlrev_b64 v[46:47], 4, v[46:47]
	v_mov_b32_e32 v31, s41
	v_add_co_u32_e64 v46, s[0:1], s40, v46
	v_addc_co_u32_e64 v47, s[0:1], v31, v47, s[0:1]
	global_store_dword v[54:55], v29, off
	s_waitcnt vmcnt(1)
	global_store_dwordx4 v[46:47], v[50:53], off
.LBB272_31:                             ;   in Loop: Header=BB272_21 Depth=1
	s_or_b64 exec, exec, s[88:89]
	v_add_u32_e32 v31, s94, v37
	v_add_u32_e32 v45, s39, v10
	;; [unrolled: 32-line block ×4, first 2 shown]
	s_mov_b64 s[88:89], exec
	v_readlane_b32 s0, v59, 15
	v_readlane_b32 s1, v59, 16
	s_and_b64 s[0:1], s[88:89], s[0:1]
	s_mov_b64 exec, s[0:1]
	s_cbranch_execz .LBB272_37
; %bb.36:                               ;   in Loop: Header=BB272_21 Depth=1
	v_add_u32_e32 v48, 0xe0, v48
	v_cndmask_b32_e32 v48, v47, v48, vcc
	v_ashrrev_i32_e32 v49, 31, v48
	v_lshlrev_b64 v[48:49], 4, v[48:49]
	v_mov_b32_e32 v50, s43
	v_add_co_u32_e64 v48, s[0:1], s42, v48
	v_addc_co_u32_e64 v49, s[0:1], v50, v49, s[0:1]
	global_load_dwordx4 v[48:51], v[48:49], off
	v_add3_u32 v52, v0, v17, s93
	v_ashrrev_i32_e32 v53, 31, v52
	v_lshlrev_b64 v[54:55], 2, v[52:53]
	v_mov_b32_e32 v56, s5
	v_add_co_u32_e64 v54, s[0:1], s4, v54
	v_addc_co_u32_e64 v55, s[0:1], v56, v55, s[0:1]
	v_lshlrev_b64 v[52:53], 4, v[52:53]
	global_store_dword v[54:55], v40, off
	v_mov_b32_e32 v54, s41
	v_add_co_u32_e64 v52, s[0:1], s40, v52
	v_addc_co_u32_e64 v53, s[0:1], v54, v53, s[0:1]
	s_waitcnt vmcnt(1)
	global_store_dwordx4 v[52:53], v[48:51], off
.LBB272_37:                             ;   in Loop: Header=BB272_21 Depth=1
	s_or_b64 exec, exec, s[88:89]
	v_add_u32_e32 v48, s39, v20
	s_mov_b64 s[88:89], exec
	v_readlane_b32 s0, v59, 17
	v_readlane_b32 s1, v59, 18
	s_and_b64 s[0:1], s[88:89], s[0:1]
	s_mov_b64 exec, s[0:1]
	s_cbranch_execz .LBB272_39
; %bb.38:                               ;   in Loop: Header=BB272_21 Depth=1
	v_add3_u32 v49, v2, s39, 32
	v_cndmask_b32_e32 v50, v49, v48, vcc
	v_ashrrev_i32_e32 v51, 31, v50
	v_lshlrev_b64 v[50:51], 4, v[50:51]
	v_mov_b32_e32 v49, s43
	v_add_co_u32_e64 v50, s[0:1], s42, v50
	v_addc_co_u32_e64 v51, s[0:1], v49, v51, s[0:1]
	global_load_dwordx4 v[50:53], v[50:51], off
	v_add_u32_e32 v54, v0, v15
	v_ashrrev_i32_e32 v55, 31, v54
	v_lshlrev_b64 v[56:57], 2, v[54:55]
	v_mov_b32_e32 v49, s5
	v_add_co_u32_e64 v56, s[0:1], s4, v56
	v_addc_co_u32_e64 v57, s[0:1], v49, v57, s[0:1]
	v_lshlrev_b64 v[54:55], 4, v[54:55]
	v_mov_b32_e32 v49, s41
	v_add_co_u32_e64 v54, s[0:1], s40, v54
	v_addc_co_u32_e64 v55, s[0:1], v49, v55, s[0:1]
	global_store_dword v[56:57], v21, off
	s_waitcnt vmcnt(1)
	global_store_dwordx4 v[54:55], v[50:53], off
.LBB272_39:                             ;   in Loop: Header=BB272_21 Depth=1
	s_or_b64 exec, exec, s[88:89]
	s_mov_b64 s[88:89], exec
	v_readlane_b32 s0, v59, 19
	v_readlane_b32 s1, v59, 20
	s_and_b64 s[0:1], s[88:89], s[0:1]
	s_mov_b64 exec, s[0:1]
	s_cbranch_execz .LBB272_41
; %bb.40:                               ;   in Loop: Header=BB272_21 Depth=1
	v_cndmask_b32_e32 v49, v18, v20, vcc
	v_add3_u32 v50, v49, s39, 32
	v_ashrrev_i32_e32 v51, 31, v50
	v_lshlrev_b64 v[50:51], 4, v[50:51]
	v_mov_b32_e32 v49, s43
	v_add_co_u32_e64 v50, s[0:1], s42, v50
	v_addc_co_u32_e64 v51, s[0:1], v49, v51, s[0:1]
	global_load_dwordx4 v[50:53], v[50:51], off
	v_add3_u32 v54, v0, v15, 32
	v_ashrrev_i32_e32 v55, 31, v54
	v_lshlrev_b64 v[56:57], 2, v[54:55]
	v_mov_b32_e32 v49, s5
	v_add_co_u32_e64 v56, s[0:1], s4, v56
	v_addc_co_u32_e64 v57, s[0:1], v49, v57, s[0:1]
	v_lshlrev_b64 v[54:55], 4, v[54:55]
	v_mov_b32_e32 v49, s41
	v_add_co_u32_e64 v54, s[0:1], s40, v54
	v_addc_co_u32_e64 v55, s[0:1], v49, v55, s[0:1]
	global_store_dword v[56:57], v23, off
	s_waitcnt vmcnt(1)
	global_store_dwordx4 v[54:55], v[50:53], off
.LBB272_41:                             ;   in Loop: Header=BB272_21 Depth=1
	s_or_b64 exec, exec, s[88:89]
	s_mov_b64 s[88:89], exec
	v_readlane_b32 s0, v59, 21
	v_readlane_b32 s1, v59, 22
	s_and_b64 s[0:1], s[88:89], s[0:1]
	s_mov_b64 exec, s[0:1]
	s_cbranch_execz .LBB272_43
; %bb.42:                               ;   in Loop: Header=BB272_21 Depth=1
	v_add3_u32 v49, v20, s39, 64
	v_add3_u32 v50, v16, s39, 32
	v_cndmask_b32_e32 v50, v50, v49, vcc
	v_ashrrev_i32_e32 v51, 31, v50
	v_lshlrev_b64 v[50:51], 4, v[50:51]
	v_mov_b32_e32 v49, s43
	v_add_co_u32_e64 v50, s[0:1], s42, v50
	v_addc_co_u32_e64 v51, s[0:1], v49, v51, s[0:1]
	global_load_dwordx4 v[50:53], v[50:51], off
	v_add3_u32 v54, v0, v15, 64
	v_ashrrev_i32_e32 v55, 31, v54
	v_lshlrev_b64 v[56:57], 2, v[54:55]
	v_mov_b32_e32 v49, s5
	v_add_co_u32_e64 v56, s[0:1], s4, v56
	v_addc_co_u32_e64 v57, s[0:1], v49, v57, s[0:1]
	v_lshlrev_b64 v[54:55], 4, v[54:55]
	v_mov_b32_e32 v49, s41
	v_add_co_u32_e64 v54, s[0:1], s40, v54
	v_addc_co_u32_e64 v55, s[0:1], v49, v55, s[0:1]
	global_store_dword v[56:57], v25, off
	s_waitcnt vmcnt(1)
	global_store_dwordx4 v[54:55], v[50:53], off
.LBB272_43:                             ;   in Loop: Header=BB272_21 Depth=1
	s_or_b64 exec, exec, s[88:89]
	s_mov_b64 s[88:89], exec
	v_readlane_b32 s0, v59, 23
	v_readlane_b32 s1, v59, 24
	s_and_b64 s[0:1], s[88:89], s[0:1]
	s_mov_b64 exec, s[0:1]
	s_cbranch_execz .LBB272_45
; %bb.44:                               ;   in Loop: Header=BB272_21 Depth=1
	v_add_u32_e32 v49, 0x60, v48
	v_add3_u32 v50, v14, s39, 32
	v_cndmask_b32_e32 v50, v50, v49, vcc
	v_ashrrev_i32_e32 v51, 31, v50
	v_lshlrev_b64 v[50:51], 4, v[50:51]
	v_mov_b32_e32 v49, s43
	v_add_co_u32_e64 v50, s[0:1], s42, v50
	v_addc_co_u32_e64 v51, s[0:1], v49, v51, s[0:1]
	global_load_dwordx4 v[50:53], v[50:51], off
	v_add3_u32 v54, v0, v15, s33
	v_ashrrev_i32_e32 v55, 31, v54
	v_lshlrev_b64 v[56:57], 2, v[54:55]
	v_mov_b32_e32 v49, s5
	v_add_co_u32_e64 v56, s[0:1], s4, v56
	v_addc_co_u32_e64 v57, s[0:1], v49, v57, s[0:1]
	v_lshlrev_b64 v[54:55], 4, v[54:55]
	v_mov_b32_e32 v49, s41
	v_add_co_u32_e64 v54, s[0:1], s40, v54
	v_addc_co_u32_e64 v55, s[0:1], v49, v55, s[0:1]
	global_store_dword v[56:57], v27, off
	s_waitcnt vmcnt(1)
	global_store_dwordx4 v[54:55], v[50:53], off
.LBB272_45:                             ;   in Loop: Header=BB272_21 Depth=1
	s_or_b64 exec, exec, s[88:89]
	s_mov_b64 s[88:89], exec
	v_readlane_b32 s0, v59, 25
	v_readlane_b32 s1, v59, 26
	s_and_b64 s[0:1], s[88:89], s[0:1]
	s_mov_b64 exec, s[0:1]
	s_cbranch_execz .LBB272_47
; %bb.46:                               ;   in Loop: Header=BB272_21 Depth=1
	v_add_u32_e32 v49, 0x80, v48
	v_add3_u32 v50, v12, s39, 32
	v_cndmask_b32_e32 v50, v50, v49, vcc
	v_ashrrev_i32_e32 v51, 31, v50
	v_lshlrev_b64 v[50:51], 4, v[50:51]
	v_mov_b32_e32 v49, s43
	v_add_co_u32_e64 v50, s[0:1], s42, v50
	v_addc_co_u32_e64 v51, s[0:1], v49, v51, s[0:1]
	global_load_dwordx4 v[50:53], v[50:51], off
	v_add3_u32 v54, v0, v15, s90
	v_ashrrev_i32_e32 v55, 31, v54
	v_lshlrev_b64 v[56:57], 2, v[54:55]
	v_mov_b32_e32 v49, s5
	v_add_co_u32_e64 v56, s[0:1], s4, v56
	v_addc_co_u32_e64 v57, s[0:1], v49, v57, s[0:1]
	v_lshlrev_b64 v[54:55], 4, v[54:55]
	v_mov_b32_e32 v49, s41
	v_add_co_u32_e64 v54, s[0:1], s40, v54
	v_addc_co_u32_e64 v55, s[0:1], v49, v55, s[0:1]
	global_store_dword v[56:57], v29, off
	s_waitcnt vmcnt(1)
	global_store_dwordx4 v[54:55], v[50:53], off
.LBB272_47:                             ;   in Loop: Header=BB272_21 Depth=1
	;; [unrolled: 31-line block ×4, first 2 shown]
	s_or_b64 exec, exec, s[88:89]
	s_mov_b64 s[88:89], exec
	v_readlane_b32 s0, v59, 31
	v_readlane_b32 s1, v59, 32
	s_and_b64 s[0:1], s[88:89], s[0:1]
	s_mov_b64 exec, s[0:1]
	s_cbranch_execz .LBB272_53
; %bb.52:                               ;   in Loop: Header=BB272_21 Depth=1
	v_add_u32_e32 v48, 0xe0, v48
	v_add3_u32 v49, v6, s39, 32
	v_cndmask_b32_e32 v48, v49, v48, vcc
	v_ashrrev_i32_e32 v49, 31, v48
	v_lshlrev_b64 v[48:49], 4, v[48:49]
	v_mov_b32_e32 v50, s43
	v_add_co_u32_e64 v48, s[0:1], s42, v48
	v_addc_co_u32_e64 v49, s[0:1], v50, v49, s[0:1]
	global_load_dwordx4 v[48:51], v[48:49], off
	v_add3_u32 v52, v0, v15, s93
	v_ashrrev_i32_e32 v53, 31, v52
	v_lshlrev_b64 v[54:55], 2, v[52:53]
	v_mov_b32_e32 v56, s5
	v_add_co_u32_e64 v54, s[0:1], s4, v54
	v_addc_co_u32_e64 v55, s[0:1], v56, v55, s[0:1]
	v_lshlrev_b64 v[52:53], 4, v[52:53]
	global_store_dword v[54:55], v40, off
	v_mov_b32_e32 v54, s41
	v_add_co_u32_e64 v52, s[0:1], s40, v52
	v_addc_co_u32_e64 v53, s[0:1], v54, v53, s[0:1]
	s_waitcnt vmcnt(1)
	global_store_dwordx4 v[52:53], v[48:51], off
.LBB272_53:                             ;   in Loop: Header=BB272_21 Depth=1
	s_or_b64 exec, exec, s[88:89]
	v_add_u32_e32 v48, s39, v22
	s_mov_b64 s[88:89], exec
	v_readlane_b32 s0, v59, 33
	v_readlane_b32 s1, v59, 34
	s_and_b64 s[0:1], s[88:89], s[0:1]
	s_mov_b64 exec, s[0:1]
	s_cbranch_execz .LBB272_55
; %bb.54:                               ;   in Loop: Header=BB272_21 Depth=1
	v_add3_u32 v49, v2, s39, 64
	v_cndmask_b32_e32 v50, v49, v48, vcc
	v_ashrrev_i32_e32 v51, 31, v50
	v_lshlrev_b64 v[50:51], 4, v[50:51]
	v_mov_b32_e32 v49, s43
	v_add_co_u32_e64 v50, s[0:1], s42, v50
	v_addc_co_u32_e64 v51, s[0:1], v49, v51, s[0:1]
	global_load_dwordx4 v[50:53], v[50:51], off
	v_add_u32_e32 v54, v0, v13
	v_ashrrev_i32_e32 v55, 31, v54
	v_lshlrev_b64 v[56:57], 2, v[54:55]
	v_mov_b32_e32 v49, s5
	v_add_co_u32_e64 v56, s[0:1], s4, v56
	v_addc_co_u32_e64 v57, s[0:1], v49, v57, s[0:1]
	v_lshlrev_b64 v[54:55], 4, v[54:55]
	v_mov_b32_e32 v49, s41
	v_add_co_u32_e64 v54, s[0:1], s40, v54
	v_addc_co_u32_e64 v55, s[0:1], v49, v55, s[0:1]
	global_store_dword v[56:57], v21, off
	s_waitcnt vmcnt(1)
	global_store_dwordx4 v[54:55], v[50:53], off
.LBB272_55:                             ;   in Loop: Header=BB272_21 Depth=1
	s_or_b64 exec, exec, s[88:89]
	s_mov_b64 s[88:89], exec
	v_readlane_b32 s0, v59, 35
	v_readlane_b32 s1, v59, 36
	s_and_b64 s[0:1], s[88:89], s[0:1]
	s_mov_b64 exec, s[0:1]
	s_cbranch_execz .LBB272_57
; %bb.56:                               ;   in Loop: Header=BB272_21 Depth=1
	v_add3_u32 v49, v22, s39, 32
	v_add3_u32 v50, v18, s39, 64
	v_cndmask_b32_e32 v50, v50, v49, vcc
	v_ashrrev_i32_e32 v51, 31, v50
	v_lshlrev_b64 v[50:51], 4, v[50:51]
	v_mov_b32_e32 v49, s43
	v_add_co_u32_e64 v50, s[0:1], s42, v50
	v_addc_co_u32_e64 v51, s[0:1], v49, v51, s[0:1]
	global_load_dwordx4 v[50:53], v[50:51], off
	v_add3_u32 v54, v0, v13, 32
	v_ashrrev_i32_e32 v55, 31, v54
	v_lshlrev_b64 v[56:57], 2, v[54:55]
	v_mov_b32_e32 v49, s5
	v_add_co_u32_e64 v56, s[0:1], s4, v56
	v_addc_co_u32_e64 v57, s[0:1], v49, v57, s[0:1]
	v_lshlrev_b64 v[54:55], 4, v[54:55]
	v_mov_b32_e32 v49, s41
	v_add_co_u32_e64 v54, s[0:1], s40, v54
	v_addc_co_u32_e64 v55, s[0:1], v49, v55, s[0:1]
	global_store_dword v[56:57], v23, off
	s_waitcnt vmcnt(1)
	global_store_dwordx4 v[54:55], v[50:53], off
.LBB272_57:                             ;   in Loop: Header=BB272_21 Depth=1
	s_or_b64 exec, exec, s[88:89]
	s_mov_b64 s[88:89], exec
	v_readlane_b32 s0, v59, 37
	v_readlane_b32 s1, v59, 38
	s_and_b64 s[0:1], s[88:89], s[0:1]
	s_mov_b64 exec, s[0:1]
	s_cbranch_execz .LBB272_59
; %bb.58:                               ;   in Loop: Header=BB272_21 Depth=1
	v_cndmask_b32_e32 v49, v16, v22, vcc
	v_add3_u32 v50, v49, s39, 64
	v_ashrrev_i32_e32 v51, 31, v50
	v_lshlrev_b64 v[50:51], 4, v[50:51]
	v_mov_b32_e32 v49, s43
	v_add_co_u32_e64 v50, s[0:1], s42, v50
	v_addc_co_u32_e64 v51, s[0:1], v49, v51, s[0:1]
	global_load_dwordx4 v[50:53], v[50:51], off
	v_add3_u32 v54, v0, v13, 64
	v_ashrrev_i32_e32 v55, 31, v54
	v_lshlrev_b64 v[56:57], 2, v[54:55]
	v_mov_b32_e32 v49, s5
	v_add_co_u32_e64 v56, s[0:1], s4, v56
	v_addc_co_u32_e64 v57, s[0:1], v49, v57, s[0:1]
	v_lshlrev_b64 v[54:55], 4, v[54:55]
	v_mov_b32_e32 v49, s41
	v_add_co_u32_e64 v54, s[0:1], s40, v54
	v_addc_co_u32_e64 v55, s[0:1], v49, v55, s[0:1]
	global_store_dword v[56:57], v25, off
	s_waitcnt vmcnt(1)
	global_store_dwordx4 v[54:55], v[50:53], off
.LBB272_59:                             ;   in Loop: Header=BB272_21 Depth=1
	s_or_b64 exec, exec, s[88:89]
	s_mov_b64 s[88:89], exec
	v_readlane_b32 s0, v59, 39
	v_readlane_b32 s1, v59, 40
	s_and_b64 s[0:1], s[88:89], s[0:1]
	s_mov_b64 exec, s[0:1]
	s_cbranch_execz .LBB272_61
; %bb.60:                               ;   in Loop: Header=BB272_21 Depth=1
	v_add_u32_e32 v49, 0x60, v48
	v_add3_u32 v50, v14, s39, 64
	v_cndmask_b32_e32 v50, v50, v49, vcc
	v_ashrrev_i32_e32 v51, 31, v50
	v_lshlrev_b64 v[50:51], 4, v[50:51]
	v_mov_b32_e32 v49, s43
	v_add_co_u32_e64 v50, s[0:1], s42, v50
	v_addc_co_u32_e64 v51, s[0:1], v49, v51, s[0:1]
	global_load_dwordx4 v[50:53], v[50:51], off
	v_add3_u32 v54, v0, v13, s33
	v_ashrrev_i32_e32 v55, 31, v54
	v_lshlrev_b64 v[56:57], 2, v[54:55]
	v_mov_b32_e32 v49, s5
	v_add_co_u32_e64 v56, s[0:1], s4, v56
	v_addc_co_u32_e64 v57, s[0:1], v49, v57, s[0:1]
	v_lshlrev_b64 v[54:55], 4, v[54:55]
	v_mov_b32_e32 v49, s41
	v_add_co_u32_e64 v54, s[0:1], s40, v54
	v_addc_co_u32_e64 v55, s[0:1], v49, v55, s[0:1]
	global_store_dword v[56:57], v27, off
	s_waitcnt vmcnt(1)
	global_store_dwordx4 v[54:55], v[50:53], off
.LBB272_61:                             ;   in Loop: Header=BB272_21 Depth=1
	s_or_b64 exec, exec, s[88:89]
	s_mov_b64 s[88:89], exec
	v_readlane_b32 s0, v59, 41
	v_readlane_b32 s1, v59, 42
	s_and_b64 s[0:1], s[88:89], s[0:1]
	s_mov_b64 exec, s[0:1]
	s_cbranch_execz .LBB272_63
; %bb.62:                               ;   in Loop: Header=BB272_21 Depth=1
	v_add_u32_e32 v49, 0x80, v48
	v_add3_u32 v50, v12, s39, 64
	v_cndmask_b32_e32 v50, v50, v49, vcc
	v_ashrrev_i32_e32 v51, 31, v50
	v_lshlrev_b64 v[50:51], 4, v[50:51]
	v_mov_b32_e32 v49, s43
	v_add_co_u32_e64 v50, s[0:1], s42, v50
	v_addc_co_u32_e64 v51, s[0:1], v49, v51, s[0:1]
	global_load_dwordx4 v[50:53], v[50:51], off
	v_add3_u32 v54, v0, v13, s90
	v_ashrrev_i32_e32 v55, 31, v54
	v_lshlrev_b64 v[56:57], 2, v[54:55]
	v_mov_b32_e32 v49, s5
	v_add_co_u32_e64 v56, s[0:1], s4, v56
	v_addc_co_u32_e64 v57, s[0:1], v49, v57, s[0:1]
	v_lshlrev_b64 v[54:55], 4, v[54:55]
	v_mov_b32_e32 v49, s41
	v_add_co_u32_e64 v54, s[0:1], s40, v54
	v_addc_co_u32_e64 v55, s[0:1], v49, v55, s[0:1]
	global_store_dword v[56:57], v29, off
	s_waitcnt vmcnt(1)
	global_store_dwordx4 v[54:55], v[50:53], off
.LBB272_63:                             ;   in Loop: Header=BB272_21 Depth=1
	;; [unrolled: 31-line block ×4, first 2 shown]
	s_or_b64 exec, exec, s[88:89]
	s_mov_b64 s[88:89], exec
	v_readlane_b32 s0, v59, 47
	v_readlane_b32 s1, v59, 48
	s_and_b64 s[0:1], s[88:89], s[0:1]
	s_mov_b64 exec, s[0:1]
	s_cbranch_execz .LBB272_69
; %bb.68:                               ;   in Loop: Header=BB272_21 Depth=1
	v_add_u32_e32 v48, 0xe0, v48
	v_add3_u32 v49, v6, s39, 64
	v_cndmask_b32_e32 v48, v49, v48, vcc
	v_ashrrev_i32_e32 v49, 31, v48
	v_lshlrev_b64 v[48:49], 4, v[48:49]
	v_mov_b32_e32 v50, s43
	v_add_co_u32_e64 v48, s[0:1], s42, v48
	v_addc_co_u32_e64 v49, s[0:1], v50, v49, s[0:1]
	global_load_dwordx4 v[48:51], v[48:49], off
	v_add3_u32 v52, v0, v13, s93
	v_ashrrev_i32_e32 v53, 31, v52
	v_lshlrev_b64 v[54:55], 2, v[52:53]
	v_mov_b32_e32 v56, s5
	v_add_co_u32_e64 v54, s[0:1], s4, v54
	v_addc_co_u32_e64 v55, s[0:1], v56, v55, s[0:1]
	v_lshlrev_b64 v[52:53], 4, v[52:53]
	global_store_dword v[54:55], v40, off
	v_mov_b32_e32 v54, s41
	v_add_co_u32_e64 v52, s[0:1], s40, v52
	v_addc_co_u32_e64 v53, s[0:1], v54, v53, s[0:1]
	s_waitcnt vmcnt(1)
	global_store_dwordx4 v[52:53], v[48:51], off
.LBB272_69:                             ;   in Loop: Header=BB272_21 Depth=1
	s_or_b64 exec, exec, s[88:89]
	v_add_u32_e32 v49, s39, v24
	v_add_u32_e32 v48, s39, v2
	s_mov_b64 s[88:89], exec
	v_readlane_b32 s0, v59, 49
	v_readlane_b32 s1, v59, 50
	s_and_b64 s[0:1], s[88:89], s[0:1]
	s_mov_b64 exec, s[0:1]
	s_cbranch_execz .LBB272_71
; %bb.70:                               ;   in Loop: Header=BB272_21 Depth=1
	v_add_u32_e32 v50, 0x60, v48
	v_cndmask_b32_e32 v50, v50, v49, vcc
	v_ashrrev_i32_e32 v51, 31, v50
	v_lshlrev_b64 v[50:51], 4, v[50:51]
	v_mov_b32_e32 v52, s43
	v_add_co_u32_e64 v50, s[0:1], s42, v50
	v_addc_co_u32_e64 v51, s[0:1], v52, v51, s[0:1]
	global_load_dwordx4 v[50:53], v[50:51], off
	v_add_u32_e32 v54, v0, v11
	v_ashrrev_i32_e32 v55, 31, v54
	v_lshlrev_b64 v[56:57], 2, v[54:55]
	v_mov_b32_e32 v58, s5
	v_add_co_u32_e64 v56, s[0:1], s4, v56
	v_addc_co_u32_e64 v57, s[0:1], v58, v57, s[0:1]
	v_lshlrev_b64 v[54:55], 4, v[54:55]
	global_store_dword v[56:57], v21, off
	v_mov_b32_e32 v56, s41
	v_add_co_u32_e64 v54, s[0:1], s40, v54
	v_addc_co_u32_e64 v55, s[0:1], v56, v55, s[0:1]
	s_waitcnt vmcnt(1)
	global_store_dwordx4 v[54:55], v[50:53], off
.LBB272_71:                             ;   in Loop: Header=BB272_21 Depth=1
	s_or_b64 exec, exec, s[88:89]
	s_mov_b64 s[88:89], exec
	v_readlane_b32 s0, v59, 51
	v_readlane_b32 s1, v59, 52
	s_and_b64 s[0:1], s[88:89], s[0:1]
	s_mov_b64 exec, s[0:1]
	s_cbranch_execz .LBB272_73
; %bb.72:                               ;   in Loop: Header=BB272_21 Depth=1
	v_add3_u32 v50, v24, s39, 32
	v_add_u32_e32 v51, 0x60, v41
	v_cndmask_b32_e32 v50, v51, v50, vcc
	v_ashrrev_i32_e32 v51, 31, v50
	v_lshlrev_b64 v[50:51], 4, v[50:51]
	v_mov_b32_e32 v52, s43
	v_add_co_u32_e64 v50, s[0:1], s42, v50
	v_addc_co_u32_e64 v51, s[0:1], v52, v51, s[0:1]
	global_load_dwordx4 v[50:53], v[50:51], off
	v_add3_u32 v54, v0, v11, 32
	v_ashrrev_i32_e32 v55, 31, v54
	v_lshlrev_b64 v[56:57], 2, v[54:55]
	v_mov_b32_e32 v58, s5
	v_add_co_u32_e64 v56, s[0:1], s4, v56
	v_addc_co_u32_e64 v57, s[0:1], v58, v57, s[0:1]
	v_lshlrev_b64 v[54:55], 4, v[54:55]
	global_store_dword v[56:57], v23, off
	v_mov_b32_e32 v56, s41
	v_add_co_u32_e64 v54, s[0:1], s40, v54
	v_addc_co_u32_e64 v55, s[0:1], v56, v55, s[0:1]
	s_waitcnt vmcnt(1)
	global_store_dwordx4 v[54:55], v[50:53], off
.LBB272_73:                             ;   in Loop: Header=BB272_21 Depth=1
	s_or_b64 exec, exec, s[88:89]
	s_mov_b64 s[88:89], exec
	v_readlane_b32 s0, v59, 53
	v_readlane_b32 s1, v59, 54
	s_and_b64 s[0:1], s[88:89], s[0:1]
	s_mov_b64 exec, s[0:1]
	s_cbranch_execz .LBB272_75
; %bb.74:                               ;   in Loop: Header=BB272_21 Depth=1
	v_add3_u32 v50, v24, s39, 64
	v_add_u32_e32 v51, 0x60, v42
	v_cndmask_b32_e32 v50, v51, v50, vcc
	v_ashrrev_i32_e32 v51, 31, v50
	v_lshlrev_b64 v[50:51], 4, v[50:51]
	v_mov_b32_e32 v52, s43
	v_add_co_u32_e64 v50, s[0:1], s42, v50
	v_addc_co_u32_e64 v51, s[0:1], v52, v51, s[0:1]
	global_load_dwordx4 v[50:53], v[50:51], off
	v_add3_u32 v54, v0, v11, 64
	v_ashrrev_i32_e32 v55, 31, v54
	v_lshlrev_b64 v[56:57], 2, v[54:55]
	v_mov_b32_e32 v58, s5
	v_add_co_u32_e64 v56, s[0:1], s4, v56
	v_addc_co_u32_e64 v57, s[0:1], v58, v57, s[0:1]
	v_lshlrev_b64 v[54:55], 4, v[54:55]
	global_store_dword v[56:57], v25, off
	v_mov_b32_e32 v56, s41
	v_add_co_u32_e64 v54, s[0:1], s40, v54
	v_addc_co_u32_e64 v55, s[0:1], v56, v55, s[0:1]
	s_waitcnt vmcnt(1)
	global_store_dwordx4 v[54:55], v[50:53], off
.LBB272_75:                             ;   in Loop: Header=BB272_21 Depth=1
	s_or_b64 exec, exec, s[88:89]
	s_mov_b64 s[88:89], exec
	v_readlane_b32 s0, v59, 55
	v_readlane_b32 s1, v59, 56
	s_and_b64 s[0:1], s[88:89], s[0:1]
	s_mov_b64 exec, s[0:1]
	s_cbranch_execnz .LBB272_112
; %bb.76:                               ;   in Loop: Header=BB272_21 Depth=1
	s_or_b64 exec, exec, s[88:89]
	s_and_saveexec_b64 s[88:89], s[44:45]
	s_cbranch_execnz .LBB272_113
.LBB272_77:                             ;   in Loop: Header=BB272_21 Depth=1
	s_or_b64 exec, exec, s[88:89]
	s_and_saveexec_b64 s[88:89], s[46:47]
	s_cbranch_execnz .LBB272_114
.LBB272_78:                             ;   in Loop: Header=BB272_21 Depth=1
	s_or_b64 exec, exec, s[88:89]
	s_and_saveexec_b64 s[88:89], s[48:49]
	s_cbranch_execnz .LBB272_115
.LBB272_79:                             ;   in Loop: Header=BB272_21 Depth=1
	s_or_b64 exec, exec, s[88:89]
	s_and_saveexec_b64 s[88:89], s[8:9]
	s_cbranch_execnz .LBB272_116
.LBB272_80:                             ;   in Loop: Header=BB272_21 Depth=1
	s_or_b64 exec, exec, s[88:89]
	v_add_u32_e32 v49, s39, v26
	s_and_saveexec_b64 s[88:89], s[50:51]
	s_cbranch_execnz .LBB272_117
.LBB272_81:                             ;   in Loop: Header=BB272_21 Depth=1
	s_or_b64 exec, exec, s[88:89]
	s_and_saveexec_b64 s[88:89], s[52:53]
	s_cbranch_execnz .LBB272_118
.LBB272_82:                             ;   in Loop: Header=BB272_21 Depth=1
	s_or_b64 exec, exec, s[88:89]
	s_and_saveexec_b64 s[88:89], s[54:55]
	s_cbranch_execnz .LBB272_119
.LBB272_83:                             ;   in Loop: Header=BB272_21 Depth=1
	s_or_b64 exec, exec, s[88:89]
	s_and_saveexec_b64 s[88:89], s[56:57]
	s_cbranch_execnz .LBB272_120
.LBB272_84:                             ;   in Loop: Header=BB272_21 Depth=1
	s_or_b64 exec, exec, s[88:89]
	s_and_saveexec_b64 s[88:89], s[58:59]
	s_cbranch_execnz .LBB272_121
.LBB272_85:                             ;   in Loop: Header=BB272_21 Depth=1
	s_or_b64 exec, exec, s[88:89]
	s_and_saveexec_b64 s[88:89], s[60:61]
	s_cbranch_execnz .LBB272_122
.LBB272_86:                             ;   in Loop: Header=BB272_21 Depth=1
	s_or_b64 exec, exec, s[88:89]
	s_and_saveexec_b64 s[88:89], s[62:63]
	s_cbranch_execnz .LBB272_123
.LBB272_87:                             ;   in Loop: Header=BB272_21 Depth=1
	s_or_b64 exec, exec, s[88:89]
	s_and_saveexec_b64 s[88:89], s[10:11]
	s_cbranch_execnz .LBB272_124
.LBB272_88:                             ;   in Loop: Header=BB272_21 Depth=1
	s_or_b64 exec, exec, s[88:89]
	v_add_u32_e32 v49, s39, v28
	s_and_saveexec_b64 s[88:89], s[64:65]
	s_cbranch_execnz .LBB272_125
.LBB272_89:                             ;   in Loop: Header=BB272_21 Depth=1
	s_or_b64 exec, exec, s[88:89]
	s_and_saveexec_b64 s[88:89], s[66:67]
	s_cbranch_execnz .LBB272_126
.LBB272_90:                             ;   in Loop: Header=BB272_21 Depth=1
	s_or_b64 exec, exec, s[88:89]
	s_and_saveexec_b64 s[88:89], s[68:69]
	s_cbranch_execnz .LBB272_127
.LBB272_91:                             ;   in Loop: Header=BB272_21 Depth=1
	s_or_b64 exec, exec, s[88:89]
	s_and_saveexec_b64 s[88:89], s[70:71]
	s_cbranch_execnz .LBB272_128
.LBB272_92:                             ;   in Loop: Header=BB272_21 Depth=1
	s_or_b64 exec, exec, s[88:89]
	s_and_saveexec_b64 s[88:89], s[72:73]
	s_cbranch_execnz .LBB272_129
.LBB272_93:                             ;   in Loop: Header=BB272_21 Depth=1
	s_or_b64 exec, exec, s[88:89]
	s_and_saveexec_b64 s[88:89], s[2:3]
	s_cbranch_execnz .LBB272_130
.LBB272_94:                             ;   in Loop: Header=BB272_21 Depth=1
	s_or_b64 exec, exec, s[88:89]
	s_and_saveexec_b64 s[88:89], s[74:75]
	s_cbranch_execnz .LBB272_131
.LBB272_95:                             ;   in Loop: Header=BB272_21 Depth=1
	s_or_b64 exec, exec, s[88:89]
	s_and_saveexec_b64 s[88:89], s[12:13]
	s_cbranch_execnz .LBB272_132
.LBB272_96:                             ;   in Loop: Header=BB272_21 Depth=1
	s_or_b64 exec, exec, s[88:89]
	v_add_u32_e32 v49, s39, v30
	s_and_saveexec_b64 s[88:89], s[76:77]
	s_cbranch_execnz .LBB272_133
.LBB272_97:                             ;   in Loop: Header=BB272_21 Depth=1
	s_or_b64 exec, exec, s[88:89]
	s_and_saveexec_b64 s[88:89], s[78:79]
	s_cbranch_execnz .LBB272_134
.LBB272_98:                             ;   in Loop: Header=BB272_21 Depth=1
	s_or_b64 exec, exec, s[88:89]
	s_and_saveexec_b64 s[88:89], s[80:81]
	s_cbranch_execnz .LBB272_135
.LBB272_99:                             ;   in Loop: Header=BB272_21 Depth=1
	s_or_b64 exec, exec, s[88:89]
	s_and_saveexec_b64 s[88:89], s[82:83]
	s_cbranch_execnz .LBB272_136
.LBB272_100:                            ;   in Loop: Header=BB272_21 Depth=1
	s_or_b64 exec, exec, s[88:89]
	s_and_saveexec_b64 s[88:89], s[84:85]
	s_cbranch_execnz .LBB272_137
.LBB272_101:                            ;   in Loop: Header=BB272_21 Depth=1
	s_or_b64 exec, exec, s[88:89]
	s_and_saveexec_b64 s[88:89], s[86:87]
	s_cbranch_execnz .LBB272_138
.LBB272_102:                            ;   in Loop: Header=BB272_21 Depth=1
	s_or_b64 exec, exec, s[88:89]
	s_and_saveexec_b64 s[88:89], s[6:7]
	s_cbranch_execnz .LBB272_139
.LBB272_103:                            ;   in Loop: Header=BB272_21 Depth=1
	s_or_b64 exec, exec, s[88:89]
	s_and_saveexec_b64 s[88:89], s[14:15]
	s_cbranch_execnz .LBB272_140
.LBB272_104:                            ;   in Loop: Header=BB272_21 Depth=1
	s_or_b64 exec, exec, s[88:89]
	v_add_u32_e32 v47, s39, v32
	s_and_saveexec_b64 s[88:89], s[18:19]
	s_cbranch_execnz .LBB272_141
.LBB272_105:                            ;   in Loop: Header=BB272_21 Depth=1
	s_or_b64 exec, exec, s[88:89]
	s_and_saveexec_b64 s[88:89], s[20:21]
	s_cbranch_execnz .LBB272_142
.LBB272_106:                            ;   in Loop: Header=BB272_21 Depth=1
	s_or_b64 exec, exec, s[88:89]
	s_and_saveexec_b64 s[88:89], s[22:23]
	s_cbranch_execnz .LBB272_143
.LBB272_107:                            ;   in Loop: Header=BB272_21 Depth=1
	s_or_b64 exec, exec, s[88:89]
	s_and_saveexec_b64 s[88:89], s[24:25]
	s_cbranch_execnz .LBB272_144
.LBB272_108:                            ;   in Loop: Header=BB272_21 Depth=1
	s_or_b64 exec, exec, s[88:89]
	s_and_saveexec_b64 s[88:89], s[26:27]
	s_cbranch_execnz .LBB272_145
.LBB272_109:                            ;   in Loop: Header=BB272_21 Depth=1
	s_or_b64 exec, exec, s[88:89]
	s_and_saveexec_b64 s[88:89], s[28:29]
	s_cbranch_execnz .LBB272_146
.LBB272_110:                            ;   in Loop: Header=BB272_21 Depth=1
	s_or_b64 exec, exec, s[88:89]
	s_and_saveexec_b64 s[88:89], s[30:31]
	s_cbranch_execnz .LBB272_147
.LBB272_111:                            ;   in Loop: Header=BB272_21 Depth=1
	s_or_b64 exec, exec, s[88:89]
	s_and_saveexec_b64 s[88:89], s[16:17]
	s_cbranch_execz .LBB272_20
	s_branch .LBB272_148
.LBB272_112:                            ;   in Loop: Header=BB272_21 Depth=1
	v_cndmask_b32_e32 v50, v14, v24, vcc
	v_add_u32_e32 v50, s39, v50
	v_add_u32_e32 v50, 0x60, v50
	v_ashrrev_i32_e32 v51, 31, v50
	v_lshlrev_b64 v[50:51], 4, v[50:51]
	v_mov_b32_e32 v52, s43
	v_add_co_u32_e64 v50, s[0:1], s42, v50
	v_addc_co_u32_e64 v51, s[0:1], v52, v51, s[0:1]
	global_load_dwordx4 v[50:53], v[50:51], off
	v_add3_u32 v54, v0, v11, s33
	v_ashrrev_i32_e32 v55, 31, v54
	v_lshlrev_b64 v[56:57], 2, v[54:55]
	v_mov_b32_e32 v58, s5
	v_add_co_u32_e64 v56, s[0:1], s4, v56
	v_addc_co_u32_e64 v57, s[0:1], v58, v57, s[0:1]
	v_lshlrev_b64 v[54:55], 4, v[54:55]
	global_store_dword v[56:57], v27, off
	v_mov_b32_e32 v56, s41
	v_add_co_u32_e64 v54, s[0:1], s40, v54
	v_addc_co_u32_e64 v55, s[0:1], v56, v55, s[0:1]
	s_waitcnt vmcnt(1)
	global_store_dwordx4 v[54:55], v[50:53], off
	s_or_b64 exec, exec, s[88:89]
	s_and_saveexec_b64 s[88:89], s[44:45]
	s_cbranch_execz .LBB272_77
.LBB272_113:                            ;   in Loop: Header=BB272_21 Depth=1
	v_add_u32_e32 v50, 0x80, v49
	v_add_u32_e32 v51, 0x60, v44
	v_cndmask_b32_e32 v50, v51, v50, vcc
	v_ashrrev_i32_e32 v51, 31, v50
	v_lshlrev_b64 v[50:51], 4, v[50:51]
	v_mov_b32_e32 v52, s43
	v_add_co_u32_e64 v50, s[0:1], s42, v50
	v_addc_co_u32_e64 v51, s[0:1], v52, v51, s[0:1]
	global_load_dwordx4 v[50:53], v[50:51], off
	v_add3_u32 v54, v0, v11, s90
	v_ashrrev_i32_e32 v55, 31, v54
	v_lshlrev_b64 v[56:57], 2, v[54:55]
	v_mov_b32_e32 v58, s5
	v_add_co_u32_e64 v56, s[0:1], s4, v56
	v_addc_co_u32_e64 v57, s[0:1], v58, v57, s[0:1]
	v_lshlrev_b64 v[54:55], 4, v[54:55]
	global_store_dword v[56:57], v29, off
	v_mov_b32_e32 v56, s41
	v_add_co_u32_e64 v54, s[0:1], s40, v54
	v_addc_co_u32_e64 v55, s[0:1], v56, v55, s[0:1]
	s_waitcnt vmcnt(1)
	global_store_dwordx4 v[54:55], v[50:53], off
	s_or_b64 exec, exec, s[88:89]
	s_and_saveexec_b64 s[88:89], s[46:47]
	s_cbranch_execz .LBB272_78
.LBB272_114:                            ;   in Loop: Header=BB272_21 Depth=1
	v_add_u32_e32 v50, 0xa0, v49
	v_add_u32_e32 v51, 0x60, v45
	v_cndmask_b32_e32 v50, v51, v50, vcc
	v_ashrrev_i32_e32 v51, 31, v50
	v_lshlrev_b64 v[50:51], 4, v[50:51]
	v_mov_b32_e32 v52, s43
	v_add_co_u32_e64 v50, s[0:1], s42, v50
	v_addc_co_u32_e64 v51, s[0:1], v52, v51, s[0:1]
	global_load_dwordx4 v[50:53], v[50:51], off
	v_add3_u32 v54, v0, v11, s91
	v_ashrrev_i32_e32 v55, 31, v54
	v_lshlrev_b64 v[56:57], 2, v[54:55]
	v_mov_b32_e32 v58, s5
	v_add_co_u32_e64 v56, s[0:1], s4, v56
	v_addc_co_u32_e64 v57, s[0:1], v58, v57, s[0:1]
	v_lshlrev_b64 v[54:55], 4, v[54:55]
	global_store_dword v[56:57], v31, off
	v_mov_b32_e32 v56, s41
	v_add_co_u32_e64 v54, s[0:1], s40, v54
	v_addc_co_u32_e64 v55, s[0:1], v56, v55, s[0:1]
	s_waitcnt vmcnt(1)
	global_store_dwordx4 v[54:55], v[50:53], off
	s_or_b64 exec, exec, s[88:89]
	s_and_saveexec_b64 s[88:89], s[48:49]
	s_cbranch_execz .LBB272_79
.LBB272_115:                            ;   in Loop: Header=BB272_21 Depth=1
	v_add_u32_e32 v50, 0xc0, v49
	v_add_u32_e32 v51, 0x60, v46
	v_cndmask_b32_e32 v50, v51, v50, vcc
	v_ashrrev_i32_e32 v51, 31, v50
	v_lshlrev_b64 v[50:51], 4, v[50:51]
	v_mov_b32_e32 v52, s43
	v_add_co_u32_e64 v50, s[0:1], s42, v50
	v_addc_co_u32_e64 v51, s[0:1], v52, v51, s[0:1]
	global_load_dwordx4 v[50:53], v[50:51], off
	v_add3_u32 v54, v0, v11, s92
	v_ashrrev_i32_e32 v55, 31, v54
	v_lshlrev_b64 v[56:57], 2, v[54:55]
	v_mov_b32_e32 v58, s5
	v_add_co_u32_e64 v56, s[0:1], s4, v56
	v_addc_co_u32_e64 v57, s[0:1], v58, v57, s[0:1]
	v_lshlrev_b64 v[54:55], 4, v[54:55]
	global_store_dword v[56:57], v33, off
	v_mov_b32_e32 v56, s41
	v_add_co_u32_e64 v54, s[0:1], s40, v54
	v_addc_co_u32_e64 v55, s[0:1], v56, v55, s[0:1]
	s_waitcnt vmcnt(1)
	global_store_dwordx4 v[54:55], v[50:53], off
	s_or_b64 exec, exec, s[88:89]
	s_and_saveexec_b64 s[88:89], s[8:9]
	s_cbranch_execz .LBB272_80
.LBB272_116:                            ;   in Loop: Header=BB272_21 Depth=1
	v_add_u32_e32 v49, 0xe0, v49
	v_add_u32_e32 v50, 0x60, v47
	v_cndmask_b32_e32 v50, v50, v49, vcc
	v_ashrrev_i32_e32 v51, 31, v50
	v_lshlrev_b64 v[50:51], 4, v[50:51]
	v_mov_b32_e32 v49, s43
	v_add_co_u32_e64 v50, s[0:1], s42, v50
	v_addc_co_u32_e64 v51, s[0:1], v49, v51, s[0:1]
	global_load_dwordx4 v[50:53], v[50:51], off
	v_add3_u32 v54, v0, v11, s93
	v_ashrrev_i32_e32 v55, 31, v54
	v_lshlrev_b64 v[56:57], 2, v[54:55]
	v_mov_b32_e32 v49, s5
	v_add_co_u32_e64 v56, s[0:1], s4, v56
	v_addc_co_u32_e64 v57, s[0:1], v49, v57, s[0:1]
	v_lshlrev_b64 v[54:55], 4, v[54:55]
	v_mov_b32_e32 v49, s41
	v_add_co_u32_e64 v54, s[0:1], s40, v54
	v_addc_co_u32_e64 v55, s[0:1], v49, v55, s[0:1]
	global_store_dword v[56:57], v40, off
	s_waitcnt vmcnt(1)
	global_store_dwordx4 v[54:55], v[50:53], off
	s_or_b64 exec, exec, s[88:89]
	v_add_u32_e32 v49, s39, v26
	s_and_saveexec_b64 s[88:89], s[50:51]
	s_cbranch_execz .LBB272_81
.LBB272_117:                            ;   in Loop: Header=BB272_21 Depth=1
	v_add_u32_e32 v50, 0x80, v48
	v_cndmask_b32_e32 v50, v50, v49, vcc
	v_ashrrev_i32_e32 v51, 31, v50
	v_lshlrev_b64 v[50:51], 4, v[50:51]
	v_mov_b32_e32 v52, s43
	v_add_co_u32_e64 v50, s[0:1], s42, v50
	v_addc_co_u32_e64 v51, s[0:1], v52, v51, s[0:1]
	global_load_dwordx4 v[50:53], v[50:51], off
	v_add_u32_e32 v54, v0, v9
	v_ashrrev_i32_e32 v55, 31, v54
	v_lshlrev_b64 v[56:57], 2, v[54:55]
	v_mov_b32_e32 v58, s5
	v_add_co_u32_e64 v56, s[0:1], s4, v56
	v_addc_co_u32_e64 v57, s[0:1], v58, v57, s[0:1]
	v_lshlrev_b64 v[54:55], 4, v[54:55]
	global_store_dword v[56:57], v21, off
	v_mov_b32_e32 v56, s41
	v_add_co_u32_e64 v54, s[0:1], s40, v54
	v_addc_co_u32_e64 v55, s[0:1], v56, v55, s[0:1]
	s_waitcnt vmcnt(1)
	global_store_dwordx4 v[54:55], v[50:53], off
	s_or_b64 exec, exec, s[88:89]
	s_and_saveexec_b64 s[88:89], s[52:53]
	s_cbranch_execz .LBB272_82
.LBB272_118:                            ;   in Loop: Header=BB272_21 Depth=1
	v_add3_u32 v50, v26, s39, 32
	v_add_u32_e32 v51, 0x80, v41
	v_cndmask_b32_e32 v50, v51, v50, vcc
	v_ashrrev_i32_e32 v51, 31, v50
	v_lshlrev_b64 v[50:51], 4, v[50:51]
	v_mov_b32_e32 v52, s43
	v_add_co_u32_e64 v50, s[0:1], s42, v50
	v_addc_co_u32_e64 v51, s[0:1], v52, v51, s[0:1]
	global_load_dwordx4 v[50:53], v[50:51], off
	v_add3_u32 v54, v0, v9, 32
	v_ashrrev_i32_e32 v55, 31, v54
	v_lshlrev_b64 v[56:57], 2, v[54:55]
	v_mov_b32_e32 v58, s5
	v_add_co_u32_e64 v56, s[0:1], s4, v56
	v_addc_co_u32_e64 v57, s[0:1], v58, v57, s[0:1]
	v_lshlrev_b64 v[54:55], 4, v[54:55]
	global_store_dword v[56:57], v23, off
	v_mov_b32_e32 v56, s41
	v_add_co_u32_e64 v54, s[0:1], s40, v54
	v_addc_co_u32_e64 v55, s[0:1], v56, v55, s[0:1]
	s_waitcnt vmcnt(1)
	global_store_dwordx4 v[54:55], v[50:53], off
	s_or_b64 exec, exec, s[88:89]
	s_and_saveexec_b64 s[88:89], s[54:55]
	s_cbranch_execz .LBB272_83
.LBB272_119:                            ;   in Loop: Header=BB272_21 Depth=1
	v_add3_u32 v50, v26, s39, 64
	v_add_u32_e32 v51, 0x80, v42
	v_cndmask_b32_e32 v50, v51, v50, vcc
	v_ashrrev_i32_e32 v51, 31, v50
	v_lshlrev_b64 v[50:51], 4, v[50:51]
	v_mov_b32_e32 v52, s43
	v_add_co_u32_e64 v50, s[0:1], s42, v50
	v_addc_co_u32_e64 v51, s[0:1], v52, v51, s[0:1]
	global_load_dwordx4 v[50:53], v[50:51], off
	v_add3_u32 v54, v0, v9, 64
	v_ashrrev_i32_e32 v55, 31, v54
	v_lshlrev_b64 v[56:57], 2, v[54:55]
	v_mov_b32_e32 v58, s5
	v_add_co_u32_e64 v56, s[0:1], s4, v56
	v_addc_co_u32_e64 v57, s[0:1], v58, v57, s[0:1]
	v_lshlrev_b64 v[54:55], 4, v[54:55]
	global_store_dword v[56:57], v25, off
	v_mov_b32_e32 v56, s41
	v_add_co_u32_e64 v54, s[0:1], s40, v54
	v_addc_co_u32_e64 v55, s[0:1], v56, v55, s[0:1]
	s_waitcnt vmcnt(1)
	global_store_dwordx4 v[54:55], v[50:53], off
	s_or_b64 exec, exec, s[88:89]
	s_and_saveexec_b64 s[88:89], s[56:57]
	s_cbranch_execz .LBB272_84
.LBB272_120:                            ;   in Loop: Header=BB272_21 Depth=1
	v_add_u32_e32 v50, 0x60, v49
	v_add_u32_e32 v51, 0x80, v43
	v_cndmask_b32_e32 v50, v51, v50, vcc
	v_ashrrev_i32_e32 v51, 31, v50
	v_lshlrev_b64 v[50:51], 4, v[50:51]
	v_mov_b32_e32 v52, s43
	v_add_co_u32_e64 v50, s[0:1], s42, v50
	v_addc_co_u32_e64 v51, s[0:1], v52, v51, s[0:1]
	global_load_dwordx4 v[50:53], v[50:51], off
	v_add3_u32 v54, v0, v9, s33
	v_ashrrev_i32_e32 v55, 31, v54
	v_lshlrev_b64 v[56:57], 2, v[54:55]
	v_mov_b32_e32 v58, s5
	v_add_co_u32_e64 v56, s[0:1], s4, v56
	v_addc_co_u32_e64 v57, s[0:1], v58, v57, s[0:1]
	v_lshlrev_b64 v[54:55], 4, v[54:55]
	global_store_dword v[56:57], v27, off
	v_mov_b32_e32 v56, s41
	v_add_co_u32_e64 v54, s[0:1], s40, v54
	v_addc_co_u32_e64 v55, s[0:1], v56, v55, s[0:1]
	s_waitcnt vmcnt(1)
	global_store_dwordx4 v[54:55], v[50:53], off
	s_or_b64 exec, exec, s[88:89]
	s_and_saveexec_b64 s[88:89], s[58:59]
	s_cbranch_execz .LBB272_85
.LBB272_121:                            ;   in Loop: Header=BB272_21 Depth=1
	v_cndmask_b32_e32 v50, v12, v26, vcc
	v_add_u32_e32 v50, s39, v50
	v_add_u32_e32 v50, 0x80, v50
	v_ashrrev_i32_e32 v51, 31, v50
	v_lshlrev_b64 v[50:51], 4, v[50:51]
	v_mov_b32_e32 v52, s43
	v_add_co_u32_e64 v50, s[0:1], s42, v50
	v_addc_co_u32_e64 v51, s[0:1], v52, v51, s[0:1]
	global_load_dwordx4 v[50:53], v[50:51], off
	v_add3_u32 v54, v0, v9, s90
	v_ashrrev_i32_e32 v55, 31, v54
	v_lshlrev_b64 v[56:57], 2, v[54:55]
	v_mov_b32_e32 v58, s5
	v_add_co_u32_e64 v56, s[0:1], s4, v56
	v_addc_co_u32_e64 v57, s[0:1], v58, v57, s[0:1]
	v_lshlrev_b64 v[54:55], 4, v[54:55]
	global_store_dword v[56:57], v29, off
	v_mov_b32_e32 v56, s41
	v_add_co_u32_e64 v54, s[0:1], s40, v54
	v_addc_co_u32_e64 v55, s[0:1], v56, v55, s[0:1]
	s_waitcnt vmcnt(1)
	global_store_dwordx4 v[54:55], v[50:53], off
	s_or_b64 exec, exec, s[88:89]
	s_and_saveexec_b64 s[88:89], s[60:61]
	s_cbranch_execz .LBB272_86
.LBB272_122:                            ;   in Loop: Header=BB272_21 Depth=1
	v_add_u32_e32 v50, 0xa0, v49
	v_add_u32_e32 v51, 0x80, v45
	v_cndmask_b32_e32 v50, v51, v50, vcc
	v_ashrrev_i32_e32 v51, 31, v50
	v_lshlrev_b64 v[50:51], 4, v[50:51]
	v_mov_b32_e32 v52, s43
	v_add_co_u32_e64 v50, s[0:1], s42, v50
	v_addc_co_u32_e64 v51, s[0:1], v52, v51, s[0:1]
	global_load_dwordx4 v[50:53], v[50:51], off
	v_add3_u32 v54, v0, v9, s91
	v_ashrrev_i32_e32 v55, 31, v54
	v_lshlrev_b64 v[56:57], 2, v[54:55]
	v_mov_b32_e32 v58, s5
	v_add_co_u32_e64 v56, s[0:1], s4, v56
	v_addc_co_u32_e64 v57, s[0:1], v58, v57, s[0:1]
	v_lshlrev_b64 v[54:55], 4, v[54:55]
	global_store_dword v[56:57], v31, off
	v_mov_b32_e32 v56, s41
	v_add_co_u32_e64 v54, s[0:1], s40, v54
	v_addc_co_u32_e64 v55, s[0:1], v56, v55, s[0:1]
	s_waitcnt vmcnt(1)
	global_store_dwordx4 v[54:55], v[50:53], off
	s_or_b64 exec, exec, s[88:89]
	s_and_saveexec_b64 s[88:89], s[62:63]
	s_cbranch_execz .LBB272_87
.LBB272_123:                            ;   in Loop: Header=BB272_21 Depth=1
	v_add_u32_e32 v50, 0xc0, v49
	v_add_u32_e32 v51, 0x80, v46
	v_cndmask_b32_e32 v50, v51, v50, vcc
	v_ashrrev_i32_e32 v51, 31, v50
	v_lshlrev_b64 v[50:51], 4, v[50:51]
	v_mov_b32_e32 v52, s43
	v_add_co_u32_e64 v50, s[0:1], s42, v50
	v_addc_co_u32_e64 v51, s[0:1], v52, v51, s[0:1]
	global_load_dwordx4 v[50:53], v[50:51], off
	v_add3_u32 v54, v0, v9, s92
	v_ashrrev_i32_e32 v55, 31, v54
	v_lshlrev_b64 v[56:57], 2, v[54:55]
	v_mov_b32_e32 v58, s5
	v_add_co_u32_e64 v56, s[0:1], s4, v56
	v_addc_co_u32_e64 v57, s[0:1], v58, v57, s[0:1]
	v_lshlrev_b64 v[54:55], 4, v[54:55]
	global_store_dword v[56:57], v33, off
	v_mov_b32_e32 v56, s41
	v_add_co_u32_e64 v54, s[0:1], s40, v54
	v_addc_co_u32_e64 v55, s[0:1], v56, v55, s[0:1]
	s_waitcnt vmcnt(1)
	global_store_dwordx4 v[54:55], v[50:53], off
	s_or_b64 exec, exec, s[88:89]
	s_and_saveexec_b64 s[88:89], s[10:11]
	s_cbranch_execz .LBB272_88
.LBB272_124:                            ;   in Loop: Header=BB272_21 Depth=1
	v_add_u32_e32 v49, 0xe0, v49
	v_add_u32_e32 v50, 0x80, v47
	v_cndmask_b32_e32 v50, v50, v49, vcc
	v_ashrrev_i32_e32 v51, 31, v50
	v_lshlrev_b64 v[50:51], 4, v[50:51]
	v_mov_b32_e32 v49, s43
	v_add_co_u32_e64 v50, s[0:1], s42, v50
	v_addc_co_u32_e64 v51, s[0:1], v49, v51, s[0:1]
	global_load_dwordx4 v[50:53], v[50:51], off
	v_add3_u32 v54, v0, v9, s93
	v_ashrrev_i32_e32 v55, 31, v54
	v_lshlrev_b64 v[56:57], 2, v[54:55]
	v_mov_b32_e32 v49, s5
	v_add_co_u32_e64 v56, s[0:1], s4, v56
	v_addc_co_u32_e64 v57, s[0:1], v49, v57, s[0:1]
	v_lshlrev_b64 v[54:55], 4, v[54:55]
	v_mov_b32_e32 v49, s41
	v_add_co_u32_e64 v54, s[0:1], s40, v54
	v_addc_co_u32_e64 v55, s[0:1], v49, v55, s[0:1]
	global_store_dword v[56:57], v40, off
	s_waitcnt vmcnt(1)
	global_store_dwordx4 v[54:55], v[50:53], off
	s_or_b64 exec, exec, s[88:89]
	v_add_u32_e32 v49, s39, v28
	s_and_saveexec_b64 s[88:89], s[64:65]
	s_cbranch_execz .LBB272_89
.LBB272_125:                            ;   in Loop: Header=BB272_21 Depth=1
	v_add_u32_e32 v50, 0xa0, v48
	v_cndmask_b32_e32 v50, v50, v49, vcc
	v_ashrrev_i32_e32 v51, 31, v50
	v_lshlrev_b64 v[50:51], 4, v[50:51]
	v_mov_b32_e32 v52, s43
	v_add_co_u32_e64 v50, s[0:1], s42, v50
	v_addc_co_u32_e64 v51, s[0:1], v52, v51, s[0:1]
	global_load_dwordx4 v[50:53], v[50:51], off
	v_add_u32_e32 v54, v0, v7
	v_ashrrev_i32_e32 v55, 31, v54
	v_lshlrev_b64 v[56:57], 2, v[54:55]
	v_mov_b32_e32 v58, s5
	v_add_co_u32_e64 v56, s[0:1], s4, v56
	v_addc_co_u32_e64 v57, s[0:1], v58, v57, s[0:1]
	v_lshlrev_b64 v[54:55], 4, v[54:55]
	global_store_dword v[56:57], v21, off
	v_mov_b32_e32 v56, s41
	v_add_co_u32_e64 v54, s[0:1], s40, v54
	v_addc_co_u32_e64 v55, s[0:1], v56, v55, s[0:1]
	s_waitcnt vmcnt(1)
	global_store_dwordx4 v[54:55], v[50:53], off
	s_or_b64 exec, exec, s[88:89]
	s_and_saveexec_b64 s[88:89], s[66:67]
	s_cbranch_execz .LBB272_90
.LBB272_126:                            ;   in Loop: Header=BB272_21 Depth=1
	v_add3_u32 v50, v28, s39, 32
	v_add_u32_e32 v51, 0xa0, v41
	v_cndmask_b32_e32 v50, v51, v50, vcc
	v_ashrrev_i32_e32 v51, 31, v50
	v_lshlrev_b64 v[50:51], 4, v[50:51]
	v_mov_b32_e32 v52, s43
	v_add_co_u32_e64 v50, s[0:1], s42, v50
	v_addc_co_u32_e64 v51, s[0:1], v52, v51, s[0:1]
	global_load_dwordx4 v[50:53], v[50:51], off
	v_add3_u32 v54, v0, v7, 32
	v_ashrrev_i32_e32 v55, 31, v54
	v_lshlrev_b64 v[56:57], 2, v[54:55]
	v_mov_b32_e32 v58, s5
	v_add_co_u32_e64 v56, s[0:1], s4, v56
	v_addc_co_u32_e64 v57, s[0:1], v58, v57, s[0:1]
	v_lshlrev_b64 v[54:55], 4, v[54:55]
	global_store_dword v[56:57], v23, off
	v_mov_b32_e32 v56, s41
	v_add_co_u32_e64 v54, s[0:1], s40, v54
	v_addc_co_u32_e64 v55, s[0:1], v56, v55, s[0:1]
	s_waitcnt vmcnt(1)
	global_store_dwordx4 v[54:55], v[50:53], off
	s_or_b64 exec, exec, s[88:89]
	s_and_saveexec_b64 s[88:89], s[68:69]
	s_cbranch_execz .LBB272_91
.LBB272_127:                            ;   in Loop: Header=BB272_21 Depth=1
	v_add3_u32 v50, v28, s39, 64
	v_add_u32_e32 v51, 0xa0, v42
	v_cndmask_b32_e32 v50, v51, v50, vcc
	v_ashrrev_i32_e32 v51, 31, v50
	v_lshlrev_b64 v[50:51], 4, v[50:51]
	v_mov_b32_e32 v52, s43
	v_add_co_u32_e64 v50, s[0:1], s42, v50
	v_addc_co_u32_e64 v51, s[0:1], v52, v51, s[0:1]
	global_load_dwordx4 v[50:53], v[50:51], off
	v_add3_u32 v54, v0, v7, 64
	v_ashrrev_i32_e32 v55, 31, v54
	v_lshlrev_b64 v[56:57], 2, v[54:55]
	v_mov_b32_e32 v58, s5
	v_add_co_u32_e64 v56, s[0:1], s4, v56
	v_addc_co_u32_e64 v57, s[0:1], v58, v57, s[0:1]
	v_lshlrev_b64 v[54:55], 4, v[54:55]
	global_store_dword v[56:57], v25, off
	v_mov_b32_e32 v56, s41
	v_add_co_u32_e64 v54, s[0:1], s40, v54
	v_addc_co_u32_e64 v55, s[0:1], v56, v55, s[0:1]
	s_waitcnt vmcnt(1)
	global_store_dwordx4 v[54:55], v[50:53], off
	s_or_b64 exec, exec, s[88:89]
	s_and_saveexec_b64 s[88:89], s[70:71]
	s_cbranch_execz .LBB272_92
.LBB272_128:                            ;   in Loop: Header=BB272_21 Depth=1
	v_add_u32_e32 v50, 0x60, v49
	v_add_u32_e32 v51, 0xa0, v43
	v_cndmask_b32_e32 v50, v51, v50, vcc
	v_ashrrev_i32_e32 v51, 31, v50
	v_lshlrev_b64 v[50:51], 4, v[50:51]
	v_mov_b32_e32 v52, s43
	v_add_co_u32_e64 v50, s[0:1], s42, v50
	v_addc_co_u32_e64 v51, s[0:1], v52, v51, s[0:1]
	global_load_dwordx4 v[50:53], v[50:51], off
	v_add3_u32 v54, v0, v7, s33
	v_ashrrev_i32_e32 v55, 31, v54
	v_lshlrev_b64 v[56:57], 2, v[54:55]
	v_mov_b32_e32 v58, s5
	v_add_co_u32_e64 v56, s[0:1], s4, v56
	v_addc_co_u32_e64 v57, s[0:1], v58, v57, s[0:1]
	v_lshlrev_b64 v[54:55], 4, v[54:55]
	global_store_dword v[56:57], v27, off
	v_mov_b32_e32 v56, s41
	v_add_co_u32_e64 v54, s[0:1], s40, v54
	v_addc_co_u32_e64 v55, s[0:1], v56, v55, s[0:1]
	s_waitcnt vmcnt(1)
	global_store_dwordx4 v[54:55], v[50:53], off
	s_or_b64 exec, exec, s[88:89]
	s_and_saveexec_b64 s[88:89], s[72:73]
	s_cbranch_execz .LBB272_93
.LBB272_129:                            ;   in Loop: Header=BB272_21 Depth=1
	v_add_u32_e32 v50, 0x80, v49
	v_add_u32_e32 v51, 0xa0, v44
	v_cndmask_b32_e32 v50, v51, v50, vcc
	v_ashrrev_i32_e32 v51, 31, v50
	v_lshlrev_b64 v[50:51], 4, v[50:51]
	v_mov_b32_e32 v52, s43
	v_add_co_u32_e64 v50, s[0:1], s42, v50
	v_addc_co_u32_e64 v51, s[0:1], v52, v51, s[0:1]
	global_load_dwordx4 v[50:53], v[50:51], off
	v_add3_u32 v54, v0, v7, s90
	v_ashrrev_i32_e32 v55, 31, v54
	v_lshlrev_b64 v[56:57], 2, v[54:55]
	v_mov_b32_e32 v58, s5
	v_add_co_u32_e64 v56, s[0:1], s4, v56
	v_addc_co_u32_e64 v57, s[0:1], v58, v57, s[0:1]
	v_lshlrev_b64 v[54:55], 4, v[54:55]
	global_store_dword v[56:57], v29, off
	v_mov_b32_e32 v56, s41
	v_add_co_u32_e64 v54, s[0:1], s40, v54
	v_addc_co_u32_e64 v55, s[0:1], v56, v55, s[0:1]
	s_waitcnt vmcnt(1)
	global_store_dwordx4 v[54:55], v[50:53], off
	s_or_b64 exec, exec, s[88:89]
	s_and_saveexec_b64 s[88:89], s[2:3]
	s_cbranch_execz .LBB272_94
.LBB272_130:                            ;   in Loop: Header=BB272_21 Depth=1
	v_cndmask_b32_e32 v50, v10, v28, vcc
	v_add_u32_e32 v50, s39, v50
	v_add_u32_e32 v50, 0xa0, v50
	v_ashrrev_i32_e32 v51, 31, v50
	v_lshlrev_b64 v[50:51], 4, v[50:51]
	v_mov_b32_e32 v52, s43
	v_add_co_u32_e64 v50, s[0:1], s42, v50
	v_addc_co_u32_e64 v51, s[0:1], v52, v51, s[0:1]
	global_load_dwordx4 v[50:53], v[50:51], off
	v_add3_u32 v54, v0, v7, s91
	v_ashrrev_i32_e32 v55, 31, v54
	v_lshlrev_b64 v[56:57], 2, v[54:55]
	v_mov_b32_e32 v58, s5
	v_add_co_u32_e64 v56, s[0:1], s4, v56
	v_addc_co_u32_e64 v57, s[0:1], v58, v57, s[0:1]
	v_lshlrev_b64 v[54:55], 4, v[54:55]
	global_store_dword v[56:57], v31, off
	v_mov_b32_e32 v56, s41
	v_add_co_u32_e64 v54, s[0:1], s40, v54
	v_addc_co_u32_e64 v55, s[0:1], v56, v55, s[0:1]
	s_waitcnt vmcnt(1)
	global_store_dwordx4 v[54:55], v[50:53], off
	s_or_b64 exec, exec, s[88:89]
	s_and_saveexec_b64 s[88:89], s[74:75]
	s_cbranch_execz .LBB272_95
.LBB272_131:                            ;   in Loop: Header=BB272_21 Depth=1
	v_add_u32_e32 v50, 0xc0, v49
	v_add_u32_e32 v51, 0xa0, v46
	v_cndmask_b32_e32 v50, v51, v50, vcc
	v_ashrrev_i32_e32 v51, 31, v50
	v_lshlrev_b64 v[50:51], 4, v[50:51]
	v_mov_b32_e32 v52, s43
	v_add_co_u32_e64 v50, s[0:1], s42, v50
	v_addc_co_u32_e64 v51, s[0:1], v52, v51, s[0:1]
	global_load_dwordx4 v[50:53], v[50:51], off
	v_add3_u32 v54, v0, v7, s92
	v_ashrrev_i32_e32 v55, 31, v54
	v_lshlrev_b64 v[56:57], 2, v[54:55]
	v_mov_b32_e32 v58, s5
	v_add_co_u32_e64 v56, s[0:1], s4, v56
	v_addc_co_u32_e64 v57, s[0:1], v58, v57, s[0:1]
	v_lshlrev_b64 v[54:55], 4, v[54:55]
	global_store_dword v[56:57], v33, off
	v_mov_b32_e32 v56, s41
	v_add_co_u32_e64 v54, s[0:1], s40, v54
	v_addc_co_u32_e64 v55, s[0:1], v56, v55, s[0:1]
	s_waitcnt vmcnt(1)
	global_store_dwordx4 v[54:55], v[50:53], off
	s_or_b64 exec, exec, s[88:89]
	s_and_saveexec_b64 s[88:89], s[12:13]
	s_cbranch_execz .LBB272_96
.LBB272_132:                            ;   in Loop: Header=BB272_21 Depth=1
	v_add_u32_e32 v49, 0xe0, v49
	v_add_u32_e32 v50, 0xa0, v47
	v_cndmask_b32_e32 v50, v50, v49, vcc
	v_ashrrev_i32_e32 v51, 31, v50
	v_lshlrev_b64 v[50:51], 4, v[50:51]
	v_mov_b32_e32 v49, s43
	v_add_co_u32_e64 v50, s[0:1], s42, v50
	v_addc_co_u32_e64 v51, s[0:1], v49, v51, s[0:1]
	global_load_dwordx4 v[50:53], v[50:51], off
	v_add3_u32 v54, v0, v7, s93
	v_ashrrev_i32_e32 v55, 31, v54
	v_lshlrev_b64 v[56:57], 2, v[54:55]
	v_mov_b32_e32 v49, s5
	v_add_co_u32_e64 v56, s[0:1], s4, v56
	v_addc_co_u32_e64 v57, s[0:1], v49, v57, s[0:1]
	v_lshlrev_b64 v[54:55], 4, v[54:55]
	v_mov_b32_e32 v49, s41
	v_add_co_u32_e64 v54, s[0:1], s40, v54
	v_addc_co_u32_e64 v55, s[0:1], v49, v55, s[0:1]
	global_store_dword v[56:57], v40, off
	s_waitcnt vmcnt(1)
	global_store_dwordx4 v[54:55], v[50:53], off
	s_or_b64 exec, exec, s[88:89]
	v_add_u32_e32 v49, s39, v30
	s_and_saveexec_b64 s[88:89], s[76:77]
	s_cbranch_execz .LBB272_97
.LBB272_133:                            ;   in Loop: Header=BB272_21 Depth=1
	v_add_u32_e32 v50, 0xc0, v48
	v_cndmask_b32_e32 v50, v50, v49, vcc
	v_ashrrev_i32_e32 v51, 31, v50
	v_lshlrev_b64 v[50:51], 4, v[50:51]
	v_mov_b32_e32 v52, s43
	v_add_co_u32_e64 v50, s[0:1], s42, v50
	v_addc_co_u32_e64 v51, s[0:1], v52, v51, s[0:1]
	global_load_dwordx4 v[50:53], v[50:51], off
	v_add_u32_e32 v54, v0, v5
	v_ashrrev_i32_e32 v55, 31, v54
	v_lshlrev_b64 v[56:57], 2, v[54:55]
	v_mov_b32_e32 v58, s5
	v_add_co_u32_e64 v56, s[0:1], s4, v56
	v_addc_co_u32_e64 v57, s[0:1], v58, v57, s[0:1]
	v_lshlrev_b64 v[54:55], 4, v[54:55]
	global_store_dword v[56:57], v21, off
	v_mov_b32_e32 v56, s41
	v_add_co_u32_e64 v54, s[0:1], s40, v54
	v_addc_co_u32_e64 v55, s[0:1], v56, v55, s[0:1]
	s_waitcnt vmcnt(1)
	global_store_dwordx4 v[54:55], v[50:53], off
	s_or_b64 exec, exec, s[88:89]
	s_and_saveexec_b64 s[88:89], s[78:79]
	s_cbranch_execz .LBB272_98
.LBB272_134:                            ;   in Loop: Header=BB272_21 Depth=1
	v_add3_u32 v50, v30, s39, 32
	v_add_u32_e32 v51, 0xc0, v41
	v_cndmask_b32_e32 v50, v51, v50, vcc
	v_ashrrev_i32_e32 v51, 31, v50
	v_lshlrev_b64 v[50:51], 4, v[50:51]
	v_mov_b32_e32 v52, s43
	v_add_co_u32_e64 v50, s[0:1], s42, v50
	v_addc_co_u32_e64 v51, s[0:1], v52, v51, s[0:1]
	global_load_dwordx4 v[50:53], v[50:51], off
	v_add3_u32 v54, v0, v5, 32
	v_ashrrev_i32_e32 v55, 31, v54
	v_lshlrev_b64 v[56:57], 2, v[54:55]
	v_mov_b32_e32 v58, s5
	v_add_co_u32_e64 v56, s[0:1], s4, v56
	v_addc_co_u32_e64 v57, s[0:1], v58, v57, s[0:1]
	v_lshlrev_b64 v[54:55], 4, v[54:55]
	global_store_dword v[56:57], v23, off
	v_mov_b32_e32 v56, s41
	v_add_co_u32_e64 v54, s[0:1], s40, v54
	v_addc_co_u32_e64 v55, s[0:1], v56, v55, s[0:1]
	s_waitcnt vmcnt(1)
	global_store_dwordx4 v[54:55], v[50:53], off
	s_or_b64 exec, exec, s[88:89]
	s_and_saveexec_b64 s[88:89], s[80:81]
	s_cbranch_execz .LBB272_99
.LBB272_135:                            ;   in Loop: Header=BB272_21 Depth=1
	v_add3_u32 v50, v30, s39, 64
	v_add_u32_e32 v51, 0xc0, v42
	v_cndmask_b32_e32 v50, v51, v50, vcc
	v_ashrrev_i32_e32 v51, 31, v50
	v_lshlrev_b64 v[50:51], 4, v[50:51]
	v_mov_b32_e32 v52, s43
	v_add_co_u32_e64 v50, s[0:1], s42, v50
	v_addc_co_u32_e64 v51, s[0:1], v52, v51, s[0:1]
	global_load_dwordx4 v[50:53], v[50:51], off
	v_add3_u32 v54, v0, v5, 64
	v_ashrrev_i32_e32 v55, 31, v54
	v_lshlrev_b64 v[56:57], 2, v[54:55]
	v_mov_b32_e32 v58, s5
	v_add_co_u32_e64 v56, s[0:1], s4, v56
	v_addc_co_u32_e64 v57, s[0:1], v58, v57, s[0:1]
	v_lshlrev_b64 v[54:55], 4, v[54:55]
	global_store_dword v[56:57], v25, off
	v_mov_b32_e32 v56, s41
	v_add_co_u32_e64 v54, s[0:1], s40, v54
	v_addc_co_u32_e64 v55, s[0:1], v56, v55, s[0:1]
	s_waitcnt vmcnt(1)
	global_store_dwordx4 v[54:55], v[50:53], off
	s_or_b64 exec, exec, s[88:89]
	s_and_saveexec_b64 s[88:89], s[82:83]
	s_cbranch_execz .LBB272_100
.LBB272_136:                            ;   in Loop: Header=BB272_21 Depth=1
	v_add_u32_e32 v50, 0x60, v49
	v_add_u32_e32 v51, 0xc0, v43
	v_cndmask_b32_e32 v50, v51, v50, vcc
	v_ashrrev_i32_e32 v51, 31, v50
	v_lshlrev_b64 v[50:51], 4, v[50:51]
	v_mov_b32_e32 v52, s43
	v_add_co_u32_e64 v50, s[0:1], s42, v50
	v_addc_co_u32_e64 v51, s[0:1], v52, v51, s[0:1]
	global_load_dwordx4 v[50:53], v[50:51], off
	v_add3_u32 v54, v0, v5, s33
	v_ashrrev_i32_e32 v55, 31, v54
	v_lshlrev_b64 v[56:57], 2, v[54:55]
	v_mov_b32_e32 v58, s5
	v_add_co_u32_e64 v56, s[0:1], s4, v56
	v_addc_co_u32_e64 v57, s[0:1], v58, v57, s[0:1]
	v_lshlrev_b64 v[54:55], 4, v[54:55]
	global_store_dword v[56:57], v27, off
	v_mov_b32_e32 v56, s41
	v_add_co_u32_e64 v54, s[0:1], s40, v54
	v_addc_co_u32_e64 v55, s[0:1], v56, v55, s[0:1]
	s_waitcnt vmcnt(1)
	global_store_dwordx4 v[54:55], v[50:53], off
	s_or_b64 exec, exec, s[88:89]
	s_and_saveexec_b64 s[88:89], s[84:85]
	s_cbranch_execz .LBB272_101
.LBB272_137:                            ;   in Loop: Header=BB272_21 Depth=1
	v_add_u32_e32 v50, 0x80, v49
	v_add_u32_e32 v51, 0xc0, v44
	v_cndmask_b32_e32 v50, v51, v50, vcc
	v_ashrrev_i32_e32 v51, 31, v50
	v_lshlrev_b64 v[50:51], 4, v[50:51]
	v_mov_b32_e32 v52, s43
	v_add_co_u32_e64 v50, s[0:1], s42, v50
	v_addc_co_u32_e64 v51, s[0:1], v52, v51, s[0:1]
	global_load_dwordx4 v[50:53], v[50:51], off
	v_add3_u32 v54, v0, v5, s90
	v_ashrrev_i32_e32 v55, 31, v54
	v_lshlrev_b64 v[56:57], 2, v[54:55]
	v_mov_b32_e32 v58, s5
	v_add_co_u32_e64 v56, s[0:1], s4, v56
	v_addc_co_u32_e64 v57, s[0:1], v58, v57, s[0:1]
	v_lshlrev_b64 v[54:55], 4, v[54:55]
	global_store_dword v[56:57], v29, off
	v_mov_b32_e32 v56, s41
	v_add_co_u32_e64 v54, s[0:1], s40, v54
	v_addc_co_u32_e64 v55, s[0:1], v56, v55, s[0:1]
	s_waitcnt vmcnt(1)
	global_store_dwordx4 v[54:55], v[50:53], off
	s_or_b64 exec, exec, s[88:89]
	s_and_saveexec_b64 s[88:89], s[86:87]
	s_cbranch_execz .LBB272_102
.LBB272_138:                            ;   in Loop: Header=BB272_21 Depth=1
	v_add_u32_e32 v50, 0xa0, v49
	v_add_u32_e32 v51, 0xc0, v45
	v_cndmask_b32_e32 v50, v51, v50, vcc
	v_ashrrev_i32_e32 v51, 31, v50
	v_lshlrev_b64 v[50:51], 4, v[50:51]
	v_mov_b32_e32 v52, s43
	v_add_co_u32_e64 v50, s[0:1], s42, v50
	v_addc_co_u32_e64 v51, s[0:1], v52, v51, s[0:1]
	global_load_dwordx4 v[50:53], v[50:51], off
	v_add3_u32 v54, v0, v5, s91
	v_ashrrev_i32_e32 v55, 31, v54
	v_lshlrev_b64 v[56:57], 2, v[54:55]
	v_mov_b32_e32 v58, s5
	v_add_co_u32_e64 v56, s[0:1], s4, v56
	v_addc_co_u32_e64 v57, s[0:1], v58, v57, s[0:1]
	v_lshlrev_b64 v[54:55], 4, v[54:55]
	global_store_dword v[56:57], v31, off
	v_mov_b32_e32 v56, s41
	v_add_co_u32_e64 v54, s[0:1], s40, v54
	v_addc_co_u32_e64 v55, s[0:1], v56, v55, s[0:1]
	s_waitcnt vmcnt(1)
	global_store_dwordx4 v[54:55], v[50:53], off
	s_or_b64 exec, exec, s[88:89]
	s_and_saveexec_b64 s[88:89], s[6:7]
	s_cbranch_execz .LBB272_103
.LBB272_139:                            ;   in Loop: Header=BB272_21 Depth=1
	v_cndmask_b32_e32 v50, v8, v30, vcc
	v_add_u32_e32 v50, s39, v50
	v_add_u32_e32 v50, 0xc0, v50
	v_ashrrev_i32_e32 v51, 31, v50
	v_lshlrev_b64 v[50:51], 4, v[50:51]
	v_mov_b32_e32 v52, s43
	v_add_co_u32_e64 v50, s[0:1], s42, v50
	v_addc_co_u32_e64 v51, s[0:1], v52, v51, s[0:1]
	global_load_dwordx4 v[50:53], v[50:51], off
	v_add3_u32 v54, v0, v5, s92
	v_ashrrev_i32_e32 v55, 31, v54
	v_lshlrev_b64 v[56:57], 2, v[54:55]
	v_mov_b32_e32 v58, s5
	v_add_co_u32_e64 v56, s[0:1], s4, v56
	v_addc_co_u32_e64 v57, s[0:1], v58, v57, s[0:1]
	v_lshlrev_b64 v[54:55], 4, v[54:55]
	global_store_dword v[56:57], v33, off
	v_mov_b32_e32 v56, s41
	v_add_co_u32_e64 v54, s[0:1], s40, v54
	v_addc_co_u32_e64 v55, s[0:1], v56, v55, s[0:1]
	s_waitcnt vmcnt(1)
	global_store_dwordx4 v[54:55], v[50:53], off
	s_or_b64 exec, exec, s[88:89]
	s_and_saveexec_b64 s[88:89], s[14:15]
	s_cbranch_execz .LBB272_104
.LBB272_140:                            ;   in Loop: Header=BB272_21 Depth=1
	v_add_u32_e32 v49, 0xe0, v49
	v_add_u32_e32 v47, 0xc0, v47
	v_cndmask_b32_e32 v50, v47, v49, vcc
	v_ashrrev_i32_e32 v51, 31, v50
	v_lshlrev_b64 v[50:51], 4, v[50:51]
	v_mov_b32_e32 v47, s43
	v_add_co_u32_e64 v50, s[0:1], s42, v50
	v_addc_co_u32_e64 v51, s[0:1], v47, v51, s[0:1]
	global_load_dwordx4 v[50:53], v[50:51], off
	v_add3_u32 v54, v0, v5, s93
	v_ashrrev_i32_e32 v55, 31, v54
	v_lshlrev_b64 v[56:57], 2, v[54:55]
	v_mov_b32_e32 v47, s5
	v_add_co_u32_e64 v56, s[0:1], s4, v56
	v_addc_co_u32_e64 v57, s[0:1], v47, v57, s[0:1]
	v_lshlrev_b64 v[54:55], 4, v[54:55]
	v_mov_b32_e32 v47, s41
	v_add_co_u32_e64 v54, s[0:1], s40, v54
	v_addc_co_u32_e64 v55, s[0:1], v47, v55, s[0:1]
	global_store_dword v[56:57], v40, off
	s_waitcnt vmcnt(1)
	global_store_dwordx4 v[54:55], v[50:53], off
	s_or_b64 exec, exec, s[88:89]
	v_add_u32_e32 v47, s39, v32
	s_and_saveexec_b64 s[88:89], s[18:19]
	s_cbranch_execz .LBB272_105
.LBB272_141:                            ;   in Loop: Header=BB272_21 Depth=1
	v_add_u32_e32 v48, 0xe0, v48
	v_cndmask_b32_e32 v48, v48, v47, vcc
	v_ashrrev_i32_e32 v49, 31, v48
	v_lshlrev_b64 v[48:49], 4, v[48:49]
	v_mov_b32_e32 v50, s43
	v_add_co_u32_e64 v48, s[0:1], s42, v48
	v_addc_co_u32_e64 v49, s[0:1], v50, v49, s[0:1]
	global_load_dwordx4 v[48:51], v[48:49], off
	v_add_u32_e32 v52, v0, v3
	v_ashrrev_i32_e32 v53, 31, v52
	v_lshlrev_b64 v[54:55], 2, v[52:53]
	v_mov_b32_e32 v56, s5
	v_add_co_u32_e64 v54, s[0:1], s4, v54
	v_addc_co_u32_e64 v55, s[0:1], v56, v55, s[0:1]
	v_lshlrev_b64 v[52:53], 4, v[52:53]
	global_store_dword v[54:55], v21, off
	v_mov_b32_e32 v21, s41
	v_add_co_u32_e64 v52, s[0:1], s40, v52
	v_addc_co_u32_e64 v53, s[0:1], v21, v53, s[0:1]
	s_waitcnt vmcnt(1)
	global_store_dwordx4 v[52:53], v[48:51], off
	s_or_b64 exec, exec, s[88:89]
	s_and_saveexec_b64 s[88:89], s[20:21]
	s_cbranch_execz .LBB272_106
.LBB272_142:                            ;   in Loop: Header=BB272_21 Depth=1
	v_add3_u32 v21, v32, s39, 32
	v_add_u32_e32 v41, 0xe0, v41
	v_cndmask_b32_e32 v48, v41, v21, vcc
	v_ashrrev_i32_e32 v49, 31, v48
	v_lshlrev_b64 v[48:49], 4, v[48:49]
	v_mov_b32_e32 v21, s43
	v_add_co_u32_e64 v48, s[0:1], s42, v48
	v_addc_co_u32_e64 v49, s[0:1], v21, v49, s[0:1]
	global_load_dwordx4 v[48:51], v[48:49], off
	v_add3_u32 v52, v0, v3, 32
	v_ashrrev_i32_e32 v53, 31, v52
	v_lshlrev_b64 v[54:55], 2, v[52:53]
	v_mov_b32_e32 v21, s5
	v_add_co_u32_e64 v54, s[0:1], s4, v54
	v_addc_co_u32_e64 v55, s[0:1], v21, v55, s[0:1]
	v_lshlrev_b64 v[52:53], 4, v[52:53]
	v_mov_b32_e32 v21, s41
	v_add_co_u32_e64 v52, s[0:1], s40, v52
	v_addc_co_u32_e64 v53, s[0:1], v21, v53, s[0:1]
	global_store_dword v[54:55], v23, off
	s_waitcnt vmcnt(1)
	global_store_dwordx4 v[52:53], v[48:51], off
	s_or_b64 exec, exec, s[88:89]
	s_and_saveexec_b64 s[88:89], s[22:23]
	s_cbranch_execz .LBB272_107
.LBB272_143:                            ;   in Loop: Header=BB272_21 Depth=1
	v_add3_u32 v21, v32, s39, 64
	v_add_u32_e32 v23, 0xe0, v42
	v_cndmask_b32_e32 v48, v23, v21, vcc
	v_ashrrev_i32_e32 v49, 31, v48
	v_lshlrev_b64 v[48:49], 4, v[48:49]
	v_mov_b32_e32 v21, s43
	v_add_co_u32_e64 v48, s[0:1], s42, v48
	v_addc_co_u32_e64 v49, s[0:1], v21, v49, s[0:1]
	global_load_dwordx4 v[48:51], v[48:49], off
	v_add3_u32 v52, v0, v3, 64
	v_ashrrev_i32_e32 v53, 31, v52
	v_lshlrev_b64 v[54:55], 2, v[52:53]
	v_mov_b32_e32 v21, s5
	v_add_co_u32_e64 v54, s[0:1], s4, v54
	v_addc_co_u32_e64 v55, s[0:1], v21, v55, s[0:1]
	v_lshlrev_b64 v[52:53], 4, v[52:53]
	v_mov_b32_e32 v21, s41
	v_add_co_u32_e64 v52, s[0:1], s40, v52
	v_addc_co_u32_e64 v53, s[0:1], v21, v53, s[0:1]
	global_store_dword v[54:55], v25, off
	s_waitcnt vmcnt(1)
	global_store_dwordx4 v[52:53], v[48:51], off
	s_or_b64 exec, exec, s[88:89]
	s_and_saveexec_b64 s[88:89], s[24:25]
	s_cbranch_execz .LBB272_108
.LBB272_144:                            ;   in Loop: Header=BB272_21 Depth=1
	v_add_u32_e32 v21, 0x60, v47
	v_add_u32_e32 v23, 0xe0, v43
	v_cndmask_b32_e32 v42, v23, v21, vcc
	v_ashrrev_i32_e32 v43, 31, v42
	v_lshlrev_b64 v[42:43], 4, v[42:43]
	v_mov_b32_e32 v21, s43
	v_add_co_u32_e64 v42, s[0:1], s42, v42
	v_addc_co_u32_e64 v43, s[0:1], v21, v43, s[0:1]
	global_load_dwordx4 v[48:51], v[42:43], off
	v_add3_u32 v42, v0, v3, s33
	v_ashrrev_i32_e32 v43, 31, v42
	v_lshlrev_b64 v[52:53], 2, v[42:43]
	v_mov_b32_e32 v21, s5
	v_add_co_u32_e64 v52, s[0:1], s4, v52
	v_addc_co_u32_e64 v53, s[0:1], v21, v53, s[0:1]
	v_lshlrev_b64 v[42:43], 4, v[42:43]
	v_mov_b32_e32 v21, s41
	v_add_co_u32_e64 v42, s[0:1], s40, v42
	v_addc_co_u32_e64 v43, s[0:1], v21, v43, s[0:1]
	global_store_dword v[52:53], v27, off
	s_waitcnt vmcnt(1)
	global_store_dwordx4 v[42:43], v[48:51], off
	s_or_b64 exec, exec, s[88:89]
	s_and_saveexec_b64 s[88:89], s[26:27]
	s_cbranch_execz .LBB272_109
.LBB272_145:                            ;   in Loop: Header=BB272_21 Depth=1
	v_add_u32_e32 v21, 0x80, v47
	v_add_u32_e32 v23, 0xe0, v44
	v_cndmask_b32_e32 v42, v23, v21, vcc
	v_ashrrev_i32_e32 v43, 31, v42
	v_lshlrev_b64 v[42:43], 4, v[42:43]
	v_mov_b32_e32 v21, s43
	v_add_co_u32_e64 v42, s[0:1], s42, v42
	v_addc_co_u32_e64 v43, s[0:1], v21, v43, s[0:1]
	global_load_dwordx4 v[48:51], v[42:43], off
	v_add3_u32 v42, v0, v3, s90
	v_ashrrev_i32_e32 v43, 31, v42
	v_lshlrev_b64 v[52:53], 2, v[42:43]
	v_mov_b32_e32 v21, s5
	v_add_co_u32_e64 v52, s[0:1], s4, v52
	v_addc_co_u32_e64 v53, s[0:1], v21, v53, s[0:1]
	v_lshlrev_b64 v[42:43], 4, v[42:43]
	v_mov_b32_e32 v21, s41
	v_add_co_u32_e64 v42, s[0:1], s40, v42
	v_addc_co_u32_e64 v43, s[0:1], v21, v43, s[0:1]
	global_store_dword v[52:53], v29, off
	s_waitcnt vmcnt(1)
	global_store_dwordx4 v[42:43], v[48:51], off
	s_or_b64 exec, exec, s[88:89]
	s_and_saveexec_b64 s[88:89], s[28:29]
	s_cbranch_execz .LBB272_110
.LBB272_146:                            ;   in Loop: Header=BB272_21 Depth=1
	v_add_u32_e32 v21, 0xa0, v47
	v_add_u32_e32 v23, 0xe0, v45
	v_cndmask_b32_e32 v42, v23, v21, vcc
	v_ashrrev_i32_e32 v43, 31, v42
	v_lshlrev_b64 v[42:43], 4, v[42:43]
	v_mov_b32_e32 v21, s43
	v_add_co_u32_e64 v42, s[0:1], s42, v42
	v_addc_co_u32_e64 v43, s[0:1], v21, v43, s[0:1]
	global_load_dwordx4 v[42:45], v[42:43], off
	v_add3_u32 v48, v0, v3, s91
	v_ashrrev_i32_e32 v49, 31, v48
	v_lshlrev_b64 v[50:51], 2, v[48:49]
	v_mov_b32_e32 v21, s5
	v_add_co_u32_e64 v50, s[0:1], s4, v50
	v_addc_co_u32_e64 v51, s[0:1], v21, v51, s[0:1]
	v_lshlrev_b64 v[48:49], 4, v[48:49]
	v_mov_b32_e32 v21, s41
	v_add_co_u32_e64 v48, s[0:1], s40, v48
	v_addc_co_u32_e64 v49, s[0:1], v21, v49, s[0:1]
	global_store_dword v[50:51], v31, off
	s_waitcnt vmcnt(1)
	global_store_dwordx4 v[48:49], v[42:45], off
	s_or_b64 exec, exec, s[88:89]
	s_and_saveexec_b64 s[88:89], s[30:31]
	s_cbranch_execz .LBB272_111
.LBB272_147:                            ;   in Loop: Header=BB272_21 Depth=1
	v_add_u32_e32 v21, 0xc0, v47
	v_add_u32_e32 v23, 0xe0, v46
	v_cndmask_b32_e32 v42, v23, v21, vcc
	v_ashrrev_i32_e32 v43, 31, v42
	v_lshlrev_b64 v[42:43], 4, v[42:43]
	v_mov_b32_e32 v21, s43
	v_add_co_u32_e64 v42, s[0:1], s42, v42
	v_addc_co_u32_e64 v43, s[0:1], v21, v43, s[0:1]
	global_load_dwordx4 v[42:45], v[42:43], off
	v_add3_u32 v46, v0, v3, s92
	v_ashrrev_i32_e32 v47, 31, v46
	v_lshlrev_b64 v[48:49], 2, v[46:47]
	v_mov_b32_e32 v21, s5
	v_add_co_u32_e64 v48, s[0:1], s4, v48
	v_addc_co_u32_e64 v49, s[0:1], v21, v49, s[0:1]
	v_lshlrev_b64 v[46:47], 4, v[46:47]
	v_mov_b32_e32 v21, s41
	v_add_co_u32_e64 v46, s[0:1], s40, v46
	v_addc_co_u32_e64 v47, s[0:1], v21, v47, s[0:1]
	global_store_dword v[48:49], v33, off
	s_waitcnt vmcnt(1)
	global_store_dwordx4 v[46:47], v[42:45], off
	s_or_b64 exec, exec, s[88:89]
	s_and_saveexec_b64 s[88:89], s[16:17]
	s_cbranch_execz .LBB272_20
.LBB272_148:                            ;   in Loop: Header=BB272_21 Depth=1
	v_cndmask_b32_e32 v21, v6, v32, vcc
	v_add_u32_e32 v21, s39, v21
	v_add_u32_e32 v42, 0xe0, v21
	v_ashrrev_i32_e32 v43, 31, v42
	v_lshlrev_b64 v[42:43], 4, v[42:43]
	v_mov_b32_e32 v21, s43
	v_add_co_u32_e64 v42, s[0:1], s42, v42
	v_addc_co_u32_e64 v43, s[0:1], v21, v43, s[0:1]
	global_load_dwordx4 v[42:45], v[42:43], off
	v_add3_u32 v46, v0, v3, s93
	v_ashrrev_i32_e32 v47, 31, v46
	v_lshlrev_b64 v[48:49], 2, v[46:47]
	v_mov_b32_e32 v21, s5
	v_add_co_u32_e64 v48, s[0:1], s4, v48
	v_addc_co_u32_e64 v49, s[0:1], v21, v49, s[0:1]
	global_store_dword v[48:49], v40, off
	v_lshlrev_b64 v[40:41], 4, v[46:47]
	v_mov_b32_e32 v21, s41
	v_add_co_u32_e64 v40, s[0:1], s40, v40
	v_addc_co_u32_e64 v41, s[0:1], v21, v41, s[0:1]
	s_waitcnt vmcnt(1)
	global_store_dwordx4 v[40:41], v[42:45], off
	s_branch .LBB272_20
.LBB272_149:
	s_endpgm
	.section	.rodata,"a",@progbits
	.p2align	6, 0x0
	.amdhsa_kernel _ZN9rocsparseL35bsr2csr_block_per_row_33_256_kernelILj1024ELj256ELj32E21rocsparse_complex_numIdEiiEEv20rocsparse_direction_T4_S4_21rocsparse_index_base_PKT2_PKT3_PKS4_S4_S5_PS6_PS9_PS4_
		.amdhsa_group_segment_fixed_size 0
		.amdhsa_private_segment_fixed_size 0
		.amdhsa_kernarg_size 72
		.amdhsa_user_sgpr_count 6
		.amdhsa_user_sgpr_private_segment_buffer 1
		.amdhsa_user_sgpr_dispatch_ptr 0
		.amdhsa_user_sgpr_queue_ptr 0
		.amdhsa_user_sgpr_kernarg_segment_ptr 1
		.amdhsa_user_sgpr_dispatch_id 0
		.amdhsa_user_sgpr_flat_scratch_init 0
		.amdhsa_user_sgpr_kernarg_preload_length 0
		.amdhsa_user_sgpr_kernarg_preload_offset 0
		.amdhsa_user_sgpr_private_segment_size 0
		.amdhsa_uses_dynamic_stack 0
		.amdhsa_system_sgpr_private_segment_wavefront_offset 0
		.amdhsa_system_sgpr_workgroup_id_x 1
		.amdhsa_system_sgpr_workgroup_id_y 0
		.amdhsa_system_sgpr_workgroup_id_z 0
		.amdhsa_system_sgpr_workgroup_info 0
		.amdhsa_system_vgpr_workitem_id 0
		.amdhsa_next_free_vgpr 60
		.amdhsa_next_free_sgpr 96
		.amdhsa_accum_offset 60
		.amdhsa_reserve_vcc 1
		.amdhsa_reserve_flat_scratch 0
		.amdhsa_float_round_mode_32 0
		.amdhsa_float_round_mode_16_64 0
		.amdhsa_float_denorm_mode_32 3
		.amdhsa_float_denorm_mode_16_64 3
		.amdhsa_dx10_clamp 1
		.amdhsa_ieee_mode 1
		.amdhsa_fp16_overflow 0
		.amdhsa_tg_split 0
		.amdhsa_exception_fp_ieee_invalid_op 0
		.amdhsa_exception_fp_denorm_src 0
		.amdhsa_exception_fp_ieee_div_zero 0
		.amdhsa_exception_fp_ieee_overflow 0
		.amdhsa_exception_fp_ieee_underflow 0
		.amdhsa_exception_fp_ieee_inexact 0
		.amdhsa_exception_int_div_zero 0
	.end_amdhsa_kernel
	.section	.text._ZN9rocsparseL35bsr2csr_block_per_row_33_256_kernelILj1024ELj256ELj32E21rocsparse_complex_numIdEiiEEv20rocsparse_direction_T4_S4_21rocsparse_index_base_PKT2_PKT3_PKS4_S4_S5_PS6_PS9_PS4_,"axG",@progbits,_ZN9rocsparseL35bsr2csr_block_per_row_33_256_kernelILj1024ELj256ELj32E21rocsparse_complex_numIdEiiEEv20rocsparse_direction_T4_S4_21rocsparse_index_base_PKT2_PKT3_PKS4_S4_S5_PS6_PS9_PS4_,comdat
.Lfunc_end272:
	.size	_ZN9rocsparseL35bsr2csr_block_per_row_33_256_kernelILj1024ELj256ELj32E21rocsparse_complex_numIdEiiEEv20rocsparse_direction_T4_S4_21rocsparse_index_base_PKT2_PKT3_PKS4_S4_S5_PS6_PS9_PS4_, .Lfunc_end272-_ZN9rocsparseL35bsr2csr_block_per_row_33_256_kernelILj1024ELj256ELj32E21rocsparse_complex_numIdEiiEEv20rocsparse_direction_T4_S4_21rocsparse_index_base_PKT2_PKT3_PKS4_S4_S5_PS6_PS9_PS4_
                                        ; -- End function
	.section	.AMDGPU.csdata,"",@progbits
; Kernel info:
; codeLenInByte = 13556
; NumSgprs: 100
; NumVgprs: 60
; NumAgprs: 0
; TotalNumVgprs: 60
; ScratchSize: 0
; MemoryBound: 0
; FloatMode: 240
; IeeeMode: 1
; LDSByteSize: 0 bytes/workgroup (compile time only)
; SGPRBlocks: 12
; VGPRBlocks: 7
; NumSGPRsForWavesPerEU: 100
; NumVGPRsForWavesPerEU: 60
; AccumOffset: 60
; Occupancy: 8
; WaveLimiterHint : 0
; COMPUTE_PGM_RSRC2:SCRATCH_EN: 0
; COMPUTE_PGM_RSRC2:USER_SGPR: 6
; COMPUTE_PGM_RSRC2:TRAP_HANDLER: 0
; COMPUTE_PGM_RSRC2:TGID_X_EN: 1
; COMPUTE_PGM_RSRC2:TGID_Y_EN: 0
; COMPUTE_PGM_RSRC2:TGID_Z_EN: 0
; COMPUTE_PGM_RSRC2:TIDIG_COMP_CNT: 0
; COMPUTE_PGM_RSRC3_GFX90A:ACCUM_OFFSET: 14
; COMPUTE_PGM_RSRC3_GFX90A:TG_SPLIT: 0
	.section	.text._ZN9rocsparseL35bsr2csr_block_dim_equals_one_kernelILj1024E21rocsparse_complex_numIdEliEEvT2_S3_21rocsparse_index_base_PKT0_PKT1_PKS3_S4_PS5_PS8_PS3_,"axG",@progbits,_ZN9rocsparseL35bsr2csr_block_dim_equals_one_kernelILj1024E21rocsparse_complex_numIdEliEEvT2_S3_21rocsparse_index_base_PKT0_PKT1_PKS3_S4_PS5_PS8_PS3_,comdat
	.globl	_ZN9rocsparseL35bsr2csr_block_dim_equals_one_kernelILj1024E21rocsparse_complex_numIdEliEEvT2_S3_21rocsparse_index_base_PKT0_PKT1_PKS3_S4_PS5_PS8_PS3_ ; -- Begin function _ZN9rocsparseL35bsr2csr_block_dim_equals_one_kernelILj1024E21rocsparse_complex_numIdEliEEvT2_S3_21rocsparse_index_base_PKT0_PKT1_PKS3_S4_PS5_PS8_PS3_
	.p2align	8
	.type	_ZN9rocsparseL35bsr2csr_block_dim_equals_one_kernelILj1024E21rocsparse_complex_numIdEliEEvT2_S3_21rocsparse_index_base_PKT0_PKT1_PKS3_S4_PS5_PS8_PS3_,@function
_ZN9rocsparseL35bsr2csr_block_dim_equals_one_kernelILj1024E21rocsparse_complex_numIdEliEEvT2_S3_21rocsparse_index_base_PKT0_PKT1_PKS3_S4_PS5_PS8_PS3_: ; @_ZN9rocsparseL35bsr2csr_block_dim_equals_one_kernelILj1024E21rocsparse_complex_numIdEliEEvT2_S3_21rocsparse_index_base_PKT0_PKT1_PKS3_S4_PS5_PS8_PS3_
; %bb.0:
	s_load_dword s12, s[4:5], 0x0
	s_load_dwordx2 s[10:11], s[4:5], 0x18
	s_lshl_b32 s22, s6, 10
	v_or_b32_e32 v2, s22, v0
	v_ashrrev_i32_e32 v3, 31, v2
	s_waitcnt lgkmcnt(0)
	v_cmp_le_i32_e32 vcc, s12, v2
	s_and_saveexec_b64 s[0:1], vcc
	s_xor_b64 s[0:1], exec, s[0:1]
	s_or_saveexec_b64 s[14:15], s[0:1]
	s_load_dwordx2 s[0:1], s[4:5], 0x40
	s_load_dwordx2 s[2:3], s[4:5], 0x30
	;; [unrolled: 1-line block ×3, first 2 shown]
	s_load_dword s23, s[4:5], 0x28
	s_load_dwordx2 s[8:9], s[4:5], 0x10
	s_load_dword s24, s[4:5], 0x8
	s_xor_b64 exec, exec, s[14:15]
	s_cbranch_execz .LBB273_6
; %bb.1:
	s_load_dwordx2 s[16:17], s[4:5], 0x38
	v_cmp_ne_u32_e32 vcc, 0, v2
                                        ; implicit-def: $sgpr20_sgpr21
	s_and_saveexec_b64 s[18:19], vcc
	s_xor_b64 s[18:19], exec, s[18:19]
	s_cbranch_execz .LBB273_3
; %bb.2:
	s_waitcnt lgkmcnt(0)
	s_sub_u32 s20, s23, s24
	s_subb_u32 s21, 0, 0
.LBB273_3:
	s_or_saveexec_b64 s[18:19], s[18:19]
	v_pk_mov_b32 v[4:5], s[20:21], s[20:21] op_sel:[0,1]
	s_xor_b64 exec, exec, s[18:19]
	s_cbranch_execz .LBB273_5
; %bb.4:
	s_load_dwordx2 s[20:21], s[10:11], 0x0
	s_waitcnt lgkmcnt(0)
	s_sub_u32 s26, s23, s24
	s_subb_u32 s27, 0, 0
	v_mov_b32_e32 v1, 0
	s_add_u32 s20, s26, s20
	s_addc_u32 s21, s27, s21
	v_pk_mov_b32 v[4:5], s[20:21], s[20:21] op_sel:[0,1]
	global_store_dwordx2 v1, v[4:5], s[16:17]
	v_pk_mov_b32 v[4:5], s[26:27], s[26:27] op_sel:[0,1]
.LBB273_5:
	s_or_b64 exec, exec, s[18:19]
	v_lshlrev_b64 v[6:7], 3, v[2:3]
	v_mov_b32_e32 v1, s11
	v_add_co_u32_e32 v8, vcc, s10, v6
	v_addc_co_u32_e32 v9, vcc, v1, v7, vcc
	global_load_dwordx2 v[8:9], v[8:9], off offset:8
	s_waitcnt lgkmcnt(0)
	v_mov_b32_e32 v1, s17
	s_waitcnt vmcnt(0)
	v_add_co_u32_e32 v4, vcc, v4, v8
	v_addc_co_u32_e32 v5, vcc, v5, v9, vcc
	v_add_co_u32_e32 v6, vcc, s16, v6
	v_addc_co_u32_e32 v7, vcc, v1, v7, vcc
	global_store_dwordx2 v[6:7], v[4:5], off offset:8
.LBB273_6:
	s_or_b64 exec, exec, s[14:15]
	s_ashr_i32 s13, s12, 31
	s_lshl_b64 s[12:13], s[12:13], 3
	s_add_u32 s12, s10, s12
	s_addc_u32 s13, s11, s13
	s_load_dwordx2 s[14:15], s[12:13], 0x0
	s_load_dwordx2 s[16:17], s[10:11], 0x0
	s_waitcnt lgkmcnt(0)
	s_sub_u32 s10, s14, s16
	s_subb_u32 s11, s15, s17
	v_cmp_gt_i64_e32 vcc, s[10:11], v[2:3]
	s_and_saveexec_b64 s[12:13], vcc
	s_cbranch_execz .LBB273_9
; %bb.7:
	s_load_dword s13, s[4:5], 0x48
	v_mov_b32_e32 v5, s1
	v_mov_b32_e32 v4, s7
	s_sub_i32 s12, s23, s24
	s_mov_b64 s[4:5], 0
	s_waitcnt lgkmcnt(0)
	s_lshl_b32 s1, s13, 10
	s_add_i32 s7, s1, s22
	v_add_u32_e32 v0, s7, v0
	v_mov_b32_e32 v6, s9
	v_mov_b32_e32 v7, s3
.LBB273_8:                              ; =>This Inner Loop Header: Depth=1
	v_lshlrev_b64 v[12:13], 2, v[2:3]
	v_add_co_u32_e32 v14, vcc, s6, v12
	v_lshlrev_b64 v[2:3], 4, v[2:3]
	v_addc_co_u32_e32 v15, vcc, v4, v13, vcc
	v_add_co_u32_e32 v16, vcc, s8, v2
	v_addc_co_u32_e32 v17, vcc, v6, v3, vcc
	global_load_dword v18, v[14:15], off
	global_load_dwordx4 v[8:11], v[16:17], off
	v_add_co_u32_e32 v12, vcc, s0, v12
	v_addc_co_u32_e32 v13, vcc, v5, v13, vcc
	v_add_co_u32_e32 v14, vcc, s2, v2
	v_ashrrev_i32_e32 v1, 31, v0
	v_addc_co_u32_e32 v15, vcc, v7, v3, vcc
	v_cmp_le_i64_e32 vcc, s[10:11], v[0:1]
	v_pk_mov_b32 v[2:3], v[0:1], v[0:1] op_sel:[0,1]
	v_add_u32_e32 v0, s1, v0
	s_or_b64 s[4:5], vcc, s[4:5]
	s_waitcnt vmcnt(1)
	v_add_u32_e32 v1, s12, v18
	s_waitcnt vmcnt(0)
	global_store_dwordx4 v[14:15], v[8:11], off
	global_store_dword v[12:13], v1, off
	s_andn2_b64 exec, exec, s[4:5]
	s_cbranch_execnz .LBB273_8
.LBB273_9:
	s_endpgm
	.section	.rodata,"a",@progbits
	.p2align	6, 0x0
	.amdhsa_kernel _ZN9rocsparseL35bsr2csr_block_dim_equals_one_kernelILj1024E21rocsparse_complex_numIdEliEEvT2_S3_21rocsparse_index_base_PKT0_PKT1_PKS3_S4_PS5_PS8_PS3_
		.amdhsa_group_segment_fixed_size 0
		.amdhsa_private_segment_fixed_size 0
		.amdhsa_kernarg_size 328
		.amdhsa_user_sgpr_count 6
		.amdhsa_user_sgpr_private_segment_buffer 1
		.amdhsa_user_sgpr_dispatch_ptr 0
		.amdhsa_user_sgpr_queue_ptr 0
		.amdhsa_user_sgpr_kernarg_segment_ptr 1
		.amdhsa_user_sgpr_dispatch_id 0
		.amdhsa_user_sgpr_flat_scratch_init 0
		.amdhsa_user_sgpr_kernarg_preload_length 0
		.amdhsa_user_sgpr_kernarg_preload_offset 0
		.amdhsa_user_sgpr_private_segment_size 0
		.amdhsa_uses_dynamic_stack 0
		.amdhsa_system_sgpr_private_segment_wavefront_offset 0
		.amdhsa_system_sgpr_workgroup_id_x 1
		.amdhsa_system_sgpr_workgroup_id_y 0
		.amdhsa_system_sgpr_workgroup_id_z 0
		.amdhsa_system_sgpr_workgroup_info 0
		.amdhsa_system_vgpr_workitem_id 0
		.amdhsa_next_free_vgpr 19
		.amdhsa_next_free_sgpr 28
		.amdhsa_accum_offset 20
		.amdhsa_reserve_vcc 1
		.amdhsa_reserve_flat_scratch 0
		.amdhsa_float_round_mode_32 0
		.amdhsa_float_round_mode_16_64 0
		.amdhsa_float_denorm_mode_32 3
		.amdhsa_float_denorm_mode_16_64 3
		.amdhsa_dx10_clamp 1
		.amdhsa_ieee_mode 1
		.amdhsa_fp16_overflow 0
		.amdhsa_tg_split 0
		.amdhsa_exception_fp_ieee_invalid_op 0
		.amdhsa_exception_fp_denorm_src 0
		.amdhsa_exception_fp_ieee_div_zero 0
		.amdhsa_exception_fp_ieee_overflow 0
		.amdhsa_exception_fp_ieee_underflow 0
		.amdhsa_exception_fp_ieee_inexact 0
		.amdhsa_exception_int_div_zero 0
	.end_amdhsa_kernel
	.section	.text._ZN9rocsparseL35bsr2csr_block_dim_equals_one_kernelILj1024E21rocsparse_complex_numIdEliEEvT2_S3_21rocsparse_index_base_PKT0_PKT1_PKS3_S4_PS5_PS8_PS3_,"axG",@progbits,_ZN9rocsparseL35bsr2csr_block_dim_equals_one_kernelILj1024E21rocsparse_complex_numIdEliEEvT2_S3_21rocsparse_index_base_PKT0_PKT1_PKS3_S4_PS5_PS8_PS3_,comdat
.Lfunc_end273:
	.size	_ZN9rocsparseL35bsr2csr_block_dim_equals_one_kernelILj1024E21rocsparse_complex_numIdEliEEvT2_S3_21rocsparse_index_base_PKT0_PKT1_PKS3_S4_PS5_PS8_PS3_, .Lfunc_end273-_ZN9rocsparseL35bsr2csr_block_dim_equals_one_kernelILj1024E21rocsparse_complex_numIdEliEEvT2_S3_21rocsparse_index_base_PKT0_PKT1_PKS3_S4_PS5_PS8_PS3_
                                        ; -- End function
	.section	.AMDGPU.csdata,"",@progbits
; Kernel info:
; codeLenInByte = 520
; NumSgprs: 32
; NumVgprs: 19
; NumAgprs: 0
; TotalNumVgprs: 19
; ScratchSize: 0
; MemoryBound: 0
; FloatMode: 240
; IeeeMode: 1
; LDSByteSize: 0 bytes/workgroup (compile time only)
; SGPRBlocks: 3
; VGPRBlocks: 2
; NumSGPRsForWavesPerEU: 32
; NumVGPRsForWavesPerEU: 19
; AccumOffset: 20
; Occupancy: 8
; WaveLimiterHint : 0
; COMPUTE_PGM_RSRC2:SCRATCH_EN: 0
; COMPUTE_PGM_RSRC2:USER_SGPR: 6
; COMPUTE_PGM_RSRC2:TRAP_HANDLER: 0
; COMPUTE_PGM_RSRC2:TGID_X_EN: 1
; COMPUTE_PGM_RSRC2:TGID_Y_EN: 0
; COMPUTE_PGM_RSRC2:TGID_Z_EN: 0
; COMPUTE_PGM_RSRC2:TIDIG_COMP_CNT: 0
; COMPUTE_PGM_RSRC3_GFX90A:ACCUM_OFFSET: 4
; COMPUTE_PGM_RSRC3_GFX90A:TG_SPLIT: 0
	.section	.text._ZN9rocsparseL32bsr2csr_block_per_row_2_7_kernelILj256ELj2E21rocsparse_complex_numIdEliEEv20rocsparse_direction_T3_S4_21rocsparse_index_base_PKT1_PKT2_PKS4_S4_S5_PS6_PS9_PS4_,"axG",@progbits,_ZN9rocsparseL32bsr2csr_block_per_row_2_7_kernelILj256ELj2E21rocsparse_complex_numIdEliEEv20rocsparse_direction_T3_S4_21rocsparse_index_base_PKT1_PKT2_PKS4_S4_S5_PS6_PS9_PS4_,comdat
	.globl	_ZN9rocsparseL32bsr2csr_block_per_row_2_7_kernelILj256ELj2E21rocsparse_complex_numIdEliEEv20rocsparse_direction_T3_S4_21rocsparse_index_base_PKT1_PKT2_PKS4_S4_S5_PS6_PS9_PS4_ ; -- Begin function _ZN9rocsparseL32bsr2csr_block_per_row_2_7_kernelILj256ELj2E21rocsparse_complex_numIdEliEEv20rocsparse_direction_T3_S4_21rocsparse_index_base_PKT1_PKT2_PKS4_S4_S5_PS6_PS9_PS4_
	.p2align	8
	.type	_ZN9rocsparseL32bsr2csr_block_per_row_2_7_kernelILj256ELj2E21rocsparse_complex_numIdEliEEv20rocsparse_direction_T3_S4_21rocsparse_index_base_PKT1_PKT2_PKS4_S4_S5_PS6_PS9_PS4_,@function
_ZN9rocsparseL32bsr2csr_block_per_row_2_7_kernelILj256ELj2E21rocsparse_complex_numIdEliEEv20rocsparse_direction_T3_S4_21rocsparse_index_base_PKT1_PKT2_PKS4_S4_S5_PS6_PS9_PS4_: ; @_ZN9rocsparseL32bsr2csr_block_per_row_2_7_kernelILj256ELj2E21rocsparse_complex_numIdEliEEv20rocsparse_direction_T3_S4_21rocsparse_index_base_PKT1_PKT2_PKS4_S4_S5_PS6_PS9_PS4_
; %bb.0:
	s_load_dwordx2 s[2:3], s[4:5], 0x18
	s_load_dword s12, s[4:5], 0x2c
	s_load_dwordx2 s[0:1], s[4:5], 0x38
	s_ashr_i32 s7, s6, 31
	s_lshl_b64 s[8:9], s[6:7], 3
	s_waitcnt lgkmcnt(0)
	s_add_u32 s2, s2, s8
	s_addc_u32 s3, s3, s9
	s_load_dwordx4 s[8:11], s[2:3], 0x0
	v_or_b32_e32 v1, s6, v0
	s_mov_b32 s15, 0
	v_cmp_eq_u32_e32 vcc, 0, v1
	s_and_saveexec_b64 s[2:3], vcc
	s_cbranch_execz .LBB274_2
; %bb.1:
	s_mov_b32 s13, s15
	v_mov_b32_e32 v1, 0
	v_pk_mov_b32 v[2:3], s[12:13], s[12:13] op_sel:[0,1]
	global_store_dwordx2 v1, v[2:3], s[0:1]
.LBB274_2:
	s_or_b64 exec, exec, s[2:3]
	s_load_dword s14, s[4:5], 0xc
	v_and_b32_e32 v16, 1, v0
	v_lshrrev_b32_e32 v6, 1, v0
	v_mov_b32_e32 v1, 0
	v_mov_b32_e32 v4, s1
	s_waitcnt lgkmcnt(0)
	s_sub_u32 s16, s8, s14
	s_subb_u32 s17, s9, 0
	s_sub_u32 s10, s10, s14
	s_subb_u32 s11, s11, 0
	s_lshl_b64 s[18:19], s[16:17], 2
	s_sub_u32 s20, s10, s16
	s_subb_u32 s21, s11, s17
	s_lshl_b64 s[2:3], s[20:21], 1
	v_mov_b32_e32 v0, s20
	s_add_u32 s7, s2, s12
	v_alignbit_b32 v0, s21, v0, 31
	s_addc_u32 s3, s3, 0
	v_mul_lo_u32 v7, v0, v16
	s_add_u32 s18, s7, s18
	v_lshl_or_b32 v0, s6, 1, v16
	s_addc_u32 s19, s3, s19
	v_add_u32_e32 v0, 1, v0
	v_pk_mov_b32 v[2:3], s[18:19], s[18:19] op_sel:[0,1]
	v_lshlrev_b64 v[0:1], 3, v[0:1]
	v_mad_u64_u32 v[2:3], s[18:19], s2, v16, v[2:3]
	v_add_co_u32_e32 v0, vcc, s0, v0
	v_add_u32_e32 v3, v7, v3
	v_addc_co_u32_e32 v1, vcc, v4, v1, vcc
	global_store_dwordx2 v[0:1], v[2:3], off
	v_mov_b32_e32 v1, s17
	v_add_co_u32_e32 v0, vcc, s16, v6
	v_addc_co_u32_e32 v1, vcc, 0, v1, vcc
	v_cmp_gt_i64_e32 vcc, s[10:11], v[0:1]
	s_and_saveexec_b64 s[0:1], vcc
	s_cbranch_execz .LBB274_7
; %bb.3:
	s_load_dwordx2 s[18:19], s[4:5], 0x20
	s_load_dwordx2 s[20:21], s[4:5], 0x30
	s_load_dword s3, s[4:5], 0x0
	s_load_dwordx2 s[6:7], s[4:5], 0x10
	s_load_dwordx2 s[22:23], s[4:5], 0x40
	v_lshlrev_b64 v[2:3], 2, v[0:1]
	v_mul_lo_u32 v8, s2, v16
	s_waitcnt lgkmcnt(0)
	s_cmp_eq_u32 s3, 0
	s_cselect_b64 s[0:1], -1, 0
	s_cmp_lg_u32 s3, 0
	s_cselect_b64 s[2:3], -1, 0
	s_add_u32 s13, s6, 32
	v_mov_b32_e32 v5, s19
	v_add_co_u32_e32 v4, vcc, s18, v2
	s_addc_u32 s16, s7, 0
	v_addc_co_u32_e32 v5, vcc, v5, v3, vcc
	s_lshl_b64 s[4:5], s[8:9], 2
	v_mov_b32_e32 v9, s5
	v_add_co_u32_e32 v8, vcc, s4, v8
	v_addc_co_u32_e32 v7, vcc, v7, v9, vcc
	v_lshlrev_b32_e32 v6, 1, v6
	v_add_co_u32_e32 v6, vcc, v8, v6
	v_addc_co_u32_e32 v7, vcc, 0, v7, vcc
	s_lshl_b64 s[4:5], s[14:15], 2
	v_mov_b32_e32 v8, s5
	v_subrev_co_u32_e32 v10, vcc, s4, v6
	v_subb_co_u32_e32 v11, vcc, v7, v8, vcc
	v_lshlrev_b64 v[6:7], 4, v[10:11]
	v_mov_b32_e32 v8, s21
	v_add_co_u32_e32 v6, vcc, s20, v6
	v_addc_co_u32_e32 v7, vcc, v7, v8, vcc
	v_add_co_u32_e32 v6, vcc, 16, v6
	v_addc_co_u32_e32 v7, vcc, 0, v7, vcc
	v_lshlrev_b64 v[10:11], 2, v[10:11]
	v_mov_b32_e32 v12, s23
	v_add_co_u32_e32 v10, vcc, s22, v10
	v_addc_co_u32_e32 v11, vcc, v11, v12, vcc
	v_add_co_u32_e32 v10, vcc, 4, v10
	v_lshlrev_b64 v[12:13], 6, v[0:1]
	v_addc_co_u32_e32 v11, vcc, 0, v11, vcc
	v_lshl_or_b32 v12, v16, 5, v12
	v_mov_b32_e32 v17, s7
	v_add_co_u32_e32 v12, vcc, s6, v12
	v_addc_co_u32_e32 v13, vcc, v13, v17, vcc
	v_add_co_u32_e32 v12, vcc, 16, v12
	v_cndmask_b32_e64 v14, 0, 1, s[2:3]
	v_or_b32_e32 v8, v2, v16
	v_mov_b32_e32 v9, v3
	v_addc_co_u32_e32 v13, vcc, 0, v13, vcc
	v_lshl_or_b32 v2, v16, 1, v2
	s_mov_b64 s[4:5], 0
	v_cmp_ne_u32_e64 s[2:3], 1, v14
	s_branch .LBB274_5
.LBB274_4:                              ;   in Loop: Header=BB274_5 Depth=1
	global_load_dwordx4 v[18:21], v[14:15], off
	v_add_co_u32_e32 v0, vcc, 0x80, v0
	v_addc_co_u32_e32 v1, vcc, 0, v1, vcc
	v_add_co_u32_e32 v4, vcc, 0x200, v4
	v_addc_co_u32_e32 v5, vcc, 0, v5, vcc
	v_cmp_le_i64_e32 vcc, s[10:11], v[0:1]
	s_or_b64 s[4:5], vcc, s[4:5]
	s_waitcnt vmcnt(0)
	global_store_dwordx4 v[6:7], v[18:21], off
	v_add_co_u32_e32 v6, vcc, 0x1000, v6
	v_addc_co_u32_e32 v7, vcc, 0, v7, vcc
	v_add_co_u32_e32 v8, vcc, 0x200, v8
	v_addc_co_u32_e32 v9, vcc, 0, v9, vcc
	;; [unrolled: 2-line block ×5, first 2 shown]
	s_andn2_b64 exec, exec, s[4:5]
	s_cbranch_execz .LBB274_7
.LBB274_5:                              ; =>This Inner Loop Header: Depth=1
	v_cndmask_b32_e64 v15, v9, v3, s[0:1]
	v_cndmask_b32_e64 v14, v8, v2, s[0:1]
	global_load_dword v22, v[4:5], off
	v_lshlrev_b64 v[14:15], 4, v[14:15]
	v_add_co_u32_e32 v14, vcc, s6, v14
	v_addc_co_u32_e32 v15, vcc, v17, v15, vcc
	global_load_dwordx4 v[18:21], v[14:15], off
	s_and_b64 vcc, exec, s[2:3]
	s_waitcnt vmcnt(1)
	v_subrev_u32_e32 v14, s14, v22
	v_lshl_add_u32 v14, v14, 1, s12
	v_add_u32_e32 v15, 1, v14
	s_waitcnt vmcnt(0)
	global_store_dwordx4 v[6:7], v[18:21], off offset:-16
	global_store_dwordx2 v[10:11], v[14:15], off offset:-4
	v_pk_mov_b32 v[14:15], v[12:13], v[12:13] op_sel:[0,1]
	s_cbranch_vccnz .LBB274_4
; %bb.6:                                ;   in Loop: Header=BB274_5 Depth=1
	v_lshlrev_b64 v[14:15], 6, v[0:1]
	v_lshl_or_b32 v14, v16, 4, v14
	v_mov_b32_e32 v18, s16
	v_add_co_u32_e32 v14, vcc, s13, v14
	v_addc_co_u32_e32 v15, vcc, v18, v15, vcc
	s_branch .LBB274_4
.LBB274_7:
	s_endpgm
	.section	.rodata,"a",@progbits
	.p2align	6, 0x0
	.amdhsa_kernel _ZN9rocsparseL32bsr2csr_block_per_row_2_7_kernelILj256ELj2E21rocsparse_complex_numIdEliEEv20rocsparse_direction_T3_S4_21rocsparse_index_base_PKT1_PKT2_PKS4_S4_S5_PS6_PS9_PS4_
		.amdhsa_group_segment_fixed_size 0
		.amdhsa_private_segment_fixed_size 0
		.amdhsa_kernarg_size 72
		.amdhsa_user_sgpr_count 6
		.amdhsa_user_sgpr_private_segment_buffer 1
		.amdhsa_user_sgpr_dispatch_ptr 0
		.amdhsa_user_sgpr_queue_ptr 0
		.amdhsa_user_sgpr_kernarg_segment_ptr 1
		.amdhsa_user_sgpr_dispatch_id 0
		.amdhsa_user_sgpr_flat_scratch_init 0
		.amdhsa_user_sgpr_kernarg_preload_length 0
		.amdhsa_user_sgpr_kernarg_preload_offset 0
		.amdhsa_user_sgpr_private_segment_size 0
		.amdhsa_uses_dynamic_stack 0
		.amdhsa_system_sgpr_private_segment_wavefront_offset 0
		.amdhsa_system_sgpr_workgroup_id_x 1
		.amdhsa_system_sgpr_workgroup_id_y 0
		.amdhsa_system_sgpr_workgroup_id_z 0
		.amdhsa_system_sgpr_workgroup_info 0
		.amdhsa_system_vgpr_workitem_id 0
		.amdhsa_next_free_vgpr 23
		.amdhsa_next_free_sgpr 24
		.amdhsa_accum_offset 24
		.amdhsa_reserve_vcc 1
		.amdhsa_reserve_flat_scratch 0
		.amdhsa_float_round_mode_32 0
		.amdhsa_float_round_mode_16_64 0
		.amdhsa_float_denorm_mode_32 3
		.amdhsa_float_denorm_mode_16_64 3
		.amdhsa_dx10_clamp 1
		.amdhsa_ieee_mode 1
		.amdhsa_fp16_overflow 0
		.amdhsa_tg_split 0
		.amdhsa_exception_fp_ieee_invalid_op 0
		.amdhsa_exception_fp_denorm_src 0
		.amdhsa_exception_fp_ieee_div_zero 0
		.amdhsa_exception_fp_ieee_overflow 0
		.amdhsa_exception_fp_ieee_underflow 0
		.amdhsa_exception_fp_ieee_inexact 0
		.amdhsa_exception_int_div_zero 0
	.end_amdhsa_kernel
	.section	.text._ZN9rocsparseL32bsr2csr_block_per_row_2_7_kernelILj256ELj2E21rocsparse_complex_numIdEliEEv20rocsparse_direction_T3_S4_21rocsparse_index_base_PKT1_PKT2_PKS4_S4_S5_PS6_PS9_PS4_,"axG",@progbits,_ZN9rocsparseL32bsr2csr_block_per_row_2_7_kernelILj256ELj2E21rocsparse_complex_numIdEliEEv20rocsparse_direction_T3_S4_21rocsparse_index_base_PKT1_PKT2_PKS4_S4_S5_PS6_PS9_PS4_,comdat
.Lfunc_end274:
	.size	_ZN9rocsparseL32bsr2csr_block_per_row_2_7_kernelILj256ELj2E21rocsparse_complex_numIdEliEEv20rocsparse_direction_T3_S4_21rocsparse_index_base_PKT1_PKT2_PKS4_S4_S5_PS6_PS9_PS4_, .Lfunc_end274-_ZN9rocsparseL32bsr2csr_block_per_row_2_7_kernelILj256ELj2E21rocsparse_complex_numIdEliEEv20rocsparse_direction_T3_S4_21rocsparse_index_base_PKT1_PKT2_PKS4_S4_S5_PS6_PS9_PS4_
                                        ; -- End function
	.section	.AMDGPU.csdata,"",@progbits
; Kernel info:
; codeLenInByte = 808
; NumSgprs: 28
; NumVgprs: 23
; NumAgprs: 0
; TotalNumVgprs: 23
; ScratchSize: 0
; MemoryBound: 0
; FloatMode: 240
; IeeeMode: 1
; LDSByteSize: 0 bytes/workgroup (compile time only)
; SGPRBlocks: 3
; VGPRBlocks: 2
; NumSGPRsForWavesPerEU: 28
; NumVGPRsForWavesPerEU: 23
; AccumOffset: 24
; Occupancy: 8
; WaveLimiterHint : 0
; COMPUTE_PGM_RSRC2:SCRATCH_EN: 0
; COMPUTE_PGM_RSRC2:USER_SGPR: 6
; COMPUTE_PGM_RSRC2:TRAP_HANDLER: 0
; COMPUTE_PGM_RSRC2:TGID_X_EN: 1
; COMPUTE_PGM_RSRC2:TGID_Y_EN: 0
; COMPUTE_PGM_RSRC2:TGID_Z_EN: 0
; COMPUTE_PGM_RSRC2:TIDIG_COMP_CNT: 0
; COMPUTE_PGM_RSRC3_GFX90A:ACCUM_OFFSET: 5
; COMPUTE_PGM_RSRC3_GFX90A:TG_SPLIT: 0
	.section	.text._ZN9rocsparseL32bsr2csr_block_per_row_2_7_kernelILj256ELj3E21rocsparse_complex_numIdEliEEv20rocsparse_direction_T3_S4_21rocsparse_index_base_PKT1_PKT2_PKS4_S4_S5_PS6_PS9_PS4_,"axG",@progbits,_ZN9rocsparseL32bsr2csr_block_per_row_2_7_kernelILj256ELj3E21rocsparse_complex_numIdEliEEv20rocsparse_direction_T3_S4_21rocsparse_index_base_PKT1_PKT2_PKS4_S4_S5_PS6_PS9_PS4_,comdat
	.globl	_ZN9rocsparseL32bsr2csr_block_per_row_2_7_kernelILj256ELj3E21rocsparse_complex_numIdEliEEv20rocsparse_direction_T3_S4_21rocsparse_index_base_PKT1_PKT2_PKS4_S4_S5_PS6_PS9_PS4_ ; -- Begin function _ZN9rocsparseL32bsr2csr_block_per_row_2_7_kernelILj256ELj3E21rocsparse_complex_numIdEliEEv20rocsparse_direction_T3_S4_21rocsparse_index_base_PKT1_PKT2_PKS4_S4_S5_PS6_PS9_PS4_
	.p2align	8
	.type	_ZN9rocsparseL32bsr2csr_block_per_row_2_7_kernelILj256ELj3E21rocsparse_complex_numIdEliEEv20rocsparse_direction_T3_S4_21rocsparse_index_base_PKT1_PKT2_PKS4_S4_S5_PS6_PS9_PS4_,@function
_ZN9rocsparseL32bsr2csr_block_per_row_2_7_kernelILj256ELj3E21rocsparse_complex_numIdEliEEv20rocsparse_direction_T3_S4_21rocsparse_index_base_PKT1_PKT2_PKS4_S4_S5_PS6_PS9_PS4_: ; @_ZN9rocsparseL32bsr2csr_block_per_row_2_7_kernelILj256ELj3E21rocsparse_complex_numIdEliEEv20rocsparse_direction_T3_S4_21rocsparse_index_base_PKT1_PKT2_PKS4_S4_S5_PS6_PS9_PS4_
; %bb.0:
	s_load_dwordx2 s[2:3], s[4:5], 0x18
	s_load_dword s12, s[4:5], 0x2c
	s_load_dwordx2 s[0:1], s[4:5], 0x38
	s_ashr_i32 s7, s6, 31
	s_lshl_b64 s[8:9], s[6:7], 3
	s_waitcnt lgkmcnt(0)
	s_add_u32 s2, s2, s8
	v_or_b32_e32 v1, s6, v0
	s_addc_u32 s3, s3, s9
	v_cmp_eq_u32_e32 vcc, 0, v1
	s_and_saveexec_b64 s[8:9], vcc
	s_cbranch_execz .LBB275_2
; %bb.1:
	v_mov_b32_e32 v2, s12
	v_mov_b32_e32 v3, 0
	global_store_dwordx2 v3, v[2:3], s[0:1]
.LBB275_2:
	s_or_b64 exec, exec, s[8:9]
	v_and_b32_e32 v4, 3, v0
	v_cmp_ne_u32_e32 vcc, 3, v4
	s_and_saveexec_b64 s[8:9], vcc
	s_cbranch_execz .LBB275_6
; %bb.3:
	s_load_dwordx4 s[8:11], s[2:3], 0x0
	s_load_dword s7, s[4:5], 0xc
	s_mul_i32 s6, s6, 3
	v_lshrrev_b32_e32 v8, 2, v0
	v_mov_b32_e32 v1, 0
	v_add3_u32 v0, v4, s6, 1
	s_waitcnt lgkmcnt(0)
	s_sub_u32 s3, s8, s7
	s_subb_u32 s13, s9, 0
	s_mul_hi_u32 s2, s3, 9
	s_sub_u32 s10, s10, s7
	s_mul_i32 s14, s13, 9
	s_subb_u32 s11, s11, 0
	s_add_i32 s15, s2, s14
	s_sub_u32 s2, s10, s3
	s_subb_u32 s16, s11, s13
	s_mul_i32 s16, s16, 3
	s_mul_hi_u32 s17, s2, 3
	s_add_i32 s17, s17, s16
	s_mul_i32 s2, s2, 3
	s_add_u32 s16, s2, s12
	s_mul_i32 s14, s3, 9
	v_mul_lo_u32 v2, s17, v4
	s_addc_u32 s17, s17, 0
	s_add_u32 s14, s16, s14
	s_addc_u32 s15, s17, s15
	v_pk_mov_b32 v[6:7], s[14:15], s[14:15] op_sel:[0,1]
	v_lshlrev_b64 v[0:1], 3, v[0:1]
	v_mad_u64_u32 v[6:7], s[14:15], s2, v4, v[6:7]
	v_mov_b32_e32 v3, s1
	v_add_co_u32_e32 v0, vcc, s0, v0
	v_add_u32_e32 v7, v2, v7
	v_addc_co_u32_e32 v1, vcc, v3, v1, vcc
	global_store_dwordx2 v[0:1], v[6:7], off
	v_mov_b32_e32 v1, s13
	v_add_co_u32_e32 v0, vcc, s3, v8
	v_addc_co_u32_e32 v1, vcc, 0, v1, vcc
	v_cmp_gt_i64_e32 vcc, s[10:11], v[0:1]
	s_and_b64 exec, exec, vcc
	s_cbranch_execz .LBB275_6
; %bb.4:
	s_load_dwordx2 s[14:15], s[4:5], 0x20
	s_load_dwordx2 s[16:17], s[4:5], 0x30
	s_load_dwordx2 s[18:19], s[4:5], 0x10
	s_load_dword s3, s[4:5], 0x0
	s_load_dwordx2 s[20:21], s[4:5], 0x40
	s_movk_i32 s4, 0x90
	v_mad_u64_u32 v[10:11], s[0:1], s2, v4, 0
	s_waitcnt lgkmcnt(0)
	v_pk_mov_b32 v[6:7], s[18:19], s[18:19] op_sel:[0,1]
	s_cmp_eq_u32 s3, 0
	v_mad_u64_u32 v[6:7], s[2:3], v0, s4, v[6:7]
	v_add_u32_e32 v11, v11, v2
	v_lshlrev_b64 v[2:3], 2, v[0:1]
	v_mov_b32_e32 v12, v7
	v_mov_b32_e32 v5, s15
	v_add_co_u32_e32 v2, vcc, s14, v2
	v_mad_u64_u32 v[12:13], s[2:3], v1, s4, v[12:13]
	v_mad_u64_u32 v[10:11], s[2:3], s8, 9, v[10:11]
	v_addc_co_u32_e32 v3, vcc, v5, v3, vcc
	v_mov_b32_e32 v5, v12
	v_mov_b32_e32 v12, v11
	v_mad_u64_u32 v[12:13], s[2:3], s9, 9, v[12:13]
	v_mov_b32_e32 v11, v12
	v_mad_u64_u32 v[8:9], s[2:3], v8, 3, v[10:11]
	s_mul_hi_u32 s2, s7, 9
	s_mul_i32 s3, s7, 9
	v_mov_b32_e32 v7, s2
	v_subrev_co_u32_e32 v10, vcc, s3, v8
	v_subb_co_u32_e32 v11, vcc, v9, v7, vcc
	v_lshlrev_b64 v[8:9], 4, v[10:11]
	v_mov_b32_e32 v7, s17
	v_add_co_u32_e32 v8, vcc, s16, v8
	v_addc_co_u32_e32 v7, vcc, v9, v7, vcc
	v_add_co_u32_e32 v8, vcc, 16, v8
	v_addc_co_u32_e32 v9, vcc, 0, v7, vcc
	v_lshlrev_b64 v[10:11], 2, v[10:11]
	v_mov_b32_e32 v7, s21
	v_add_co_u32_e32 v10, vcc, s20, v10
	v_addc_co_u32_e32 v7, vcc, v11, v7, vcc
	v_mul_u32_u24_e32 v14, 3, v4
	v_add_co_u32_e32 v10, vcc, 4, v10
	s_cselect_b64 s[0:1], -1, 0
	v_lshlrev_b32_e32 v4, 4, v4
	v_addc_co_u32_e32 v11, vcc, 0, v7, vcc
	v_lshlrev_b32_e32 v12, 4, v14
	s_mov_b64 s[4:5], 0
	v_mov_b32_e32 v14, s12
	s_movk_i32 s6, 0x60
	s_movk_i32 s8, 0x100
	;; [unrolled: 1-line block ×3, first 2 shown]
.LBB275_5:                              ; =>This Inner Loop Header: Depth=1
	v_add_co_u32_e32 v13, vcc, v6, v4
	v_addc_co_u32_e32 v15, vcc, 0, v5, vcc
	v_add_co_u32_e32 v18, vcc, v6, v12
	v_addc_co_u32_e32 v19, vcc, 0, v5, vcc
	;; [unrolled: 2-line block ×5, first 2 shown]
	global_load_dword v7, v[2:3], off
	v_cndmask_b32_e64 v16, v13, v18, s[0:1]
	v_add_co_u32_e32 v13, vcc, s6, v13
	v_cndmask_b32_e64 v17, v15, v19, s[0:1]
	v_addc_co_u32_e32 v15, vcc, 0, v15, vcc
	v_cndmask_b32_e64 v29, v23, v21, s[0:1]
	v_cndmask_b32_e64 v28, v22, v20, s[0:1]
	global_load_dwordx4 v[16:19], v[16:17], off
	v_cndmask_b32_e64 v31, v15, v25, s[0:1]
	v_cndmask_b32_e64 v30, v13, v24, s[0:1]
	global_load_dwordx4 v[20:23], v[28:29], off
	global_load_dwordx4 v[24:27], v[30:31], off
	v_add_co_u32_e32 v0, vcc, 64, v0
	v_addc_co_u32_e32 v1, vcc, 0, v1, vcc
	v_add_co_u32_e32 v2, vcc, s8, v2
	v_addc_co_u32_e32 v3, vcc, 0, v3, vcc
	v_add_co_u32_e32 v6, vcc, s9, v6
	v_cmp_le_i64_e64 s[2:3], s[10:11], v[0:1]
	v_addc_co_u32_e32 v5, vcc, 0, v5, vcc
	s_or_b64 s[4:5], s[2:3], s[4:5]
	s_waitcnt vmcnt(3)
	v_subrev_u32_e32 v7, s7, v7
	v_mad_u64_u32 v[28:29], s[2:3], v7, 3, v[14:15]
	v_add_u32_e32 v30, 2, v28
	v_add_u32_e32 v29, 1, v28
	s_waitcnt vmcnt(2)
	global_store_dwordx4 v[8:9], v[16:19], off offset:-16
	s_waitcnt vmcnt(2)
	global_store_dwordx4 v[8:9], v[20:23], off
	global_store_dwordx3 v[10:11], v[28:30], off offset:-4
	s_waitcnt vmcnt(3)
	global_store_dwordx4 v[8:9], v[24:27], off offset:16
	v_add_co_u32_e32 v8, vcc, 0xc00, v8
	v_addc_co_u32_e32 v9, vcc, 0, v9, vcc
	v_add_co_u32_e32 v10, vcc, 0x300, v10
	v_addc_co_u32_e32 v11, vcc, 0, v11, vcc
	s_andn2_b64 exec, exec, s[4:5]
	s_cbranch_execnz .LBB275_5
.LBB275_6:
	s_endpgm
	.section	.rodata,"a",@progbits
	.p2align	6, 0x0
	.amdhsa_kernel _ZN9rocsparseL32bsr2csr_block_per_row_2_7_kernelILj256ELj3E21rocsparse_complex_numIdEliEEv20rocsparse_direction_T3_S4_21rocsparse_index_base_PKT1_PKT2_PKS4_S4_S5_PS6_PS9_PS4_
		.amdhsa_group_segment_fixed_size 0
		.amdhsa_private_segment_fixed_size 0
		.amdhsa_kernarg_size 72
		.amdhsa_user_sgpr_count 6
		.amdhsa_user_sgpr_private_segment_buffer 1
		.amdhsa_user_sgpr_dispatch_ptr 0
		.amdhsa_user_sgpr_queue_ptr 0
		.amdhsa_user_sgpr_kernarg_segment_ptr 1
		.amdhsa_user_sgpr_dispatch_id 0
		.amdhsa_user_sgpr_flat_scratch_init 0
		.amdhsa_user_sgpr_kernarg_preload_length 0
		.amdhsa_user_sgpr_kernarg_preload_offset 0
		.amdhsa_user_sgpr_private_segment_size 0
		.amdhsa_uses_dynamic_stack 0
		.amdhsa_system_sgpr_private_segment_wavefront_offset 0
		.amdhsa_system_sgpr_workgroup_id_x 1
		.amdhsa_system_sgpr_workgroup_id_y 0
		.amdhsa_system_sgpr_workgroup_id_z 0
		.amdhsa_system_sgpr_workgroup_info 0
		.amdhsa_system_vgpr_workitem_id 0
		.amdhsa_next_free_vgpr 32
		.amdhsa_next_free_sgpr 22
		.amdhsa_accum_offset 32
		.amdhsa_reserve_vcc 1
		.amdhsa_reserve_flat_scratch 0
		.amdhsa_float_round_mode_32 0
		.amdhsa_float_round_mode_16_64 0
		.amdhsa_float_denorm_mode_32 3
		.amdhsa_float_denorm_mode_16_64 3
		.amdhsa_dx10_clamp 1
		.amdhsa_ieee_mode 1
		.amdhsa_fp16_overflow 0
		.amdhsa_tg_split 0
		.amdhsa_exception_fp_ieee_invalid_op 0
		.amdhsa_exception_fp_denorm_src 0
		.amdhsa_exception_fp_ieee_div_zero 0
		.amdhsa_exception_fp_ieee_overflow 0
		.amdhsa_exception_fp_ieee_underflow 0
		.amdhsa_exception_fp_ieee_inexact 0
		.amdhsa_exception_int_div_zero 0
	.end_amdhsa_kernel
	.section	.text._ZN9rocsparseL32bsr2csr_block_per_row_2_7_kernelILj256ELj3E21rocsparse_complex_numIdEliEEv20rocsparse_direction_T3_S4_21rocsparse_index_base_PKT1_PKT2_PKS4_S4_S5_PS6_PS9_PS4_,"axG",@progbits,_ZN9rocsparseL32bsr2csr_block_per_row_2_7_kernelILj256ELj3E21rocsparse_complex_numIdEliEEv20rocsparse_direction_T3_S4_21rocsparse_index_base_PKT1_PKT2_PKS4_S4_S5_PS6_PS9_PS4_,comdat
.Lfunc_end275:
	.size	_ZN9rocsparseL32bsr2csr_block_per_row_2_7_kernelILj256ELj3E21rocsparse_complex_numIdEliEEv20rocsparse_direction_T3_S4_21rocsparse_index_base_PKT1_PKT2_PKS4_S4_S5_PS6_PS9_PS4_, .Lfunc_end275-_ZN9rocsparseL32bsr2csr_block_per_row_2_7_kernelILj256ELj3E21rocsparse_complex_numIdEliEEv20rocsparse_direction_T3_S4_21rocsparse_index_base_PKT1_PKT2_PKS4_S4_S5_PS6_PS9_PS4_
                                        ; -- End function
	.section	.AMDGPU.csdata,"",@progbits
; Kernel info:
; codeLenInByte = 816
; NumSgprs: 26
; NumVgprs: 32
; NumAgprs: 0
; TotalNumVgprs: 32
; ScratchSize: 0
; MemoryBound: 0
; FloatMode: 240
; IeeeMode: 1
; LDSByteSize: 0 bytes/workgroup (compile time only)
; SGPRBlocks: 3
; VGPRBlocks: 3
; NumSGPRsForWavesPerEU: 26
; NumVGPRsForWavesPerEU: 32
; AccumOffset: 32
; Occupancy: 8
; WaveLimiterHint : 0
; COMPUTE_PGM_RSRC2:SCRATCH_EN: 0
; COMPUTE_PGM_RSRC2:USER_SGPR: 6
; COMPUTE_PGM_RSRC2:TRAP_HANDLER: 0
; COMPUTE_PGM_RSRC2:TGID_X_EN: 1
; COMPUTE_PGM_RSRC2:TGID_Y_EN: 0
; COMPUTE_PGM_RSRC2:TGID_Z_EN: 0
; COMPUTE_PGM_RSRC2:TIDIG_COMP_CNT: 0
; COMPUTE_PGM_RSRC3_GFX90A:ACCUM_OFFSET: 7
; COMPUTE_PGM_RSRC3_GFX90A:TG_SPLIT: 0
	.section	.text._ZN9rocsparseL32bsr2csr_block_per_row_2_7_kernelILj256ELj4E21rocsparse_complex_numIdEliEEv20rocsparse_direction_T3_S4_21rocsparse_index_base_PKT1_PKT2_PKS4_S4_S5_PS6_PS9_PS4_,"axG",@progbits,_ZN9rocsparseL32bsr2csr_block_per_row_2_7_kernelILj256ELj4E21rocsparse_complex_numIdEliEEv20rocsparse_direction_T3_S4_21rocsparse_index_base_PKT1_PKT2_PKS4_S4_S5_PS6_PS9_PS4_,comdat
	.globl	_ZN9rocsparseL32bsr2csr_block_per_row_2_7_kernelILj256ELj4E21rocsparse_complex_numIdEliEEv20rocsparse_direction_T3_S4_21rocsparse_index_base_PKT1_PKT2_PKS4_S4_S5_PS6_PS9_PS4_ ; -- Begin function _ZN9rocsparseL32bsr2csr_block_per_row_2_7_kernelILj256ELj4E21rocsparse_complex_numIdEliEEv20rocsparse_direction_T3_S4_21rocsparse_index_base_PKT1_PKT2_PKS4_S4_S5_PS6_PS9_PS4_
	.p2align	8
	.type	_ZN9rocsparseL32bsr2csr_block_per_row_2_7_kernelILj256ELj4E21rocsparse_complex_numIdEliEEv20rocsparse_direction_T3_S4_21rocsparse_index_base_PKT1_PKT2_PKS4_S4_S5_PS6_PS9_PS4_,@function
_ZN9rocsparseL32bsr2csr_block_per_row_2_7_kernelILj256ELj4E21rocsparse_complex_numIdEliEEv20rocsparse_direction_T3_S4_21rocsparse_index_base_PKT1_PKT2_PKS4_S4_S5_PS6_PS9_PS4_: ; @_ZN9rocsparseL32bsr2csr_block_per_row_2_7_kernelILj256ELj4E21rocsparse_complex_numIdEliEEv20rocsparse_direction_T3_S4_21rocsparse_index_base_PKT1_PKT2_PKS4_S4_S5_PS6_PS9_PS4_
; %bb.0:
	s_load_dwordx2 s[2:3], s[4:5], 0x18
	s_load_dword s12, s[4:5], 0x2c
	s_load_dwordx2 s[0:1], s[4:5], 0x38
	s_ashr_i32 s7, s6, 31
	s_lshl_b64 s[8:9], s[6:7], 3
	s_waitcnt lgkmcnt(0)
	s_add_u32 s2, s2, s8
	s_addc_u32 s3, s3, s9
	s_load_dwordx4 s[8:11], s[2:3], 0x0
	v_or_b32_e32 v1, s6, v0
	s_mov_b32 s15, 0
	v_cmp_eq_u32_e32 vcc, 0, v1
	s_and_saveexec_b64 s[2:3], vcc
	s_cbranch_execz .LBB276_2
; %bb.1:
	s_mov_b32 s13, s15
	v_mov_b32_e32 v1, 0
	v_pk_mov_b32 v[2:3], s[12:13], s[12:13] op_sel:[0,1]
	global_store_dwordx2 v1, v[2:3], s[0:1]
.LBB276_2:
	s_or_b64 exec, exec, s[2:3]
	s_load_dword s14, s[4:5], 0xc
	v_and_b32_e32 v20, 3, v0
	v_lshrrev_b32_e32 v8, 2, v0
	v_mov_b32_e32 v1, 0
	v_mov_b32_e32 v3, s1
	s_waitcnt lgkmcnt(0)
	s_sub_u32 s16, s8, s14
	s_subb_u32 s17, s9, 0
	s_sub_u32 s10, s10, s14
	s_subb_u32 s11, s11, 0
	s_lshl_b64 s[18:19], s[16:17], 4
	s_sub_u32 s20, s10, s16
	s_subb_u32 s21, s11, s17
	s_lshl_b64 s[2:3], s[20:21], 2
	v_mov_b32_e32 v0, s20
	s_add_u32 s7, s2, s12
	v_alignbit_b32 v0, s21, v0, 30
	s_addc_u32 s3, s3, 0
	v_mul_lo_u32 v2, v0, v20
	s_add_u32 s18, s7, s18
	v_lshl_or_b32 v0, s6, 2, v20
	s_addc_u32 s19, s3, s19
	v_add_u32_e32 v0, 1, v0
	v_pk_mov_b32 v[4:5], s[18:19], s[18:19] op_sel:[0,1]
	v_lshlrev_b64 v[0:1], 3, v[0:1]
	v_mad_u64_u32 v[4:5], s[18:19], s2, v20, v[4:5]
	v_add_co_u32_e32 v0, vcc, s0, v0
	v_add_u32_e32 v5, v2, v5
	v_addc_co_u32_e32 v1, vcc, v3, v1, vcc
	global_store_dwordx2 v[0:1], v[4:5], off
	v_mov_b32_e32 v1, s17
	v_add_co_u32_e32 v0, vcc, s16, v8
	v_addc_co_u32_e32 v1, vcc, 0, v1, vcc
	v_cmp_gt_i64_e32 vcc, s[10:11], v[0:1]
	s_and_saveexec_b64 s[0:1], vcc
	s_cbranch_execz .LBB276_15
; %bb.3:
	s_load_dwordx2 s[16:17], s[4:5], 0x20
	s_load_dwordx2 s[24:25], s[4:5], 0x30
	;; [unrolled: 1-line block ×3, first 2 shown]
	s_load_dword s3, s[4:5], 0x0
	s_load_dwordx2 s[26:27], s[4:5], 0x40
	v_mad_u64_u32 v[10:11], s[0:1], s2, v20, 0
	v_add_u32_e32 v9, v11, v2
	s_waitcnt lgkmcnt(0)
	s_cmp_eq_u32 s3, 0
	s_cselect_b64 s[0:1], -1, 0
	s_cmp_lg_u32 s3, 0
	s_cselect_b64 s[4:5], -1, 0
	s_add_u32 s13, s6, 64
	s_addc_u32 s18, s7, 0
	s_add_u32 s19, s6, 0x80
	s_addc_u32 s20, s7, 0
	v_lshlrev_b64 v[2:3], 2, v[0:1]
	s_add_u32 s21, s6, 0xc0
	v_mov_b32_e32 v4, s17
	v_add_co_u32_e32 v2, vcc, s16, v2
	s_addc_u32 s22, s7, 0
	v_addc_co_u32_e32 v3, vcc, v4, v3, vcc
	s_lshl_b64 s[2:3], s[8:9], 4
	v_mov_b32_e32 v11, s3
	v_add_co_u32_e32 v10, vcc, s2, v10
	v_addc_co_u32_e32 v9, vcc, v9, v11, vcc
	v_lshlrev_b32_e32 v8, 2, v8
	v_add_co_u32_e32 v8, vcc, v10, v8
	v_addc_co_u32_e32 v9, vcc, 0, v9, vcc
	s_lshl_b64 s[2:3], s[14:15], 4
	v_mov_b32_e32 v10, s3
	v_subrev_co_u32_e32 v12, vcc, s2, v8
	v_subb_co_u32_e32 v13, vcc, v9, v10, vcc
	v_lshlrev_b64 v[8:9], 4, v[12:13]
	v_mov_b32_e32 v10, s25
	v_add_co_u32_e32 v8, vcc, s24, v8
	v_addc_co_u32_e32 v9, vcc, v9, v10, vcc
	v_add_co_u32_e32 v8, vcc, 32, v8
	v_lshlrev_b64 v[10:11], 8, v[0:1]
	v_addc_co_u32_e32 v9, vcc, 0, v9, vcc
	v_lshl_or_b32 v10, v20, 6, v10
	v_mov_b32_e32 v21, s7
	v_add_co_u32_e32 v10, vcc, s6, v10
	v_addc_co_u32_e32 v11, vcc, v11, v21, vcc
	v_add_co_u32_e32 v10, vcc, 48, v10
	v_addc_co_u32_e32 v11, vcc, 0, v11, vcc
	v_lshlrev_b64 v[12:13], 2, v[12:13]
	v_mov_b32_e32 v14, s27
	v_add_co_u32_e32 v12, vcc, s26, v12
	v_addc_co_u32_e32 v13, vcc, v13, v14, vcc
	v_lshlrev_b64 v[4:5], 4, v[0:1]
	v_add_co_u32_e32 v12, vcc, 8, v12
	v_or_b32_e32 v6, v4, v20
	v_mov_b32_e32 v7, v5
	v_lshl_or_b32 v4, v20, 2, v4
	v_addc_co_u32_e32 v13, vcc, 0, v13, vcc
	s_mov_b64 s[8:9], 0
	v_cndmask_b32_e64 v22, 0, 1, s[4:5]
	s_branch .LBB276_5
.LBB276_4:                              ;   in Loop: Header=BB276_5 Depth=1
	global_load_dwordx4 v[14:17], v[16:17], off
	v_add_co_u32_e32 v0, vcc, 64, v0
	v_addc_co_u32_e32 v1, vcc, 0, v1, vcc
	v_add_co_u32_e32 v2, vcc, 0x100, v2
	v_addc_co_u32_e32 v3, vcc, 0, v3, vcc
	;; [unrolled: 2-line block ×4, first 2 shown]
	v_cmp_le_i64_e64 s[2:3], s[10:11], v[0:1]
	s_or_b64 s[8:9], s[2:3], s[8:9]
	s_waitcnt vmcnt(0)
	global_store_dwordx4 v[8:9], v[14:17], off offset:16
	v_add_co_u32_e32 v8, vcc, 0x1000, v8
	v_addc_co_u32_e32 v9, vcc, 0, v9, vcc
	v_add_co_u32_e32 v10, vcc, 0x4000, v10
	v_addc_co_u32_e32 v11, vcc, 0, v11, vcc
	;; [unrolled: 2-line block ×3, first 2 shown]
	s_andn2_b64 exec, exec, s[8:9]
	s_cbranch_execz .LBB276_15
.LBB276_5:                              ; =>This Inner Loop Header: Depth=1
	v_cndmask_b32_e64 v15, v7, v5, s[0:1]
	v_cndmask_b32_e64 v14, v6, v4, s[0:1]
	v_lshlrev_b64 v[14:15], 4, v[14:15]
	global_load_dword v16, v[2:3], off
	v_add_co_u32_e32 v14, vcc, s6, v14
	v_addc_co_u32_e32 v15, vcc, v21, v15, vcc
	global_load_dwordx4 v[24:27], v[14:15], off
	v_lshlrev_b64 v[14:15], 4, v[0:1]
	v_or_b32_e32 v14, v14, v20
	v_cmp_ne_u32_e64 s[2:3], 1, v22
	s_andn2_b64 vcc, exec, s[4:5]
	v_lshlrev_b64 v[14:15], 4, v[14:15]
	s_waitcnt vmcnt(1)
	v_subrev_u32_e32 v16, s14, v16
	v_lshl_add_u32 v16, v16, 2, s12
	v_add_u32_e32 v17, 1, v16
	s_waitcnt vmcnt(0)
	global_store_dwordx4 v[8:9], v[24:27], off offset:-32
	global_store_dwordx2 v[12:13], v[16:17], off offset:-8
	s_cbranch_vccnz .LBB276_7
; %bb.6:                                ;   in Loop: Header=BB276_5 Depth=1
	v_mov_b32_e32 v17, s18
	v_add_co_u32_e32 v18, vcc, s13, v14
	v_addc_co_u32_e32 v19, vcc, v17, v15, vcc
	s_cbranch_execz .LBB276_8
	s_branch .LBB276_9
.LBB276_7:                              ;   in Loop: Header=BB276_5 Depth=1
                                        ; implicit-def: $vgpr18_vgpr19
.LBB276_8:                              ;   in Loop: Header=BB276_5 Depth=1
	v_add_co_u32_e32 v18, vcc, 0xffffffe0, v10
	v_addc_co_u32_e32 v19, vcc, -1, v11, vcc
.LBB276_9:                              ;   in Loop: Header=BB276_5 Depth=1
	global_load_dwordx4 v[24:27], v[18:19], off
	s_and_b64 vcc, exec, s[2:3]
	v_add_u32_e32 v17, 2, v16
	s_waitcnt vmcnt(0)
	global_store_dwordx4 v[8:9], v[24:27], off offset:-16
	global_store_dword v[12:13], v17, off
	s_cbranch_vccnz .LBB276_11
; %bb.10:                               ;   in Loop: Header=BB276_5 Depth=1
	v_mov_b32_e32 v17, s20
	v_add_co_u32_e32 v18, vcc, s19, v14
	v_addc_co_u32_e32 v19, vcc, v17, v15, vcc
	s_cbranch_execz .LBB276_12
	s_branch .LBB276_13
.LBB276_11:                             ;   in Loop: Header=BB276_5 Depth=1
                                        ; implicit-def: $vgpr18_vgpr19
.LBB276_12:                             ;   in Loop: Header=BB276_5 Depth=1
	v_add_co_u32_e32 v18, vcc, -16, v10
	v_addc_co_u32_e32 v19, vcc, -1, v11, vcc
.LBB276_13:                             ;   in Loop: Header=BB276_5 Depth=1
	global_load_dwordx4 v[24:27], v[18:19], off
	v_add_u32_e32 v16, 3, v16
	s_and_b64 vcc, exec, s[2:3]
	global_store_dword v[12:13], v16, off offset:4
	s_waitcnt vmcnt(1)
	global_store_dwordx4 v[8:9], v[24:27], off
	v_pk_mov_b32 v[16:17], v[10:11], v[10:11] op_sel:[0,1]
	s_cbranch_vccnz .LBB276_4
; %bb.14:                               ;   in Loop: Header=BB276_5 Depth=1
	v_mov_b32_e32 v17, s22
	v_add_co_u32_e32 v16, vcc, s21, v14
	v_addc_co_u32_e32 v17, vcc, v17, v15, vcc
	s_branch .LBB276_4
.LBB276_15:
	s_endpgm
	.section	.rodata,"a",@progbits
	.p2align	6, 0x0
	.amdhsa_kernel _ZN9rocsparseL32bsr2csr_block_per_row_2_7_kernelILj256ELj4E21rocsparse_complex_numIdEliEEv20rocsparse_direction_T3_S4_21rocsparse_index_base_PKT1_PKT2_PKS4_S4_S5_PS6_PS9_PS4_
		.amdhsa_group_segment_fixed_size 0
		.amdhsa_private_segment_fixed_size 0
		.amdhsa_kernarg_size 72
		.amdhsa_user_sgpr_count 6
		.amdhsa_user_sgpr_private_segment_buffer 1
		.amdhsa_user_sgpr_dispatch_ptr 0
		.amdhsa_user_sgpr_queue_ptr 0
		.amdhsa_user_sgpr_kernarg_segment_ptr 1
		.amdhsa_user_sgpr_dispatch_id 0
		.amdhsa_user_sgpr_flat_scratch_init 0
		.amdhsa_user_sgpr_kernarg_preload_length 0
		.amdhsa_user_sgpr_kernarg_preload_offset 0
		.amdhsa_user_sgpr_private_segment_size 0
		.amdhsa_uses_dynamic_stack 0
		.amdhsa_system_sgpr_private_segment_wavefront_offset 0
		.amdhsa_system_sgpr_workgroup_id_x 1
		.amdhsa_system_sgpr_workgroup_id_y 0
		.amdhsa_system_sgpr_workgroup_id_z 0
		.amdhsa_system_sgpr_workgroup_info 0
		.amdhsa_system_vgpr_workitem_id 0
		.amdhsa_next_free_vgpr 28
		.amdhsa_next_free_sgpr 28
		.amdhsa_accum_offset 28
		.amdhsa_reserve_vcc 1
		.amdhsa_reserve_flat_scratch 0
		.amdhsa_float_round_mode_32 0
		.amdhsa_float_round_mode_16_64 0
		.amdhsa_float_denorm_mode_32 3
		.amdhsa_float_denorm_mode_16_64 3
		.amdhsa_dx10_clamp 1
		.amdhsa_ieee_mode 1
		.amdhsa_fp16_overflow 0
		.amdhsa_tg_split 0
		.amdhsa_exception_fp_ieee_invalid_op 0
		.amdhsa_exception_fp_denorm_src 0
		.amdhsa_exception_fp_ieee_div_zero 0
		.amdhsa_exception_fp_ieee_overflow 0
		.amdhsa_exception_fp_ieee_underflow 0
		.amdhsa_exception_fp_ieee_inexact 0
		.amdhsa_exception_int_div_zero 0
	.end_amdhsa_kernel
	.section	.text._ZN9rocsparseL32bsr2csr_block_per_row_2_7_kernelILj256ELj4E21rocsparse_complex_numIdEliEEv20rocsparse_direction_T3_S4_21rocsparse_index_base_PKT1_PKT2_PKS4_S4_S5_PS6_PS9_PS4_,"axG",@progbits,_ZN9rocsparseL32bsr2csr_block_per_row_2_7_kernelILj256ELj4E21rocsparse_complex_numIdEliEEv20rocsparse_direction_T3_S4_21rocsparse_index_base_PKT1_PKT2_PKS4_S4_S5_PS6_PS9_PS4_,comdat
.Lfunc_end276:
	.size	_ZN9rocsparseL32bsr2csr_block_per_row_2_7_kernelILj256ELj4E21rocsparse_complex_numIdEliEEv20rocsparse_direction_T3_S4_21rocsparse_index_base_PKT1_PKT2_PKS4_S4_S5_PS6_PS9_PS4_, .Lfunc_end276-_ZN9rocsparseL32bsr2csr_block_per_row_2_7_kernelILj256ELj4E21rocsparse_complex_numIdEliEEv20rocsparse_direction_T3_S4_21rocsparse_index_base_PKT1_PKT2_PKS4_S4_S5_PS6_PS9_PS4_
                                        ; -- End function
	.section	.AMDGPU.csdata,"",@progbits
; Kernel info:
; codeLenInByte = 988
; NumSgprs: 32
; NumVgprs: 28
; NumAgprs: 0
; TotalNumVgprs: 28
; ScratchSize: 0
; MemoryBound: 0
; FloatMode: 240
; IeeeMode: 1
; LDSByteSize: 0 bytes/workgroup (compile time only)
; SGPRBlocks: 3
; VGPRBlocks: 3
; NumSGPRsForWavesPerEU: 32
; NumVGPRsForWavesPerEU: 28
; AccumOffset: 28
; Occupancy: 8
; WaveLimiterHint : 0
; COMPUTE_PGM_RSRC2:SCRATCH_EN: 0
; COMPUTE_PGM_RSRC2:USER_SGPR: 6
; COMPUTE_PGM_RSRC2:TRAP_HANDLER: 0
; COMPUTE_PGM_RSRC2:TGID_X_EN: 1
; COMPUTE_PGM_RSRC2:TGID_Y_EN: 0
; COMPUTE_PGM_RSRC2:TGID_Z_EN: 0
; COMPUTE_PGM_RSRC2:TIDIG_COMP_CNT: 0
; COMPUTE_PGM_RSRC3_GFX90A:ACCUM_OFFSET: 6
; COMPUTE_PGM_RSRC3_GFX90A:TG_SPLIT: 0
	.section	.text._ZN9rocsparseL32bsr2csr_block_per_row_2_7_kernelILj256ELj5E21rocsparse_complex_numIdEliEEv20rocsparse_direction_T3_S4_21rocsparse_index_base_PKT1_PKT2_PKS4_S4_S5_PS6_PS9_PS4_,"axG",@progbits,_ZN9rocsparseL32bsr2csr_block_per_row_2_7_kernelILj256ELj5E21rocsparse_complex_numIdEliEEv20rocsparse_direction_T3_S4_21rocsparse_index_base_PKT1_PKT2_PKS4_S4_S5_PS6_PS9_PS4_,comdat
	.globl	_ZN9rocsparseL32bsr2csr_block_per_row_2_7_kernelILj256ELj5E21rocsparse_complex_numIdEliEEv20rocsparse_direction_T3_S4_21rocsparse_index_base_PKT1_PKT2_PKS4_S4_S5_PS6_PS9_PS4_ ; -- Begin function _ZN9rocsparseL32bsr2csr_block_per_row_2_7_kernelILj256ELj5E21rocsparse_complex_numIdEliEEv20rocsparse_direction_T3_S4_21rocsparse_index_base_PKT1_PKT2_PKS4_S4_S5_PS6_PS9_PS4_
	.p2align	8
	.type	_ZN9rocsparseL32bsr2csr_block_per_row_2_7_kernelILj256ELj5E21rocsparse_complex_numIdEliEEv20rocsparse_direction_T3_S4_21rocsparse_index_base_PKT1_PKT2_PKS4_S4_S5_PS6_PS9_PS4_,@function
_ZN9rocsparseL32bsr2csr_block_per_row_2_7_kernelILj256ELj5E21rocsparse_complex_numIdEliEEv20rocsparse_direction_T3_S4_21rocsparse_index_base_PKT1_PKT2_PKS4_S4_S5_PS6_PS9_PS4_: ; @_ZN9rocsparseL32bsr2csr_block_per_row_2_7_kernelILj256ELj5E21rocsparse_complex_numIdEliEEv20rocsparse_direction_T3_S4_21rocsparse_index_base_PKT1_PKT2_PKS4_S4_S5_PS6_PS9_PS4_
; %bb.0:
	s_load_dwordx2 s[2:3], s[4:5], 0x18
	s_load_dword s12, s[4:5], 0x2c
	s_load_dwordx2 s[0:1], s[4:5], 0x38
	s_ashr_i32 s7, s6, 31
	s_lshl_b64 s[8:9], s[6:7], 3
	s_waitcnt lgkmcnt(0)
	s_add_u32 s2, s2, s8
	v_or_b32_e32 v1, s6, v0
	s_addc_u32 s3, s3, s9
	v_cmp_eq_u32_e32 vcc, 0, v1
	s_and_saveexec_b64 s[8:9], vcc
	s_cbranch_execz .LBB277_2
; %bb.1:
	v_mov_b32_e32 v2, s12
	v_mov_b32_e32 v3, 0
	global_store_dwordx2 v3, v[2:3], s[0:1]
.LBB277_2:
	s_or_b64 exec, exec, s[8:9]
	v_and_b32_e32 v4, 7, v0
	v_cmp_gt_u32_e32 vcc, 5, v4
	s_and_saveexec_b64 s[8:9], vcc
	s_cbranch_execz .LBB277_6
; %bb.3:
	s_load_dwordx4 s[8:11], s[2:3], 0x0
	s_load_dword s7, s[4:5], 0xc
	s_mul_i32 s6, s6, 5
	v_lshrrev_b32_e32 v8, 3, v0
	v_mov_b32_e32 v1, 0
	v_add3_u32 v0, v4, s6, 1
	s_waitcnt lgkmcnt(0)
	s_sub_u32 s3, s8, s7
	s_subb_u32 s13, s9, 0
	s_mul_hi_u32 s2, s3, 25
	s_sub_u32 s10, s10, s7
	s_mul_i32 s14, s13, 25
	s_subb_u32 s11, s11, 0
	s_add_i32 s15, s2, s14
	s_sub_u32 s2, s10, s3
	s_subb_u32 s16, s11, s13
	s_mul_i32 s16, s16, 5
	s_mul_hi_u32 s17, s2, 5
	s_add_i32 s17, s17, s16
	s_mul_i32 s2, s2, 5
	s_add_u32 s16, s2, s12
	s_mul_i32 s14, s3, 25
	v_mul_lo_u32 v2, s17, v4
	s_addc_u32 s17, s17, 0
	s_add_u32 s14, s16, s14
	s_addc_u32 s15, s17, s15
	v_pk_mov_b32 v[6:7], s[14:15], s[14:15] op_sel:[0,1]
	v_lshlrev_b64 v[0:1], 3, v[0:1]
	v_mad_u64_u32 v[6:7], s[14:15], s2, v4, v[6:7]
	v_mov_b32_e32 v3, s1
	v_add_co_u32_e32 v0, vcc, s0, v0
	v_add_u32_e32 v7, v2, v7
	v_addc_co_u32_e32 v1, vcc, v3, v1, vcc
	global_store_dwordx2 v[0:1], v[6:7], off
	v_mov_b32_e32 v1, s13
	v_add_co_u32_e32 v0, vcc, s3, v8
	v_addc_co_u32_e32 v1, vcc, 0, v1, vcc
	v_cmp_gt_i64_e32 vcc, s[10:11], v[0:1]
	s_and_b64 exec, exec, vcc
	s_cbranch_execz .LBB277_6
; %bb.4:
	s_load_dwordx2 s[14:15], s[4:5], 0x20
	s_load_dwordx2 s[16:17], s[4:5], 0x30
	;; [unrolled: 1-line block ×3, first 2 shown]
	s_load_dword s3, s[4:5], 0x0
	s_load_dwordx2 s[20:21], s[4:5], 0x40
	s_movk_i32 s4, 0x190
	v_mad_u64_u32 v[10:11], s[0:1], s2, v4, 0
	s_waitcnt lgkmcnt(0)
	v_pk_mov_b32 v[6:7], s[18:19], s[18:19] op_sel:[0,1]
	s_cmp_eq_u32 s3, 0
	v_mad_u64_u32 v[6:7], s[2:3], v0, s4, v[6:7]
	v_add_u32_e32 v11, v11, v2
	v_lshlrev_b64 v[2:3], 2, v[0:1]
	v_mov_b32_e32 v12, v7
	v_mov_b32_e32 v5, s15
	v_add_co_u32_e32 v2, vcc, s14, v2
	v_mad_u64_u32 v[12:13], s[2:3], v1, s4, v[12:13]
	v_mad_u64_u32 v[10:11], s[2:3], s8, 25, v[10:11]
	v_addc_co_u32_e32 v3, vcc, v5, v3, vcc
	v_mov_b32_e32 v5, v12
	v_mov_b32_e32 v12, v11
	v_mad_u64_u32 v[12:13], s[2:3], s9, 25, v[12:13]
	v_mov_b32_e32 v11, v12
	v_mad_u64_u32 v[8:9], s[2:3], v8, 5, v[10:11]
	s_mul_hi_u32 s2, s7, 25
	s_mul_i32 s3, s7, 25
	v_mov_b32_e32 v7, s2
	v_subrev_co_u32_e32 v10, vcc, s3, v8
	v_subb_co_u32_e32 v11, vcc, v9, v7, vcc
	v_lshlrev_b64 v[8:9], 4, v[10:11]
	v_mov_b32_e32 v7, s17
	v_add_co_u32_e32 v8, vcc, s16, v8
	v_addc_co_u32_e32 v7, vcc, v9, v7, vcc
	v_add_co_u32_e32 v8, vcc, 32, v8
	v_addc_co_u32_e32 v9, vcc, 0, v7, vcc
	v_lshlrev_b64 v[10:11], 2, v[10:11]
	v_mov_b32_e32 v7, s21
	v_add_co_u32_e32 v10, vcc, s20, v10
	v_addc_co_u32_e32 v7, vcc, v11, v7, vcc
	v_mul_u32_u24_e32 v14, 5, v4
	v_add_co_u32_e32 v10, vcc, 12, v10
	s_cselect_b64 s[0:1], -1, 0
	v_lshlrev_b32_e32 v4, 4, v4
	v_addc_co_u32_e32 v11, vcc, 0, v7, vcc
	v_lshlrev_b32_e32 v12, 4, v14
	s_mov_b64 s[4:5], 0
	v_mov_b32_e32 v14, s12
	s_movk_i32 s6, 0x50
	s_movk_i32 s8, 0xa0
	s_movk_i32 s9, 0xf0
	s_movk_i32 s12, 0x140
	s_movk_i32 s13, 0x80
	s_movk_i32 s14, 0x3200
.LBB277_5:                              ; =>This Inner Loop Header: Depth=1
	v_add_co_u32_e32 v13, vcc, v6, v4
	v_addc_co_u32_e32 v15, vcc, 0, v5, vcc
	v_add_co_u32_e32 v18, vcc, v6, v12
	v_addc_co_u32_e32 v19, vcc, 0, v5, vcc
	;; [unrolled: 2-line block ×9, first 2 shown]
	global_load_dword v7, v[2:3], off
	v_cndmask_b32_e64 v16, v13, v18, s[0:1]
	v_add_co_u32_e32 v13, vcc, s12, v13
	v_cndmask_b32_e64 v17, v15, v19, s[0:1]
	v_addc_co_u32_e32 v15, vcc, 0, v15, vcc
	v_cndmask_b32_e64 v37, v23, v21, s[0:1]
	v_cndmask_b32_e64 v36, v22, v20, s[0:1]
	global_load_dwordx4 v[16:19], v[16:17], off
	v_cndmask_b32_e64 v39, v27, v25, s[0:1]
	v_cndmask_b32_e64 v38, v26, v24, s[0:1]
	;; [unrolled: 1-line block ×6, first 2 shown]
	global_load_dwordx4 v[20:23], v[36:37], off
	global_load_dwordx4 v[24:27], v[38:39], off
	;; [unrolled: 1-line block ×4, first 2 shown]
	v_add_co_u32_e32 v0, vcc, 32, v0
	v_addc_co_u32_e32 v1, vcc, 0, v1, vcc
	v_add_co_u32_e32 v2, vcc, s13, v2
	v_addc_co_u32_e32 v3, vcc, 0, v3, vcc
	v_add_co_u32_e32 v6, vcc, s14, v6
	v_cmp_le_i64_e64 s[2:3], s[10:11], v[0:1]
	v_addc_co_u32_e32 v5, vcc, 0, v5, vcc
	s_or_b64 s[4:5], s[2:3], s[4:5]
	s_waitcnt vmcnt(5)
	v_subrev_u32_e32 v7, s7, v7
	v_mad_u64_u32 v[36:37], s[2:3], v7, 5, v[14:15]
	v_add_u32_e32 v38, 2, v36
	v_add_u32_e32 v37, 1, v36
	s_waitcnt vmcnt(4)
	global_store_dwordx4 v[8:9], v[16:19], off offset:-32
	s_nop 0
	v_add_u32_e32 v17, 4, v36
	v_add_u32_e32 v16, 3, v36
	s_waitcnt vmcnt(4)
	global_store_dwordx4 v[8:9], v[20:23], off offset:-16
	global_store_dwordx3 v[10:11], v[36:38], off offset:-12
	s_waitcnt vmcnt(5)
	global_store_dwordx4 v[8:9], v[24:27], off
	s_waitcnt vmcnt(5)
	global_store_dwordx4 v[8:9], v[28:31], off offset:16
	global_store_dwordx2 v[10:11], v[16:17], off
	s_waitcnt vmcnt(6)
	global_store_dwordx4 v[8:9], v[32:35], off offset:32
	v_add_co_u32_e32 v8, vcc, 0xa00, v8
	v_addc_co_u32_e32 v9, vcc, 0, v9, vcc
	v_add_co_u32_e32 v10, vcc, 0x280, v10
	v_addc_co_u32_e32 v11, vcc, 0, v11, vcc
	s_andn2_b64 exec, exec, s[4:5]
	s_cbranch_execnz .LBB277_5
.LBB277_6:
	s_endpgm
	.section	.rodata,"a",@progbits
	.p2align	6, 0x0
	.amdhsa_kernel _ZN9rocsparseL32bsr2csr_block_per_row_2_7_kernelILj256ELj5E21rocsparse_complex_numIdEliEEv20rocsparse_direction_T3_S4_21rocsparse_index_base_PKT1_PKT2_PKS4_S4_S5_PS6_PS9_PS4_
		.amdhsa_group_segment_fixed_size 0
		.amdhsa_private_segment_fixed_size 0
		.amdhsa_kernarg_size 72
		.amdhsa_user_sgpr_count 6
		.amdhsa_user_sgpr_private_segment_buffer 1
		.amdhsa_user_sgpr_dispatch_ptr 0
		.amdhsa_user_sgpr_queue_ptr 0
		.amdhsa_user_sgpr_kernarg_segment_ptr 1
		.amdhsa_user_sgpr_dispatch_id 0
		.amdhsa_user_sgpr_flat_scratch_init 0
		.amdhsa_user_sgpr_kernarg_preload_length 0
		.amdhsa_user_sgpr_kernarg_preload_offset 0
		.amdhsa_user_sgpr_private_segment_size 0
		.amdhsa_uses_dynamic_stack 0
		.amdhsa_system_sgpr_private_segment_wavefront_offset 0
		.amdhsa_system_sgpr_workgroup_id_x 1
		.amdhsa_system_sgpr_workgroup_id_y 0
		.amdhsa_system_sgpr_workgroup_id_z 0
		.amdhsa_system_sgpr_workgroup_info 0
		.amdhsa_system_vgpr_workitem_id 0
		.amdhsa_next_free_vgpr 44
		.amdhsa_next_free_sgpr 22
		.amdhsa_accum_offset 44
		.amdhsa_reserve_vcc 1
		.amdhsa_reserve_flat_scratch 0
		.amdhsa_float_round_mode_32 0
		.amdhsa_float_round_mode_16_64 0
		.amdhsa_float_denorm_mode_32 3
		.amdhsa_float_denorm_mode_16_64 3
		.amdhsa_dx10_clamp 1
		.amdhsa_ieee_mode 1
		.amdhsa_fp16_overflow 0
		.amdhsa_tg_split 0
		.amdhsa_exception_fp_ieee_invalid_op 0
		.amdhsa_exception_fp_denorm_src 0
		.amdhsa_exception_fp_ieee_div_zero 0
		.amdhsa_exception_fp_ieee_overflow 0
		.amdhsa_exception_fp_ieee_underflow 0
		.amdhsa_exception_fp_ieee_inexact 0
		.amdhsa_exception_int_div_zero 0
	.end_amdhsa_kernel
	.section	.text._ZN9rocsparseL32bsr2csr_block_per_row_2_7_kernelILj256ELj5E21rocsparse_complex_numIdEliEEv20rocsparse_direction_T3_S4_21rocsparse_index_base_PKT1_PKT2_PKS4_S4_S5_PS6_PS9_PS4_,"axG",@progbits,_ZN9rocsparseL32bsr2csr_block_per_row_2_7_kernelILj256ELj5E21rocsparse_complex_numIdEliEEv20rocsparse_direction_T3_S4_21rocsparse_index_base_PKT1_PKT2_PKS4_S4_S5_PS6_PS9_PS4_,comdat
.Lfunc_end277:
	.size	_ZN9rocsparseL32bsr2csr_block_per_row_2_7_kernelILj256ELj5E21rocsparse_complex_numIdEliEEv20rocsparse_direction_T3_S4_21rocsparse_index_base_PKT1_PKT2_PKS4_S4_S5_PS6_PS9_PS4_, .Lfunc_end277-_ZN9rocsparseL32bsr2csr_block_per_row_2_7_kernelILj256ELj5E21rocsparse_complex_numIdEliEEv20rocsparse_direction_T3_S4_21rocsparse_index_base_PKT1_PKT2_PKS4_S4_S5_PS6_PS9_PS4_
                                        ; -- End function
	.section	.AMDGPU.csdata,"",@progbits
; Kernel info:
; codeLenInByte = 952
; NumSgprs: 26
; NumVgprs: 44
; NumAgprs: 0
; TotalNumVgprs: 44
; ScratchSize: 0
; MemoryBound: 0
; FloatMode: 240
; IeeeMode: 1
; LDSByteSize: 0 bytes/workgroup (compile time only)
; SGPRBlocks: 3
; VGPRBlocks: 5
; NumSGPRsForWavesPerEU: 26
; NumVGPRsForWavesPerEU: 44
; AccumOffset: 44
; Occupancy: 8
; WaveLimiterHint : 0
; COMPUTE_PGM_RSRC2:SCRATCH_EN: 0
; COMPUTE_PGM_RSRC2:USER_SGPR: 6
; COMPUTE_PGM_RSRC2:TRAP_HANDLER: 0
; COMPUTE_PGM_RSRC2:TGID_X_EN: 1
; COMPUTE_PGM_RSRC2:TGID_Y_EN: 0
; COMPUTE_PGM_RSRC2:TGID_Z_EN: 0
; COMPUTE_PGM_RSRC2:TIDIG_COMP_CNT: 0
; COMPUTE_PGM_RSRC3_GFX90A:ACCUM_OFFSET: 10
; COMPUTE_PGM_RSRC3_GFX90A:TG_SPLIT: 0
	.section	.text._ZN9rocsparseL32bsr2csr_block_per_row_2_7_kernelILj256ELj6E21rocsparse_complex_numIdEliEEv20rocsparse_direction_T3_S4_21rocsparse_index_base_PKT1_PKT2_PKS4_S4_S5_PS6_PS9_PS4_,"axG",@progbits,_ZN9rocsparseL32bsr2csr_block_per_row_2_7_kernelILj256ELj6E21rocsparse_complex_numIdEliEEv20rocsparse_direction_T3_S4_21rocsparse_index_base_PKT1_PKT2_PKS4_S4_S5_PS6_PS9_PS4_,comdat
	.globl	_ZN9rocsparseL32bsr2csr_block_per_row_2_7_kernelILj256ELj6E21rocsparse_complex_numIdEliEEv20rocsparse_direction_T3_S4_21rocsparse_index_base_PKT1_PKT2_PKS4_S4_S5_PS6_PS9_PS4_ ; -- Begin function _ZN9rocsparseL32bsr2csr_block_per_row_2_7_kernelILj256ELj6E21rocsparse_complex_numIdEliEEv20rocsparse_direction_T3_S4_21rocsparse_index_base_PKT1_PKT2_PKS4_S4_S5_PS6_PS9_PS4_
	.p2align	8
	.type	_ZN9rocsparseL32bsr2csr_block_per_row_2_7_kernelILj256ELj6E21rocsparse_complex_numIdEliEEv20rocsparse_direction_T3_S4_21rocsparse_index_base_PKT1_PKT2_PKS4_S4_S5_PS6_PS9_PS4_,@function
_ZN9rocsparseL32bsr2csr_block_per_row_2_7_kernelILj256ELj6E21rocsparse_complex_numIdEliEEv20rocsparse_direction_T3_S4_21rocsparse_index_base_PKT1_PKT2_PKS4_S4_S5_PS6_PS9_PS4_: ; @_ZN9rocsparseL32bsr2csr_block_per_row_2_7_kernelILj256ELj6E21rocsparse_complex_numIdEliEEv20rocsparse_direction_T3_S4_21rocsparse_index_base_PKT1_PKT2_PKS4_S4_S5_PS6_PS9_PS4_
; %bb.0:
	s_load_dwordx2 s[2:3], s[4:5], 0x18
	s_load_dword s12, s[4:5], 0x2c
	s_load_dwordx2 s[0:1], s[4:5], 0x38
	s_ashr_i32 s7, s6, 31
	s_lshl_b64 s[8:9], s[6:7], 3
	s_waitcnt lgkmcnt(0)
	s_add_u32 s2, s2, s8
	v_or_b32_e32 v1, s6, v0
	s_addc_u32 s3, s3, s9
	v_cmp_eq_u32_e32 vcc, 0, v1
	s_and_saveexec_b64 s[8:9], vcc
	s_cbranch_execz .LBB278_2
; %bb.1:
	v_mov_b32_e32 v2, s12
	v_mov_b32_e32 v3, 0
	global_store_dwordx2 v3, v[2:3], s[0:1]
.LBB278_2:
	s_or_b64 exec, exec, s[8:9]
	v_and_b32_e32 v4, 7, v0
	v_cmp_gt_u32_e32 vcc, 6, v4
	s_and_saveexec_b64 s[8:9], vcc
	s_cbranch_execz .LBB278_6
; %bb.3:
	s_load_dwordx4 s[8:11], s[2:3], 0x0
	s_load_dword s7, s[4:5], 0xc
	s_mul_i32 s6, s6, 6
	v_lshrrev_b32_e32 v8, 3, v0
	v_mov_b32_e32 v1, 0
	v_add3_u32 v0, v4, s6, 1
	s_waitcnt lgkmcnt(0)
	s_sub_u32 s3, s8, s7
	s_subb_u32 s13, s9, 0
	s_mul_hi_u32 s2, s3, 36
	s_sub_u32 s10, s10, s7
	s_mul_i32 s14, s13, 36
	s_subb_u32 s11, s11, 0
	s_add_i32 s15, s2, s14
	s_sub_u32 s2, s10, s3
	s_subb_u32 s16, s11, s13
	s_mul_i32 s16, s16, 6
	s_mul_hi_u32 s17, s2, 6
	s_add_i32 s17, s17, s16
	s_mul_i32 s2, s2, 6
	s_add_u32 s16, s2, s12
	s_mul_i32 s14, s3, 36
	v_mul_lo_u32 v2, s17, v4
	s_addc_u32 s17, s17, 0
	s_add_u32 s14, s16, s14
	s_addc_u32 s15, s17, s15
	v_pk_mov_b32 v[6:7], s[14:15], s[14:15] op_sel:[0,1]
	v_lshlrev_b64 v[0:1], 3, v[0:1]
	v_mad_u64_u32 v[6:7], s[14:15], s2, v4, v[6:7]
	v_mov_b32_e32 v3, s1
	v_add_co_u32_e32 v0, vcc, s0, v0
	v_add_u32_e32 v7, v2, v7
	v_addc_co_u32_e32 v1, vcc, v3, v1, vcc
	global_store_dwordx2 v[0:1], v[6:7], off
	v_mov_b32_e32 v1, s13
	v_add_co_u32_e32 v0, vcc, s3, v8
	v_addc_co_u32_e32 v1, vcc, 0, v1, vcc
	v_cmp_gt_i64_e32 vcc, s[10:11], v[0:1]
	s_and_b64 exec, exec, vcc
	s_cbranch_execz .LBB278_6
; %bb.4:
	s_load_dwordx2 s[14:15], s[4:5], 0x20
	s_load_dwordx2 s[16:17], s[4:5], 0x30
	;; [unrolled: 1-line block ×3, first 2 shown]
	s_load_dword s3, s[4:5], 0x0
	s_load_dwordx2 s[20:21], s[4:5], 0x40
	s_movk_i32 s4, 0x240
	v_mad_u64_u32 v[10:11], s[0:1], s2, v4, 0
	s_waitcnt lgkmcnt(0)
	v_pk_mov_b32 v[6:7], s[18:19], s[18:19] op_sel:[0,1]
	s_cmp_eq_u32 s3, 0
	v_mad_u64_u32 v[6:7], s[2:3], v0, s4, v[6:7]
	v_add_u32_e32 v11, v11, v2
	v_lshlrev_b64 v[2:3], 2, v[0:1]
	v_mov_b32_e32 v12, v7
	v_mov_b32_e32 v5, s15
	v_add_co_u32_e32 v2, vcc, s14, v2
	v_mad_u64_u32 v[12:13], s[2:3], v1, s4, v[12:13]
	v_mad_u64_u32 v[10:11], s[2:3], s8, 36, v[10:11]
	v_addc_co_u32_e32 v3, vcc, v5, v3, vcc
	v_mov_b32_e32 v5, v12
	v_mov_b32_e32 v12, v11
	v_mad_u64_u32 v[12:13], s[2:3], s9, 36, v[12:13]
	v_mov_b32_e32 v11, v12
	v_mad_u64_u32 v[8:9], s[2:3], v8, 6, v[10:11]
	s_mul_hi_u32 s2, s7, 36
	s_mul_i32 s3, s7, 36
	v_mov_b32_e32 v7, s2
	v_subrev_co_u32_e32 v10, vcc, s3, v8
	v_subb_co_u32_e32 v11, vcc, v9, v7, vcc
	v_lshlrev_b64 v[8:9], 4, v[10:11]
	v_mov_b32_e32 v7, s17
	v_add_co_u32_e32 v8, vcc, s16, v8
	v_addc_co_u32_e32 v7, vcc, v9, v7, vcc
	v_add_co_u32_e32 v8, vcc, 48, v8
	v_addc_co_u32_e32 v9, vcc, 0, v7, vcc
	v_lshlrev_b64 v[10:11], 2, v[10:11]
	v_mov_b32_e32 v7, s21
	v_add_co_u32_e32 v10, vcc, s20, v10
	v_addc_co_u32_e32 v7, vcc, v11, v7, vcc
	v_mul_u32_u24_e32 v14, 6, v4
	v_add_co_u32_e32 v10, vcc, 12, v10
	s_cselect_b64 s[0:1], -1, 0
	v_lshlrev_b32_e32 v4, 4, v4
	v_addc_co_u32_e32 v11, vcc, 0, v7, vcc
	v_lshlrev_b32_e32 v12, 4, v14
	s_mov_b64 s[4:5], 0
	v_mov_b32_e32 v14, s12
	s_movk_i32 s6, 0x60
	s_movk_i32 s8, 0xc0
	;; [unrolled: 1-line block ×8, first 2 shown]
.LBB278_5:                              ; =>This Inner Loop Header: Depth=1
	v_add_co_u32_e32 v13, vcc, v6, v4
	v_addc_co_u32_e32 v15, vcc, 0, v5, vcc
	v_add_co_u32_e32 v18, vcc, v6, v12
	v_addc_co_u32_e32 v19, vcc, 0, v5, vcc
	;; [unrolled: 2-line block ×11, first 2 shown]
	global_load_dword v7, v[2:3], off
	v_cndmask_b32_e64 v16, v13, v18, s[0:1]
	v_add_co_u32_e32 v13, vcc, s14, v13
	v_cndmask_b32_e64 v17, v15, v19, s[0:1]
	v_addc_co_u32_e32 v15, vcc, 0, v15, vcc
	v_cndmask_b32_e64 v41, v23, v21, s[0:1]
	v_cndmask_b32_e64 v40, v22, v20, s[0:1]
	global_load_dwordx4 v[16:19], v[16:17], off
	v_cndmask_b32_e64 v43, v27, v25, s[0:1]
	v_cndmask_b32_e64 v42, v26, v24, s[0:1]
	;; [unrolled: 1-line block ×8, first 2 shown]
	global_load_dwordx4 v[20:23], v[40:41], off
	global_load_dwordx4 v[24:27], v[42:43], off
	;; [unrolled: 1-line block ×5, first 2 shown]
	v_add_co_u32_e32 v0, vcc, 32, v0
	v_addc_co_u32_e32 v1, vcc, 0, v1, vcc
	v_add_co_u32_e32 v2, vcc, s15, v2
	v_addc_co_u32_e32 v3, vcc, 0, v3, vcc
	v_add_co_u32_e32 v6, vcc, s16, v6
	v_cmp_le_i64_e64 s[2:3], s[10:11], v[0:1]
	v_addc_co_u32_e32 v5, vcc, 0, v5, vcc
	s_or_b64 s[4:5], s[2:3], s[4:5]
	s_waitcnt vmcnt(6)
	v_subrev_u32_e32 v7, s7, v7
	v_mad_u64_u32 v[40:41], s[2:3], v7, 6, v[14:15]
	v_add_u32_e32 v42, 2, v40
	v_add_u32_e32 v41, 1, v40
	s_waitcnt vmcnt(5)
	global_store_dwordx4 v[8:9], v[16:19], off offset:-48
	s_nop 0
	v_add_u32_e32 v17, 4, v40
	v_add_u32_e32 v16, 3, v40
	;; [unrolled: 1-line block ×3, first 2 shown]
	s_waitcnt vmcnt(5)
	global_store_dwordx4 v[8:9], v[20:23], off offset:-32
	global_store_dwordx3 v[10:11], v[40:42], off offset:-12
	s_waitcnt vmcnt(6)
	global_store_dwordx4 v[8:9], v[24:27], off offset:-16
	s_waitcnt vmcnt(6)
	global_store_dwordx4 v[8:9], v[28:31], off
	s_waitcnt vmcnt(6)
	global_store_dwordx4 v[8:9], v[32:35], off offset:16
	global_store_dwordx3 v[10:11], v[16:18], off
	s_waitcnt vmcnt(7)
	global_store_dwordx4 v[8:9], v[36:39], off offset:32
	v_add_co_u32_e32 v8, vcc, 0xc00, v8
	v_addc_co_u32_e32 v9, vcc, 0, v9, vcc
	v_add_co_u32_e32 v10, vcc, 0x300, v10
	v_addc_co_u32_e32 v11, vcc, 0, v11, vcc
	s_andn2_b64 exec, exec, s[4:5]
	s_cbranch_execnz .LBB278_5
.LBB278_6:
	s_endpgm
	.section	.rodata,"a",@progbits
	.p2align	6, 0x0
	.amdhsa_kernel _ZN9rocsparseL32bsr2csr_block_per_row_2_7_kernelILj256ELj6E21rocsparse_complex_numIdEliEEv20rocsparse_direction_T3_S4_21rocsparse_index_base_PKT1_PKT2_PKS4_S4_S5_PS6_PS9_PS4_
		.amdhsa_group_segment_fixed_size 0
		.amdhsa_private_segment_fixed_size 0
		.amdhsa_kernarg_size 72
		.amdhsa_user_sgpr_count 6
		.amdhsa_user_sgpr_private_segment_buffer 1
		.amdhsa_user_sgpr_dispatch_ptr 0
		.amdhsa_user_sgpr_queue_ptr 0
		.amdhsa_user_sgpr_kernarg_segment_ptr 1
		.amdhsa_user_sgpr_dispatch_id 0
		.amdhsa_user_sgpr_flat_scratch_init 0
		.amdhsa_user_sgpr_kernarg_preload_length 0
		.amdhsa_user_sgpr_kernarg_preload_offset 0
		.amdhsa_user_sgpr_private_segment_size 0
		.amdhsa_uses_dynamic_stack 0
		.amdhsa_system_sgpr_private_segment_wavefront_offset 0
		.amdhsa_system_sgpr_workgroup_id_x 1
		.amdhsa_system_sgpr_workgroup_id_y 0
		.amdhsa_system_sgpr_workgroup_id_z 0
		.amdhsa_system_sgpr_workgroup_info 0
		.amdhsa_system_vgpr_workitem_id 0
		.amdhsa_next_free_vgpr 50
		.amdhsa_next_free_sgpr 22
		.amdhsa_accum_offset 52
		.amdhsa_reserve_vcc 1
		.amdhsa_reserve_flat_scratch 0
		.amdhsa_float_round_mode_32 0
		.amdhsa_float_round_mode_16_64 0
		.amdhsa_float_denorm_mode_32 3
		.amdhsa_float_denorm_mode_16_64 3
		.amdhsa_dx10_clamp 1
		.amdhsa_ieee_mode 1
		.amdhsa_fp16_overflow 0
		.amdhsa_tg_split 0
		.amdhsa_exception_fp_ieee_invalid_op 0
		.amdhsa_exception_fp_denorm_src 0
		.amdhsa_exception_fp_ieee_div_zero 0
		.amdhsa_exception_fp_ieee_overflow 0
		.amdhsa_exception_fp_ieee_underflow 0
		.amdhsa_exception_fp_ieee_inexact 0
		.amdhsa_exception_int_div_zero 0
	.end_amdhsa_kernel
	.section	.text._ZN9rocsparseL32bsr2csr_block_per_row_2_7_kernelILj256ELj6E21rocsparse_complex_numIdEliEEv20rocsparse_direction_T3_S4_21rocsparse_index_base_PKT1_PKT2_PKS4_S4_S5_PS6_PS9_PS4_,"axG",@progbits,_ZN9rocsparseL32bsr2csr_block_per_row_2_7_kernelILj256ELj6E21rocsparse_complex_numIdEliEEv20rocsparse_direction_T3_S4_21rocsparse_index_base_PKT1_PKT2_PKS4_S4_S5_PS6_PS9_PS4_,comdat
.Lfunc_end278:
	.size	_ZN9rocsparseL32bsr2csr_block_per_row_2_7_kernelILj256ELj6E21rocsparse_complex_numIdEliEEv20rocsparse_direction_T3_S4_21rocsparse_index_base_PKT1_PKT2_PKS4_S4_S5_PS6_PS9_PS4_, .Lfunc_end278-_ZN9rocsparseL32bsr2csr_block_per_row_2_7_kernelILj256ELj6E21rocsparse_complex_numIdEliEEv20rocsparse_direction_T3_S4_21rocsparse_index_base_PKT1_PKT2_PKS4_S4_S5_PS6_PS9_PS4_
                                        ; -- End function
	.section	.AMDGPU.csdata,"",@progbits
; Kernel info:
; codeLenInByte = 1016
; NumSgprs: 26
; NumVgprs: 50
; NumAgprs: 0
; TotalNumVgprs: 50
; ScratchSize: 0
; MemoryBound: 0
; FloatMode: 240
; IeeeMode: 1
; LDSByteSize: 0 bytes/workgroup (compile time only)
; SGPRBlocks: 3
; VGPRBlocks: 6
; NumSGPRsForWavesPerEU: 26
; NumVGPRsForWavesPerEU: 50
; AccumOffset: 52
; Occupancy: 8
; WaveLimiterHint : 0
; COMPUTE_PGM_RSRC2:SCRATCH_EN: 0
; COMPUTE_PGM_RSRC2:USER_SGPR: 6
; COMPUTE_PGM_RSRC2:TRAP_HANDLER: 0
; COMPUTE_PGM_RSRC2:TGID_X_EN: 1
; COMPUTE_PGM_RSRC2:TGID_Y_EN: 0
; COMPUTE_PGM_RSRC2:TGID_Z_EN: 0
; COMPUTE_PGM_RSRC2:TIDIG_COMP_CNT: 0
; COMPUTE_PGM_RSRC3_GFX90A:ACCUM_OFFSET: 12
; COMPUTE_PGM_RSRC3_GFX90A:TG_SPLIT: 0
	.section	.text._ZN9rocsparseL32bsr2csr_block_per_row_2_7_kernelILj256ELj7E21rocsparse_complex_numIdEliEEv20rocsparse_direction_T3_S4_21rocsparse_index_base_PKT1_PKT2_PKS4_S4_S5_PS6_PS9_PS4_,"axG",@progbits,_ZN9rocsparseL32bsr2csr_block_per_row_2_7_kernelILj256ELj7E21rocsparse_complex_numIdEliEEv20rocsparse_direction_T3_S4_21rocsparse_index_base_PKT1_PKT2_PKS4_S4_S5_PS6_PS9_PS4_,comdat
	.globl	_ZN9rocsparseL32bsr2csr_block_per_row_2_7_kernelILj256ELj7E21rocsparse_complex_numIdEliEEv20rocsparse_direction_T3_S4_21rocsparse_index_base_PKT1_PKT2_PKS4_S4_S5_PS6_PS9_PS4_ ; -- Begin function _ZN9rocsparseL32bsr2csr_block_per_row_2_7_kernelILj256ELj7E21rocsparse_complex_numIdEliEEv20rocsparse_direction_T3_S4_21rocsparse_index_base_PKT1_PKT2_PKS4_S4_S5_PS6_PS9_PS4_
	.p2align	8
	.type	_ZN9rocsparseL32bsr2csr_block_per_row_2_7_kernelILj256ELj7E21rocsparse_complex_numIdEliEEv20rocsparse_direction_T3_S4_21rocsparse_index_base_PKT1_PKT2_PKS4_S4_S5_PS6_PS9_PS4_,@function
_ZN9rocsparseL32bsr2csr_block_per_row_2_7_kernelILj256ELj7E21rocsparse_complex_numIdEliEEv20rocsparse_direction_T3_S4_21rocsparse_index_base_PKT1_PKT2_PKS4_S4_S5_PS6_PS9_PS4_: ; @_ZN9rocsparseL32bsr2csr_block_per_row_2_7_kernelILj256ELj7E21rocsparse_complex_numIdEliEEv20rocsparse_direction_T3_S4_21rocsparse_index_base_PKT1_PKT2_PKS4_S4_S5_PS6_PS9_PS4_
; %bb.0:
	s_load_dwordx2 s[2:3], s[4:5], 0x18
	s_load_dword s12, s[4:5], 0x2c
	s_load_dwordx2 s[0:1], s[4:5], 0x38
	s_ashr_i32 s7, s6, 31
	s_lshl_b64 s[8:9], s[6:7], 3
	s_waitcnt lgkmcnt(0)
	s_add_u32 s2, s2, s8
	v_or_b32_e32 v1, s6, v0
	s_addc_u32 s3, s3, s9
	v_cmp_eq_u32_e32 vcc, 0, v1
	s_and_saveexec_b64 s[8:9], vcc
	s_cbranch_execz .LBB279_2
; %bb.1:
	v_mov_b32_e32 v2, s12
	v_mov_b32_e32 v3, 0
	global_store_dwordx2 v3, v[2:3], s[0:1]
.LBB279_2:
	s_or_b64 exec, exec, s[8:9]
	v_and_b32_e32 v4, 7, v0
	v_cmp_ne_u32_e32 vcc, 7, v4
	s_and_saveexec_b64 s[8:9], vcc
	s_cbranch_execz .LBB279_6
; %bb.3:
	s_load_dwordx4 s[8:11], s[2:3], 0x0
	s_load_dword s7, s[4:5], 0xc
	s_mul_i32 s6, s6, 7
	v_lshrrev_b32_e32 v8, 3, v0
	v_mov_b32_e32 v1, 0
	v_add3_u32 v0, v4, s6, 1
	s_waitcnt lgkmcnt(0)
	s_sub_u32 s3, s8, s7
	s_subb_u32 s13, s9, 0
	s_mul_hi_u32 s2, s3, 49
	s_sub_u32 s10, s10, s7
	s_mul_i32 s14, s13, 49
	s_subb_u32 s11, s11, 0
	s_add_i32 s15, s2, s14
	s_sub_u32 s2, s10, s3
	s_subb_u32 s16, s11, s13
	s_mul_i32 s16, s16, 7
	s_mul_hi_u32 s17, s2, 7
	s_add_i32 s17, s17, s16
	s_mul_i32 s2, s2, 7
	s_add_u32 s16, s2, s12
	s_mul_i32 s14, s3, 49
	v_mul_lo_u32 v2, s17, v4
	s_addc_u32 s17, s17, 0
	s_add_u32 s14, s16, s14
	s_addc_u32 s15, s17, s15
	v_pk_mov_b32 v[6:7], s[14:15], s[14:15] op_sel:[0,1]
	v_lshlrev_b64 v[0:1], 3, v[0:1]
	v_mad_u64_u32 v[6:7], s[14:15], s2, v4, v[6:7]
	v_mov_b32_e32 v3, s1
	v_add_co_u32_e32 v0, vcc, s0, v0
	v_add_u32_e32 v7, v2, v7
	v_addc_co_u32_e32 v1, vcc, v3, v1, vcc
	global_store_dwordx2 v[0:1], v[6:7], off
	v_mov_b32_e32 v1, s13
	v_add_co_u32_e32 v0, vcc, s3, v8
	v_addc_co_u32_e32 v1, vcc, 0, v1, vcc
	v_cmp_gt_i64_e32 vcc, s[10:11], v[0:1]
	s_and_b64 exec, exec, vcc
	s_cbranch_execz .LBB279_6
; %bb.4:
	s_load_dwordx2 s[14:15], s[4:5], 0x20
	s_load_dwordx2 s[16:17], s[4:5], 0x30
	;; [unrolled: 1-line block ×3, first 2 shown]
	s_load_dword s3, s[4:5], 0x0
	s_load_dwordx2 s[20:21], s[4:5], 0x40
	s_movk_i32 s4, 0x310
	v_mad_u64_u32 v[10:11], s[0:1], s2, v4, 0
	s_waitcnt lgkmcnt(0)
	v_pk_mov_b32 v[6:7], s[18:19], s[18:19] op_sel:[0,1]
	s_cmp_eq_u32 s3, 0
	v_mad_u64_u32 v[6:7], s[2:3], v0, s4, v[6:7]
	v_add_u32_e32 v11, v11, v2
	v_lshlrev_b64 v[2:3], 2, v[0:1]
	v_mov_b32_e32 v12, v7
	v_mov_b32_e32 v5, s15
	v_add_co_u32_e32 v2, vcc, s14, v2
	v_mad_u64_u32 v[12:13], s[2:3], v1, s4, v[12:13]
	v_mad_u64_u32 v[10:11], s[2:3], s8, 49, v[10:11]
	v_addc_co_u32_e32 v3, vcc, v5, v3, vcc
	v_mov_b32_e32 v5, v12
	v_mov_b32_e32 v12, v11
	v_mad_u64_u32 v[12:13], s[2:3], s9, 49, v[12:13]
	v_mov_b32_e32 v11, v12
	v_mad_u64_u32 v[8:9], s[2:3], v8, 7, v[10:11]
	s_mul_hi_u32 s2, s7, 49
	s_mul_i32 s3, s7, 49
	v_mov_b32_e32 v7, s2
	v_subrev_co_u32_e32 v10, vcc, s3, v8
	v_subb_co_u32_e32 v11, vcc, v9, v7, vcc
	v_lshlrev_b64 v[8:9], 4, v[10:11]
	v_mov_b32_e32 v7, s17
	v_add_co_u32_e32 v8, vcc, s16, v8
	v_addc_co_u32_e32 v7, vcc, v9, v7, vcc
	v_add_co_u32_e32 v8, vcc, 48, v8
	v_addc_co_u32_e32 v9, vcc, 0, v7, vcc
	v_lshlrev_b64 v[10:11], 2, v[10:11]
	v_mov_b32_e32 v7, s21
	v_add_co_u32_e32 v10, vcc, s20, v10
	v_addc_co_u32_e32 v7, vcc, v11, v7, vcc
	v_mul_u32_u24_e32 v14, 7, v4
	v_add_co_u32_e32 v10, vcc, 20, v10
	s_cselect_b64 s[0:1], -1, 0
	v_lshlrev_b32_e32 v4, 4, v4
	v_addc_co_u32_e32 v11, vcc, 0, v7, vcc
	v_lshlrev_b32_e32 v12, 4, v14
	s_mov_b64 s[4:5], 0
	v_mov_b32_e32 v14, s12
	s_movk_i32 s6, 0x70
	s_movk_i32 s8, 0xe0
	;; [unrolled: 1-line block ×10, first 2 shown]
.LBB279_5:                              ; =>This Inner Loop Header: Depth=1
	v_add_co_u32_e32 v13, vcc, v6, v4
	v_addc_co_u32_e32 v15, vcc, 0, v5, vcc
	v_add_co_u32_e32 v18, vcc, v6, v12
	v_addc_co_u32_e32 v19, vcc, 0, v5, vcc
	;; [unrolled: 2-line block ×13, first 2 shown]
	global_load_dword v7, v[2:3], off
	v_cndmask_b32_e64 v16, v13, v18, s[0:1]
	v_add_co_u32_e32 v13, vcc, s16, v13
	v_cndmask_b32_e64 v17, v15, v19, s[0:1]
	v_addc_co_u32_e32 v15, vcc, 0, v15, vcc
	v_cndmask_b32_e64 v45, v23, v21, s[0:1]
	v_cndmask_b32_e64 v44, v22, v20, s[0:1]
	global_load_dwordx4 v[16:19], v[16:17], off
	v_cndmask_b32_e64 v47, v27, v25, s[0:1]
	v_cndmask_b32_e64 v46, v26, v24, s[0:1]
	;; [unrolled: 1-line block ×10, first 2 shown]
	global_load_dwordx4 v[20:23], v[44:45], off
	global_load_dwordx4 v[24:27], v[46:47], off
	;; [unrolled: 1-line block ×6, first 2 shown]
	v_add_co_u32_e32 v0, vcc, 32, v0
	v_addc_co_u32_e32 v1, vcc, 0, v1, vcc
	v_add_co_u32_e32 v2, vcc, s17, v2
	v_addc_co_u32_e32 v3, vcc, 0, v3, vcc
	v_add_co_u32_e32 v6, vcc, s18, v6
	v_cmp_le_i64_e64 s[2:3], s[10:11], v[0:1]
	v_addc_co_u32_e32 v5, vcc, 0, v5, vcc
	s_or_b64 s[4:5], s[2:3], s[4:5]
	s_waitcnt vmcnt(7)
	v_subrev_u32_e32 v7, s7, v7
	v_mad_u64_u32 v[44:45], s[2:3], v7, 7, v[14:15]
	v_add_u32_e32 v46, 2, v44
	v_add_u32_e32 v45, 1, v44
	s_waitcnt vmcnt(6)
	global_store_dwordx4 v[8:9], v[16:19], off offset:-48
	s_nop 0
	v_add_u32_e32 v17, 4, v44
	v_add_u32_e32 v16, 3, v44
	;; [unrolled: 1-line block ×4, first 2 shown]
	s_waitcnt vmcnt(6)
	global_store_dwordx4 v[8:9], v[20:23], off offset:-32
	global_store_dwordx3 v[10:11], v[44:46], off offset:-20
	s_waitcnt vmcnt(7)
	global_store_dwordx4 v[8:9], v[24:27], off offset:-16
	s_waitcnt vmcnt(7)
	global_store_dwordx4 v[8:9], v[28:31], off
	s_waitcnt vmcnt(7)
	global_store_dwordx4 v[8:9], v[32:35], off offset:16
	s_waitcnt vmcnt(7)
	global_store_dwordx4 v[8:9], v[36:39], off offset:32
	global_store_dwordx4 v[10:11], v[16:19], off offset:-8
	s_waitcnt vmcnt(8)
	global_store_dwordx4 v[8:9], v[40:43], off offset:48
	v_add_co_u32_e32 v8, vcc, 0xe00, v8
	v_addc_co_u32_e32 v9, vcc, 0, v9, vcc
	v_add_co_u32_e32 v10, vcc, 0x380, v10
	v_addc_co_u32_e32 v11, vcc, 0, v11, vcc
	s_andn2_b64 exec, exec, s[4:5]
	s_cbranch_execnz .LBB279_5
.LBB279_6:
	s_endpgm
	.section	.rodata,"a",@progbits
	.p2align	6, 0x0
	.amdhsa_kernel _ZN9rocsparseL32bsr2csr_block_per_row_2_7_kernelILj256ELj7E21rocsparse_complex_numIdEliEEv20rocsparse_direction_T3_S4_21rocsparse_index_base_PKT1_PKT2_PKS4_S4_S5_PS6_PS9_PS4_
		.amdhsa_group_segment_fixed_size 0
		.amdhsa_private_segment_fixed_size 0
		.amdhsa_kernarg_size 72
		.amdhsa_user_sgpr_count 6
		.amdhsa_user_sgpr_private_segment_buffer 1
		.amdhsa_user_sgpr_dispatch_ptr 0
		.amdhsa_user_sgpr_queue_ptr 0
		.amdhsa_user_sgpr_kernarg_segment_ptr 1
		.amdhsa_user_sgpr_dispatch_id 0
		.amdhsa_user_sgpr_flat_scratch_init 0
		.amdhsa_user_sgpr_kernarg_preload_length 0
		.amdhsa_user_sgpr_kernarg_preload_offset 0
		.amdhsa_user_sgpr_private_segment_size 0
		.amdhsa_uses_dynamic_stack 0
		.amdhsa_system_sgpr_private_segment_wavefront_offset 0
		.amdhsa_system_sgpr_workgroup_id_x 1
		.amdhsa_system_sgpr_workgroup_id_y 0
		.amdhsa_system_sgpr_workgroup_id_z 0
		.amdhsa_system_sgpr_workgroup_info 0
		.amdhsa_system_vgpr_workitem_id 0
		.amdhsa_next_free_vgpr 56
		.amdhsa_next_free_sgpr 22
		.amdhsa_accum_offset 56
		.amdhsa_reserve_vcc 1
		.amdhsa_reserve_flat_scratch 0
		.amdhsa_float_round_mode_32 0
		.amdhsa_float_round_mode_16_64 0
		.amdhsa_float_denorm_mode_32 3
		.amdhsa_float_denorm_mode_16_64 3
		.amdhsa_dx10_clamp 1
		.amdhsa_ieee_mode 1
		.amdhsa_fp16_overflow 0
		.amdhsa_tg_split 0
		.amdhsa_exception_fp_ieee_invalid_op 0
		.amdhsa_exception_fp_denorm_src 0
		.amdhsa_exception_fp_ieee_div_zero 0
		.amdhsa_exception_fp_ieee_overflow 0
		.amdhsa_exception_fp_ieee_underflow 0
		.amdhsa_exception_fp_ieee_inexact 0
		.amdhsa_exception_int_div_zero 0
	.end_amdhsa_kernel
	.section	.text._ZN9rocsparseL32bsr2csr_block_per_row_2_7_kernelILj256ELj7E21rocsparse_complex_numIdEliEEv20rocsparse_direction_T3_S4_21rocsparse_index_base_PKT1_PKT2_PKS4_S4_S5_PS6_PS9_PS4_,"axG",@progbits,_ZN9rocsparseL32bsr2csr_block_per_row_2_7_kernelILj256ELj7E21rocsparse_complex_numIdEliEEv20rocsparse_direction_T3_S4_21rocsparse_index_base_PKT1_PKT2_PKS4_S4_S5_PS6_PS9_PS4_,comdat
.Lfunc_end279:
	.size	_ZN9rocsparseL32bsr2csr_block_per_row_2_7_kernelILj256ELj7E21rocsparse_complex_numIdEliEEv20rocsparse_direction_T3_S4_21rocsparse_index_base_PKT1_PKT2_PKS4_S4_S5_PS6_PS9_PS4_, .Lfunc_end279-_ZN9rocsparseL32bsr2csr_block_per_row_2_7_kernelILj256ELj7E21rocsparse_complex_numIdEliEEv20rocsparse_direction_T3_S4_21rocsparse_index_base_PKT1_PKT2_PKS4_S4_S5_PS6_PS9_PS4_
                                        ; -- End function
	.section	.AMDGPU.csdata,"",@progbits
; Kernel info:
; codeLenInByte = 1080
; NumSgprs: 26
; NumVgprs: 56
; NumAgprs: 0
; TotalNumVgprs: 56
; ScratchSize: 0
; MemoryBound: 0
; FloatMode: 240
; IeeeMode: 1
; LDSByteSize: 0 bytes/workgroup (compile time only)
; SGPRBlocks: 3
; VGPRBlocks: 6
; NumSGPRsForWavesPerEU: 26
; NumVGPRsForWavesPerEU: 56
; AccumOffset: 56
; Occupancy: 8
; WaveLimiterHint : 0
; COMPUTE_PGM_RSRC2:SCRATCH_EN: 0
; COMPUTE_PGM_RSRC2:USER_SGPR: 6
; COMPUTE_PGM_RSRC2:TRAP_HANDLER: 0
; COMPUTE_PGM_RSRC2:TGID_X_EN: 1
; COMPUTE_PGM_RSRC2:TGID_Y_EN: 0
; COMPUTE_PGM_RSRC2:TGID_Z_EN: 0
; COMPUTE_PGM_RSRC2:TIDIG_COMP_CNT: 0
; COMPUTE_PGM_RSRC3_GFX90A:ACCUM_OFFSET: 13
; COMPUTE_PGM_RSRC3_GFX90A:TG_SPLIT: 0
	.section	.text._ZN9rocsparseL33bsr2csr_block_per_row_8_32_kernelILj1024ELj8E21rocsparse_complex_numIdEliEEv20rocsparse_direction_T3_S4_21rocsparse_index_base_PKT1_PKT2_PKS4_S4_S5_PS6_PS9_PS4_,"axG",@progbits,_ZN9rocsparseL33bsr2csr_block_per_row_8_32_kernelILj1024ELj8E21rocsparse_complex_numIdEliEEv20rocsparse_direction_T3_S4_21rocsparse_index_base_PKT1_PKT2_PKS4_S4_S5_PS6_PS9_PS4_,comdat
	.globl	_ZN9rocsparseL33bsr2csr_block_per_row_8_32_kernelILj1024ELj8E21rocsparse_complex_numIdEliEEv20rocsparse_direction_T3_S4_21rocsparse_index_base_PKT1_PKT2_PKS4_S4_S5_PS6_PS9_PS4_ ; -- Begin function _ZN9rocsparseL33bsr2csr_block_per_row_8_32_kernelILj1024ELj8E21rocsparse_complex_numIdEliEEv20rocsparse_direction_T3_S4_21rocsparse_index_base_PKT1_PKT2_PKS4_S4_S5_PS6_PS9_PS4_
	.p2align	8
	.type	_ZN9rocsparseL33bsr2csr_block_per_row_8_32_kernelILj1024ELj8E21rocsparse_complex_numIdEliEEv20rocsparse_direction_T3_S4_21rocsparse_index_base_PKT1_PKT2_PKS4_S4_S5_PS6_PS9_PS4_,@function
_ZN9rocsparseL33bsr2csr_block_per_row_8_32_kernelILj1024ELj8E21rocsparse_complex_numIdEliEEv20rocsparse_direction_T3_S4_21rocsparse_index_base_PKT1_PKT2_PKS4_S4_S5_PS6_PS9_PS4_: ; @_ZN9rocsparseL33bsr2csr_block_per_row_8_32_kernelILj1024ELj8E21rocsparse_complex_numIdEliEEv20rocsparse_direction_T3_S4_21rocsparse_index_base_PKT1_PKT2_PKS4_S4_S5_PS6_PS9_PS4_
; %bb.0:
	s_load_dwordx2 s[2:3], s[4:5], 0x18
	s_load_dwordx2 s[0:1], s[4:5], 0x28
	;; [unrolled: 1-line block ×3, first 2 shown]
	s_ashr_i32 s7, s6, 31
	s_lshl_b64 s[8:9], s[6:7], 3
	s_waitcnt lgkmcnt(0)
	s_add_u32 s2, s2, s8
	v_or_b32_e32 v1, s6, v0
	s_addc_u32 s3, s3, s9
	v_cmp_eq_u32_e32 vcc, 0, v1
	s_and_saveexec_b64 s[8:9], vcc
	s_cbranch_execz .LBB280_2
; %bb.1:
	v_mov_b32_e32 v2, s1
	v_mov_b32_e32 v3, 0
	global_store_dwordx2 v3, v[2:3], s[12:13]
.LBB280_2:
	s_or_b64 exec, exec, s[8:9]
	v_and_b32_e32 v3, 7, v0
	v_bfe_u32 v8, v0, 3, 3
	v_max_i32_e32 v1, v8, v3
	v_cmp_gt_i32_e32 vcc, s0, v1
	s_and_saveexec_b64 s[8:9], vcc
	s_cbranch_execz .LBB280_6
; %bb.3:
	s_load_dwordx4 s[16:19], s[2:3], 0x0
	s_load_dword s14, s[4:5], 0xc
	s_mul_i32 s8, s0, s0
	v_lshrrev_b32_e32 v4, 6, v0
	s_mul_i32 s6, s6, s0
	s_mov_b32 s9, 0
	s_waitcnt lgkmcnt(0)
	s_sub_u32 s20, s16, s14
	s_subb_u32 s21, s17, 0
	s_sub_u32 s2, s18, s14
	s_mul_i32 s7, s21, s8
	s_mul_hi_u32 s10, s20, s8
	s_subb_u32 s3, s19, 0
	s_add_i32 s11, s10, s7
	s_sub_u32 s15, s2, s20
	s_subb_u32 s7, s3, s21
	s_mul_i32 s16, s7, s0
	s_mul_hi_u32 s17, s15, s0
	s_add_i32 s18, s17, s16
	s_mul_i32 s19, s15, s0
	s_add_u32 s16, s19, s1
	s_mul_i32 s10, s20, s8
	s_addc_u32 s17, s18, 0
	s_add_u32 s16, s16, s10
	s_addc_u32 s17, s17, s11
	v_pk_mov_b32 v[0:1], s[16:17], s[16:17] op_sel:[0,1]
	v_mad_u64_u32 v[0:1], s[16:17], s19, v8, v[0:1]
	v_mov_b32_e32 v2, v1
	v_mad_u64_u32 v[6:7], s[16:17], s18, v8, v[2:3]
	v_mov_b32_e32 v1, v6
	v_add_u32_e32 v6, s6, v8
	v_ashrrev_i32_e32 v7, 31, v6
	v_lshlrev_b64 v[6:7], 3, v[6:7]
	v_mov_b32_e32 v2, s13
	v_add_co_u32_e32 v6, vcc, s12, v6
	v_addc_co_u32_e32 v7, vcc, v2, v7, vcc
	global_store_dwordx2 v[6:7], v[0:1], off offset:8
	v_mov_b32_e32 v1, s21
	v_add_co_u32_e32 v0, vcc, s20, v4
	v_addc_co_u32_e32 v1, vcc, 0, v1, vcc
	v_mov_b32_e32 v5, 0
	v_cmp_gt_i64_e32 vcc, s[2:3], v[0:1]
	s_and_b64 exec, exec, vcc
	s_cbranch_execz .LBB280_6
; %bb.4:
	s_load_dwordx2 s[12:13], s[4:5], 0x20
	s_load_dwordx2 s[16:17], s[4:5], 0x30
	;; [unrolled: 1-line block ×3, first 2 shown]
	s_load_dword s6, s[4:5], 0x0
	s_load_dwordx2 s[20:21], s[4:5], 0x40
	v_mul_lo_u32 v6, v3, s0
	v_mov_b32_e32 v7, v5
	v_lshlrev_b64 v[6:7], 4, v[6:7]
	s_waitcnt lgkmcnt(0)
	v_mov_b32_e32 v9, s19
	v_add_co_u32_e32 v6, vcc, s18, v6
	v_addc_co_u32_e32 v7, vcc, v9, v7, vcc
	v_lshlrev_b32_e32 v10, 4, v8
	v_add_co_u32_e32 v10, vcc, v6, v10
	v_addc_co_u32_e32 v11, vcc, 0, v7, vcc
	v_mul_lo_u32 v6, v8, s0
	v_mov_b32_e32 v7, v5
	v_lshlrev_b64 v[6:7], 4, v[6:7]
	v_add_co_u32_e32 v6, vcc, s18, v6
	v_addc_co_u32_e32 v7, vcc, v9, v7, vcc
	v_lshlrev_b32_e32 v9, 4, v3
	v_add_co_u32_e32 v6, vcc, v6, v9
	s_cmp_eq_u32 s6, 0
	v_addc_co_u32_e32 v7, vcc, 0, v7, vcc
	s_cselect_b64 vcc, -1, 0
	v_cndmask_b32_e32 v9, v11, v7, vcc
	v_cndmask_b32_e32 v12, v10, v6, vcc
	v_mad_u64_u32 v[6:7], s[4:5], v0, s8, 0
	v_mov_b32_e32 v10, v7
	v_mad_u64_u32 v[10:11], s[4:5], v1, s8, v[10:11]
	v_mov_b32_e32 v7, v10
	s_mov_b32 s23, s9
	v_lshlrev_b64 v[6:7], 4, v[6:7]
	s_lshl_b64 s[4:5], s[8:9], 8
	v_mad_u64_u32 v[4:5], s[8:9], s15, v8, v[4:5]
	v_add_co_u32_e32 v6, vcc, v12, v6
	v_mov_b32_e32 v10, v5
	s_mov_b32 s22, s0
	v_addc_co_u32_e32 v7, vcc, v9, v7, vcc
	v_mad_u64_u32 v[8:9], s[6:7], s7, v8, v[10:11]
	v_pk_mov_b32 v[10:11], s[10:11], s[10:11] op_sel:[0,1]
	v_mad_u64_u32 v[4:5], s[6:7], v4, s22, v[10:11]
	v_mov_b32_e32 v10, v5
	v_mad_u64_u32 v[8:9], s[6:7], v8, s22, v[10:11]
	v_mov_b32_e32 v5, v8
	v_add_co_u32_e32 v8, vcc, v4, v3
	v_addc_co_u32_e32 v9, vcc, 0, v5, vcc
	v_lshlrev_b64 v[4:5], 2, v[8:9]
	v_add_u32_e32 v2, s1, v3
	v_mov_b32_e32 v3, s21
	v_add_co_u32_e32 v4, vcc, s20, v4
	v_addc_co_u32_e32 v5, vcc, v3, v5, vcc
	v_lshlrev_b64 v[8:9], 4, v[8:9]
	v_mov_b32_e32 v3, s17
	v_add_co_u32_e32 v8, vcc, s16, v8
	v_addc_co_u32_e32 v9, vcc, v3, v9, vcc
	v_lshlrev_b64 v[10:11], 2, v[0:1]
	v_mov_b32_e32 v3, s13
	v_add_co_u32_e32 v10, vcc, s12, v10
	s_lshl_b64 s[6:7], s[22:23], 6
	s_lshl_b64 s[8:9], s[22:23], 8
	v_addc_co_u32_e32 v11, vcc, v3, v11, vcc
	s_mov_b64 s[10:11], 0
.LBB280_5:                              ; =>This Inner Loop Header: Depth=1
	global_load_dword v3, v[10:11], off
	global_load_dwordx4 v[12:15], v[6:7], off
	v_add_co_u32_e32 v0, vcc, 16, v0
	v_addc_co_u32_e32 v1, vcc, 0, v1, vcc
	v_add_co_u32_e32 v10, vcc, 64, v10
	v_addc_co_u32_e32 v11, vcc, 0, v11, vcc
	v_mov_b32_e32 v16, s5
	v_add_co_u32_e32 v6, vcc, s4, v6
	v_addc_co_u32_e32 v7, vcc, v7, v16, vcc
	v_cmp_le_i64_e32 vcc, s[2:3], v[0:1]
	v_mov_b32_e32 v18, s9
	s_or_b64 s[10:11], vcc, s[10:11]
	v_mov_b32_e32 v17, s7
	s_waitcnt vmcnt(1)
	v_subrev_u32_e32 v3, s14, v3
	s_waitcnt vmcnt(0)
	global_store_dwordx4 v[8:9], v[12:15], off
	v_add_co_u32_e32 v8, vcc, s8, v8
	v_addc_co_u32_e32 v9, vcc, v9, v18, vcc
	v_mad_u64_u32 v[12:13], s[12:13], v3, s0, v[2:3]
	global_store_dword v[4:5], v12, off
	v_add_co_u32_e32 v4, vcc, s6, v4
	v_addc_co_u32_e32 v5, vcc, v5, v17, vcc
	s_andn2_b64 exec, exec, s[10:11]
	s_cbranch_execnz .LBB280_5
.LBB280_6:
	s_endpgm
	.section	.rodata,"a",@progbits
	.p2align	6, 0x0
	.amdhsa_kernel _ZN9rocsparseL33bsr2csr_block_per_row_8_32_kernelILj1024ELj8E21rocsparse_complex_numIdEliEEv20rocsparse_direction_T3_S4_21rocsparse_index_base_PKT1_PKT2_PKS4_S4_S5_PS6_PS9_PS4_
		.amdhsa_group_segment_fixed_size 0
		.amdhsa_private_segment_fixed_size 0
		.amdhsa_kernarg_size 72
		.amdhsa_user_sgpr_count 6
		.amdhsa_user_sgpr_private_segment_buffer 1
		.amdhsa_user_sgpr_dispatch_ptr 0
		.amdhsa_user_sgpr_queue_ptr 0
		.amdhsa_user_sgpr_kernarg_segment_ptr 1
		.amdhsa_user_sgpr_dispatch_id 0
		.amdhsa_user_sgpr_flat_scratch_init 0
		.amdhsa_user_sgpr_kernarg_preload_length 0
		.amdhsa_user_sgpr_kernarg_preload_offset 0
		.amdhsa_user_sgpr_private_segment_size 0
		.amdhsa_uses_dynamic_stack 0
		.amdhsa_system_sgpr_private_segment_wavefront_offset 0
		.amdhsa_system_sgpr_workgroup_id_x 1
		.amdhsa_system_sgpr_workgroup_id_y 0
		.amdhsa_system_sgpr_workgroup_id_z 0
		.amdhsa_system_sgpr_workgroup_info 0
		.amdhsa_system_vgpr_workitem_id 0
		.amdhsa_next_free_vgpr 19
		.amdhsa_next_free_sgpr 24
		.amdhsa_accum_offset 20
		.amdhsa_reserve_vcc 1
		.amdhsa_reserve_flat_scratch 0
		.amdhsa_float_round_mode_32 0
		.amdhsa_float_round_mode_16_64 0
		.amdhsa_float_denorm_mode_32 3
		.amdhsa_float_denorm_mode_16_64 3
		.amdhsa_dx10_clamp 1
		.amdhsa_ieee_mode 1
		.amdhsa_fp16_overflow 0
		.amdhsa_tg_split 0
		.amdhsa_exception_fp_ieee_invalid_op 0
		.amdhsa_exception_fp_denorm_src 0
		.amdhsa_exception_fp_ieee_div_zero 0
		.amdhsa_exception_fp_ieee_overflow 0
		.amdhsa_exception_fp_ieee_underflow 0
		.amdhsa_exception_fp_ieee_inexact 0
		.amdhsa_exception_int_div_zero 0
	.end_amdhsa_kernel
	.section	.text._ZN9rocsparseL33bsr2csr_block_per_row_8_32_kernelILj1024ELj8E21rocsparse_complex_numIdEliEEv20rocsparse_direction_T3_S4_21rocsparse_index_base_PKT1_PKT2_PKS4_S4_S5_PS6_PS9_PS4_,"axG",@progbits,_ZN9rocsparseL33bsr2csr_block_per_row_8_32_kernelILj1024ELj8E21rocsparse_complex_numIdEliEEv20rocsparse_direction_T3_S4_21rocsparse_index_base_PKT1_PKT2_PKS4_S4_S5_PS6_PS9_PS4_,comdat
.Lfunc_end280:
	.size	_ZN9rocsparseL33bsr2csr_block_per_row_8_32_kernelILj1024ELj8E21rocsparse_complex_numIdEliEEv20rocsparse_direction_T3_S4_21rocsparse_index_base_PKT1_PKT2_PKS4_S4_S5_PS6_PS9_PS4_, .Lfunc_end280-_ZN9rocsparseL33bsr2csr_block_per_row_8_32_kernelILj1024ELj8E21rocsparse_complex_numIdEliEEv20rocsparse_direction_T3_S4_21rocsparse_index_base_PKT1_PKT2_PKS4_S4_S5_PS6_PS9_PS4_
                                        ; -- End function
	.section	.AMDGPU.csdata,"",@progbits
; Kernel info:
; codeLenInByte = 768
; NumSgprs: 28
; NumVgprs: 19
; NumAgprs: 0
; TotalNumVgprs: 19
; ScratchSize: 0
; MemoryBound: 0
; FloatMode: 240
; IeeeMode: 1
; LDSByteSize: 0 bytes/workgroup (compile time only)
; SGPRBlocks: 3
; VGPRBlocks: 2
; NumSGPRsForWavesPerEU: 28
; NumVGPRsForWavesPerEU: 19
; AccumOffset: 20
; Occupancy: 8
; WaveLimiterHint : 0
; COMPUTE_PGM_RSRC2:SCRATCH_EN: 0
; COMPUTE_PGM_RSRC2:USER_SGPR: 6
; COMPUTE_PGM_RSRC2:TRAP_HANDLER: 0
; COMPUTE_PGM_RSRC2:TGID_X_EN: 1
; COMPUTE_PGM_RSRC2:TGID_Y_EN: 0
; COMPUTE_PGM_RSRC2:TGID_Z_EN: 0
; COMPUTE_PGM_RSRC2:TIDIG_COMP_CNT: 0
; COMPUTE_PGM_RSRC3_GFX90A:ACCUM_OFFSET: 4
; COMPUTE_PGM_RSRC3_GFX90A:TG_SPLIT: 0
	.section	.text._ZN9rocsparseL33bsr2csr_block_per_row_8_32_kernelILj1024ELj16E21rocsparse_complex_numIdEliEEv20rocsparse_direction_T3_S4_21rocsparse_index_base_PKT1_PKT2_PKS4_S4_S5_PS6_PS9_PS4_,"axG",@progbits,_ZN9rocsparseL33bsr2csr_block_per_row_8_32_kernelILj1024ELj16E21rocsparse_complex_numIdEliEEv20rocsparse_direction_T3_S4_21rocsparse_index_base_PKT1_PKT2_PKS4_S4_S5_PS6_PS9_PS4_,comdat
	.globl	_ZN9rocsparseL33bsr2csr_block_per_row_8_32_kernelILj1024ELj16E21rocsparse_complex_numIdEliEEv20rocsparse_direction_T3_S4_21rocsparse_index_base_PKT1_PKT2_PKS4_S4_S5_PS6_PS9_PS4_ ; -- Begin function _ZN9rocsparseL33bsr2csr_block_per_row_8_32_kernelILj1024ELj16E21rocsparse_complex_numIdEliEEv20rocsparse_direction_T3_S4_21rocsparse_index_base_PKT1_PKT2_PKS4_S4_S5_PS6_PS9_PS4_
	.p2align	8
	.type	_ZN9rocsparseL33bsr2csr_block_per_row_8_32_kernelILj1024ELj16E21rocsparse_complex_numIdEliEEv20rocsparse_direction_T3_S4_21rocsparse_index_base_PKT1_PKT2_PKS4_S4_S5_PS6_PS9_PS4_,@function
_ZN9rocsparseL33bsr2csr_block_per_row_8_32_kernelILj1024ELj16E21rocsparse_complex_numIdEliEEv20rocsparse_direction_T3_S4_21rocsparse_index_base_PKT1_PKT2_PKS4_S4_S5_PS6_PS9_PS4_: ; @_ZN9rocsparseL33bsr2csr_block_per_row_8_32_kernelILj1024ELj16E21rocsparse_complex_numIdEliEEv20rocsparse_direction_T3_S4_21rocsparse_index_base_PKT1_PKT2_PKS4_S4_S5_PS6_PS9_PS4_
; %bb.0:
	s_load_dwordx2 s[2:3], s[4:5], 0x18
	s_load_dwordx2 s[0:1], s[4:5], 0x28
	;; [unrolled: 1-line block ×3, first 2 shown]
	s_ashr_i32 s7, s6, 31
	s_lshl_b64 s[8:9], s[6:7], 3
	s_waitcnt lgkmcnt(0)
	s_add_u32 s2, s2, s8
	v_or_b32_e32 v1, s6, v0
	s_addc_u32 s3, s3, s9
	v_cmp_eq_u32_e32 vcc, 0, v1
	s_and_saveexec_b64 s[8:9], vcc
	s_cbranch_execz .LBB281_2
; %bb.1:
	v_mov_b32_e32 v2, s1
	v_mov_b32_e32 v3, 0
	global_store_dwordx2 v3, v[2:3], s[12:13]
.LBB281_2:
	s_or_b64 exec, exec, s[8:9]
	v_and_b32_e32 v3, 15, v0
	v_bfe_u32 v8, v0, 4, 4
	v_max_i32_e32 v1, v8, v3
	v_cmp_gt_i32_e32 vcc, s0, v1
	s_and_saveexec_b64 s[8:9], vcc
	s_cbranch_execz .LBB281_6
; %bb.3:
	s_load_dwordx4 s[16:19], s[2:3], 0x0
	s_load_dword s14, s[4:5], 0xc
	s_mul_i32 s8, s0, s0
	v_lshrrev_b32_e32 v4, 8, v0
	s_mul_i32 s6, s6, s0
	s_mov_b32 s9, 0
	s_waitcnt lgkmcnt(0)
	s_sub_u32 s20, s16, s14
	s_subb_u32 s21, s17, 0
	s_sub_u32 s2, s18, s14
	s_mul_i32 s7, s21, s8
	s_mul_hi_u32 s10, s20, s8
	s_subb_u32 s3, s19, 0
	s_add_i32 s11, s10, s7
	s_sub_u32 s15, s2, s20
	s_subb_u32 s7, s3, s21
	s_mul_i32 s16, s7, s0
	s_mul_hi_u32 s17, s15, s0
	s_add_i32 s18, s17, s16
	s_mul_i32 s19, s15, s0
	s_add_u32 s16, s19, s1
	s_mul_i32 s10, s20, s8
	s_addc_u32 s17, s18, 0
	s_add_u32 s16, s16, s10
	s_addc_u32 s17, s17, s11
	v_pk_mov_b32 v[0:1], s[16:17], s[16:17] op_sel:[0,1]
	v_mad_u64_u32 v[0:1], s[16:17], s19, v8, v[0:1]
	v_mov_b32_e32 v2, v1
	v_mad_u64_u32 v[6:7], s[16:17], s18, v8, v[2:3]
	v_mov_b32_e32 v1, v6
	v_add_u32_e32 v6, s6, v8
	v_ashrrev_i32_e32 v7, 31, v6
	v_lshlrev_b64 v[6:7], 3, v[6:7]
	v_mov_b32_e32 v2, s13
	v_add_co_u32_e32 v6, vcc, s12, v6
	v_addc_co_u32_e32 v7, vcc, v2, v7, vcc
	global_store_dwordx2 v[6:7], v[0:1], off offset:8
	v_mov_b32_e32 v1, s21
	v_add_co_u32_e32 v0, vcc, s20, v4
	v_addc_co_u32_e32 v1, vcc, 0, v1, vcc
	v_mov_b32_e32 v5, 0
	v_cmp_gt_i64_e32 vcc, s[2:3], v[0:1]
	s_and_b64 exec, exec, vcc
	s_cbranch_execz .LBB281_6
; %bb.4:
	s_load_dwordx2 s[12:13], s[4:5], 0x20
	s_load_dwordx2 s[16:17], s[4:5], 0x30
	;; [unrolled: 1-line block ×3, first 2 shown]
	s_load_dword s6, s[4:5], 0x0
	s_load_dwordx2 s[20:21], s[4:5], 0x40
	v_mul_lo_u32 v6, v3, s0
	v_mov_b32_e32 v7, v5
	v_lshlrev_b64 v[6:7], 4, v[6:7]
	s_waitcnt lgkmcnt(0)
	v_mov_b32_e32 v9, s19
	v_add_co_u32_e32 v6, vcc, s18, v6
	v_addc_co_u32_e32 v7, vcc, v9, v7, vcc
	v_lshlrev_b32_e32 v10, 4, v8
	v_add_co_u32_e32 v10, vcc, v6, v10
	v_addc_co_u32_e32 v11, vcc, 0, v7, vcc
	v_mul_lo_u32 v6, v8, s0
	v_mov_b32_e32 v7, v5
	v_lshlrev_b64 v[6:7], 4, v[6:7]
	v_add_co_u32_e32 v6, vcc, s18, v6
	v_addc_co_u32_e32 v7, vcc, v9, v7, vcc
	v_lshlrev_b32_e32 v9, 4, v3
	v_add_co_u32_e32 v6, vcc, v6, v9
	s_cmp_eq_u32 s6, 0
	v_addc_co_u32_e32 v7, vcc, 0, v7, vcc
	s_cselect_b64 vcc, -1, 0
	v_cndmask_b32_e32 v9, v11, v7, vcc
	v_cndmask_b32_e32 v12, v10, v6, vcc
	v_mad_u64_u32 v[6:7], s[4:5], v0, s8, 0
	v_mov_b32_e32 v10, v7
	v_mad_u64_u32 v[10:11], s[4:5], v1, s8, v[10:11]
	v_mov_b32_e32 v7, v10
	s_mov_b32 s23, s9
	v_lshlrev_b64 v[6:7], 4, v[6:7]
	s_lshl_b64 s[4:5], s[8:9], 6
	v_mad_u64_u32 v[4:5], s[8:9], s15, v8, v[4:5]
	v_add_co_u32_e32 v6, vcc, v12, v6
	v_mov_b32_e32 v10, v5
	s_mov_b32 s22, s0
	v_addc_co_u32_e32 v7, vcc, v9, v7, vcc
	v_mad_u64_u32 v[8:9], s[6:7], s7, v8, v[10:11]
	v_pk_mov_b32 v[10:11], s[10:11], s[10:11] op_sel:[0,1]
	v_mad_u64_u32 v[4:5], s[6:7], v4, s22, v[10:11]
	v_mov_b32_e32 v10, v5
	v_mad_u64_u32 v[8:9], s[6:7], v8, s22, v[10:11]
	v_mov_b32_e32 v5, v8
	v_add_co_u32_e32 v8, vcc, v4, v3
	v_addc_co_u32_e32 v9, vcc, 0, v5, vcc
	v_lshlrev_b64 v[4:5], 2, v[8:9]
	v_add_u32_e32 v2, s1, v3
	v_mov_b32_e32 v3, s21
	v_add_co_u32_e32 v4, vcc, s20, v4
	v_addc_co_u32_e32 v5, vcc, v3, v5, vcc
	v_lshlrev_b64 v[8:9], 4, v[8:9]
	v_mov_b32_e32 v3, s17
	v_add_co_u32_e32 v8, vcc, s16, v8
	v_addc_co_u32_e32 v9, vcc, v3, v9, vcc
	v_lshlrev_b64 v[10:11], 2, v[0:1]
	v_mov_b32_e32 v3, s13
	v_add_co_u32_e32 v10, vcc, s12, v10
	s_lshl_b64 s[6:7], s[22:23], 4
	s_lshl_b64 s[8:9], s[22:23], 6
	v_addc_co_u32_e32 v11, vcc, v3, v11, vcc
	s_mov_b64 s[10:11], 0
.LBB281_5:                              ; =>This Inner Loop Header: Depth=1
	global_load_dword v3, v[10:11], off
	global_load_dwordx4 v[12:15], v[6:7], off
	v_add_co_u32_e32 v0, vcc, 4, v0
	v_addc_co_u32_e32 v1, vcc, 0, v1, vcc
	v_add_co_u32_e32 v10, vcc, 16, v10
	v_addc_co_u32_e32 v11, vcc, 0, v11, vcc
	v_mov_b32_e32 v16, s5
	v_add_co_u32_e32 v6, vcc, s4, v6
	v_addc_co_u32_e32 v7, vcc, v7, v16, vcc
	v_cmp_le_i64_e32 vcc, s[2:3], v[0:1]
	v_mov_b32_e32 v18, s9
	s_or_b64 s[10:11], vcc, s[10:11]
	v_mov_b32_e32 v17, s7
	s_waitcnt vmcnt(1)
	v_subrev_u32_e32 v3, s14, v3
	s_waitcnt vmcnt(0)
	global_store_dwordx4 v[8:9], v[12:15], off
	v_add_co_u32_e32 v8, vcc, s8, v8
	v_addc_co_u32_e32 v9, vcc, v9, v18, vcc
	v_mad_u64_u32 v[12:13], s[12:13], v3, s0, v[2:3]
	global_store_dword v[4:5], v12, off
	v_add_co_u32_e32 v4, vcc, s6, v4
	v_addc_co_u32_e32 v5, vcc, v5, v17, vcc
	s_andn2_b64 exec, exec, s[10:11]
	s_cbranch_execnz .LBB281_5
.LBB281_6:
	s_endpgm
	.section	.rodata,"a",@progbits
	.p2align	6, 0x0
	.amdhsa_kernel _ZN9rocsparseL33bsr2csr_block_per_row_8_32_kernelILj1024ELj16E21rocsparse_complex_numIdEliEEv20rocsparse_direction_T3_S4_21rocsparse_index_base_PKT1_PKT2_PKS4_S4_S5_PS6_PS9_PS4_
		.amdhsa_group_segment_fixed_size 0
		.amdhsa_private_segment_fixed_size 0
		.amdhsa_kernarg_size 72
		.amdhsa_user_sgpr_count 6
		.amdhsa_user_sgpr_private_segment_buffer 1
		.amdhsa_user_sgpr_dispatch_ptr 0
		.amdhsa_user_sgpr_queue_ptr 0
		.amdhsa_user_sgpr_kernarg_segment_ptr 1
		.amdhsa_user_sgpr_dispatch_id 0
		.amdhsa_user_sgpr_flat_scratch_init 0
		.amdhsa_user_sgpr_kernarg_preload_length 0
		.amdhsa_user_sgpr_kernarg_preload_offset 0
		.amdhsa_user_sgpr_private_segment_size 0
		.amdhsa_uses_dynamic_stack 0
		.amdhsa_system_sgpr_private_segment_wavefront_offset 0
		.amdhsa_system_sgpr_workgroup_id_x 1
		.amdhsa_system_sgpr_workgroup_id_y 0
		.amdhsa_system_sgpr_workgroup_id_z 0
		.amdhsa_system_sgpr_workgroup_info 0
		.amdhsa_system_vgpr_workitem_id 0
		.amdhsa_next_free_vgpr 19
		.amdhsa_next_free_sgpr 24
		.amdhsa_accum_offset 20
		.amdhsa_reserve_vcc 1
		.amdhsa_reserve_flat_scratch 0
		.amdhsa_float_round_mode_32 0
		.amdhsa_float_round_mode_16_64 0
		.amdhsa_float_denorm_mode_32 3
		.amdhsa_float_denorm_mode_16_64 3
		.amdhsa_dx10_clamp 1
		.amdhsa_ieee_mode 1
		.amdhsa_fp16_overflow 0
		.amdhsa_tg_split 0
		.amdhsa_exception_fp_ieee_invalid_op 0
		.amdhsa_exception_fp_denorm_src 0
		.amdhsa_exception_fp_ieee_div_zero 0
		.amdhsa_exception_fp_ieee_overflow 0
		.amdhsa_exception_fp_ieee_underflow 0
		.amdhsa_exception_fp_ieee_inexact 0
		.amdhsa_exception_int_div_zero 0
	.end_amdhsa_kernel
	.section	.text._ZN9rocsparseL33bsr2csr_block_per_row_8_32_kernelILj1024ELj16E21rocsparse_complex_numIdEliEEv20rocsparse_direction_T3_S4_21rocsparse_index_base_PKT1_PKT2_PKS4_S4_S5_PS6_PS9_PS4_,"axG",@progbits,_ZN9rocsparseL33bsr2csr_block_per_row_8_32_kernelILj1024ELj16E21rocsparse_complex_numIdEliEEv20rocsparse_direction_T3_S4_21rocsparse_index_base_PKT1_PKT2_PKS4_S4_S5_PS6_PS9_PS4_,comdat
.Lfunc_end281:
	.size	_ZN9rocsparseL33bsr2csr_block_per_row_8_32_kernelILj1024ELj16E21rocsparse_complex_numIdEliEEv20rocsparse_direction_T3_S4_21rocsparse_index_base_PKT1_PKT2_PKS4_S4_S5_PS6_PS9_PS4_, .Lfunc_end281-_ZN9rocsparseL33bsr2csr_block_per_row_8_32_kernelILj1024ELj16E21rocsparse_complex_numIdEliEEv20rocsparse_direction_T3_S4_21rocsparse_index_base_PKT1_PKT2_PKS4_S4_S5_PS6_PS9_PS4_
                                        ; -- End function
	.section	.AMDGPU.csdata,"",@progbits
; Kernel info:
; codeLenInByte = 768
; NumSgprs: 28
; NumVgprs: 19
; NumAgprs: 0
; TotalNumVgprs: 19
; ScratchSize: 0
; MemoryBound: 0
; FloatMode: 240
; IeeeMode: 1
; LDSByteSize: 0 bytes/workgroup (compile time only)
; SGPRBlocks: 3
; VGPRBlocks: 2
; NumSGPRsForWavesPerEU: 28
; NumVGPRsForWavesPerEU: 19
; AccumOffset: 20
; Occupancy: 8
; WaveLimiterHint : 0
; COMPUTE_PGM_RSRC2:SCRATCH_EN: 0
; COMPUTE_PGM_RSRC2:USER_SGPR: 6
; COMPUTE_PGM_RSRC2:TRAP_HANDLER: 0
; COMPUTE_PGM_RSRC2:TGID_X_EN: 1
; COMPUTE_PGM_RSRC2:TGID_Y_EN: 0
; COMPUTE_PGM_RSRC2:TGID_Z_EN: 0
; COMPUTE_PGM_RSRC2:TIDIG_COMP_CNT: 0
; COMPUTE_PGM_RSRC3_GFX90A:ACCUM_OFFSET: 4
; COMPUTE_PGM_RSRC3_GFX90A:TG_SPLIT: 0
	.section	.text._ZN9rocsparseL33bsr2csr_block_per_row_8_32_kernelILj1024ELj32E21rocsparse_complex_numIdEliEEv20rocsparse_direction_T3_S4_21rocsparse_index_base_PKT1_PKT2_PKS4_S4_S5_PS6_PS9_PS4_,"axG",@progbits,_ZN9rocsparseL33bsr2csr_block_per_row_8_32_kernelILj1024ELj32E21rocsparse_complex_numIdEliEEv20rocsparse_direction_T3_S4_21rocsparse_index_base_PKT1_PKT2_PKS4_S4_S5_PS6_PS9_PS4_,comdat
	.globl	_ZN9rocsparseL33bsr2csr_block_per_row_8_32_kernelILj1024ELj32E21rocsparse_complex_numIdEliEEv20rocsparse_direction_T3_S4_21rocsparse_index_base_PKT1_PKT2_PKS4_S4_S5_PS6_PS9_PS4_ ; -- Begin function _ZN9rocsparseL33bsr2csr_block_per_row_8_32_kernelILj1024ELj32E21rocsparse_complex_numIdEliEEv20rocsparse_direction_T3_S4_21rocsparse_index_base_PKT1_PKT2_PKS4_S4_S5_PS6_PS9_PS4_
	.p2align	8
	.type	_ZN9rocsparseL33bsr2csr_block_per_row_8_32_kernelILj1024ELj32E21rocsparse_complex_numIdEliEEv20rocsparse_direction_T3_S4_21rocsparse_index_base_PKT1_PKT2_PKS4_S4_S5_PS6_PS9_PS4_,@function
_ZN9rocsparseL33bsr2csr_block_per_row_8_32_kernelILj1024ELj32E21rocsparse_complex_numIdEliEEv20rocsparse_direction_T3_S4_21rocsparse_index_base_PKT1_PKT2_PKS4_S4_S5_PS6_PS9_PS4_: ; @_ZN9rocsparseL33bsr2csr_block_per_row_8_32_kernelILj1024ELj32E21rocsparse_complex_numIdEliEEv20rocsparse_direction_T3_S4_21rocsparse_index_base_PKT1_PKT2_PKS4_S4_S5_PS6_PS9_PS4_
; %bb.0:
	s_load_dwordx2 s[0:1], s[4:5], 0x18
	s_load_dwordx2 s[8:9], s[4:5], 0x28
	;; [unrolled: 1-line block ×3, first 2 shown]
	s_ashr_i32 s7, s6, 31
	s_lshl_b64 s[2:3], s[6:7], 3
	s_waitcnt lgkmcnt(0)
	s_add_u32 s12, s0, s2
	v_or_b32_e32 v1, s6, v0
	s_addc_u32 s13, s1, s3
	v_cmp_eq_u32_e32 vcc, 0, v1
	s_and_saveexec_b64 s[0:1], vcc
	s_cbranch_execz .LBB282_2
; %bb.1:
	v_mov_b32_e32 v2, s9
	v_mov_b32_e32 v3, 0
	global_store_dwordx2 v3, v[2:3], s[18:19]
.LBB282_2:
	s_or_b64 exec, exec, s[0:1]
	v_and_b32_e32 v4, 31, v0
	v_lshrrev_b32_e32 v0, 5, v0
	v_max_i32_e32 v1, v0, v4
	v_cmp_gt_i32_e32 vcc, s8, v1
	s_and_saveexec_b64 s[0:1], vcc
	s_cbranch_execz .LBB282_6
; %bb.3:
	s_load_dwordx4 s[0:3], s[12:13], 0x0
	s_load_dword s10, s[4:5], 0xc
	s_mul_i32 s16, s8, s8
	s_mul_i32 s6, s6, s8
	v_add_u32_e32 v8, s6, v0
	v_ashrrev_i32_e32 v9, 31, v8
	s_waitcnt lgkmcnt(0)
	s_sub_u32 s12, s0, s10
	s_subb_u32 s13, s1, 0
	s_sub_u32 s14, s2, s10
	s_mul_i32 s7, s13, s16
	s_mul_hi_u32 s17, s12, s16
	s_subb_u32 s15, s3, 0
	s_add_i32 s21, s17, s7
	s_sub_u32 s7, s14, s12
	s_mul_i32 s20, s12, s16
	s_subb_u32 s17, s15, s13
	s_mul_i32 s17, s17, s8
	s_mul_hi_u32 s22, s7, s8
	s_mul_i32 s7, s7, s8
	v_pk_mov_b32 v[2:3], s[20:21], s[20:21] op_sel:[0,1]
	s_add_i32 s17, s22, s17
	v_mad_u64_u32 v[2:3], s[22:23], s7, v0, v[2:3]
	v_mov_b32_e32 v6, v3
	s_add_u32 s7, s7, s9
	v_mad_u64_u32 v[6:7], s[22:23], s17, v0, v[6:7]
	s_addc_u32 s17, s17, 0
	v_mov_b32_e32 v3, v6
	v_mov_b32_e32 v1, s17
	v_add_co_u32_e32 v6, vcc, s7, v2
	v_addc_co_u32_e32 v7, vcc, v1, v3, vcc
	v_lshlrev_b64 v[8:9], 3, v[8:9]
	v_mov_b32_e32 v1, s19
	v_add_co_u32_e32 v8, vcc, s18, v8
	v_addc_co_u32_e32 v9, vcc, v1, v9, vcc
	global_store_dwordx2 v[8:9], v[6:7], off offset:8
	v_pk_mov_b32 v[6:7], s[2:3], s[2:3] op_sel:[0,1]
	v_cmp_ge_i64_e32 vcc, s[0:1], v[6:7]
	s_mov_b32 s11, 0
	s_cbranch_vccnz .LBB282_6
; %bb.4:
	s_load_dwordx2 s[18:19], s[4:5], 0x20
	s_load_dwordx2 s[6:7], s[4:5], 0x30
	;; [unrolled: 1-line block ×4, first 2 shown]
	s_load_dword s26, s[4:5], 0x0
	v_mov_b32_e32 v7, 0
	v_mul_lo_u32 v6, v4, s8
	v_lshlrev_b64 v[10:11], 4, v[6:7]
	s_waitcnt lgkmcnt(0)
	v_mov_b32_e32 v5, s3
	v_add_co_u32_e32 v1, vcc, s2, v10
	v_addc_co_u32_e32 v6, vcc, v5, v11, vcc
	v_lshlrev_b32_e32 v9, 4, v0
	v_add_co_u32_e32 v9, vcc, v1, v9
	v_addc_co_u32_e32 v10, vcc, 0, v6, vcc
	v_mul_lo_u32 v6, v0, s8
	v_lshlrev_b64 v[0:1], 4, v[6:7]
	v_add_co_u32_e32 v0, vcc, s2, v0
	v_addc_co_u32_e32 v1, vcc, v5, v1, vcc
	v_lshlrev_b32_e32 v5, 4, v4
	v_add_co_u32_e32 v0, vcc, v0, v5
	s_cmp_eq_u32 s26, 0
	v_addc_co_u32_e32 v1, vcc, 0, v1, vcc
	s_cselect_b64 vcc, -1, 0
	v_cndmask_b32_e32 v0, v9, v0, vcc
	s_lshl_b64 s[2:3], s[20:21], 4
	v_cndmask_b32_e32 v1, v10, v1, vcc
	v_mov_b32_e32 v5, s3
	v_add_co_u32_e32 v0, vcc, s2, v0
	v_addc_co_u32_e32 v1, vcc, v1, v5, vcc
	v_add_u32_e32 v8, s9, v4
	v_add_co_u32_e32 v4, vcc, v2, v4
	v_addc_co_u32_e32 v5, vcc, 0, v3, vcc
	v_lshlrev_b64 v[2:3], 2, v[4:5]
	v_mov_b32_e32 v6, s23
	v_add_co_u32_e32 v2, vcc, s22, v2
	s_mov_b32 s17, s11
	s_mov_b32 s24, s8
	;; [unrolled: 1-line block ×3, first 2 shown]
	v_addc_co_u32_e32 v3, vcc, v6, v3, vcc
	v_lshlrev_b64 v[4:5], 4, v[4:5]
	s_lshl_b64 s[2:3], s[16:17], 4
	s_lshl_b64 s[4:5], s[24:25], 2
	v_mov_b32_e32 v6, s7
	v_add_co_u32_e32 v4, vcc, s6, v4
	s_lshl_b64 s[6:7], s[24:25], 4
	s_lshl_b64 s[0:1], s[0:1], 2
	;; [unrolled: 1-line block ×3, first 2 shown]
	s_sub_u32 s0, s0, s16
	s_subb_u32 s1, s1, s17
	s_add_u32 s16, s18, s0
	v_addc_co_u32_e32 v5, vcc, v6, v5, vcc
	s_addc_u32 s17, s19, s1
	v_mov_b32_e32 v9, s3
	v_mov_b32_e32 v10, s5
	;; [unrolled: 1-line block ×3, first 2 shown]
	v_pk_mov_b32 v[6:7], s[14:15], s[14:15] op_sel:[0,1]
.LBB282_5:                              ; =>This Inner Loop Header: Depth=1
	global_load_dwordx4 v[12:15], v[0:1], off
	s_load_dword s0, s[16:17], 0x0
	v_add_co_u32_e32 v0, vcc, s2, v0
	v_addc_co_u32_e32 v1, vcc, v1, v9, vcc
	s_waitcnt lgkmcnt(0)
	s_sub_i32 s0, s0, s10
	s_mul_i32 s0, s0, s8
	v_add_u32_e32 v16, s0, v8
	s_add_u32 s12, s12, 1
	global_store_dword v[2:3], v16, off
	v_add_co_u32_e32 v2, vcc, s4, v2
	s_addc_u32 s13, s13, 0
	v_addc_co_u32_e32 v3, vcc, v3, v10, vcc
	s_add_u32 s16, s16, 4
	v_cmp_lt_i64_e32 vcc, s[12:13], v[6:7]
	s_addc_u32 s17, s17, 0
	s_and_b64 vcc, exec, vcc
	s_waitcnt vmcnt(1)
	global_store_dwordx4 v[4:5], v[12:15], off
	v_add_co_u32_e64 v4, s[0:1], s6, v4
	v_addc_co_u32_e64 v5, s[0:1], v5, v11, s[0:1]
	s_cbranch_vccnz .LBB282_5
.LBB282_6:
	s_endpgm
	.section	.rodata,"a",@progbits
	.p2align	6, 0x0
	.amdhsa_kernel _ZN9rocsparseL33bsr2csr_block_per_row_8_32_kernelILj1024ELj32E21rocsparse_complex_numIdEliEEv20rocsparse_direction_T3_S4_21rocsparse_index_base_PKT1_PKT2_PKS4_S4_S5_PS6_PS9_PS4_
		.amdhsa_group_segment_fixed_size 0
		.amdhsa_private_segment_fixed_size 0
		.amdhsa_kernarg_size 72
		.amdhsa_user_sgpr_count 6
		.amdhsa_user_sgpr_private_segment_buffer 1
		.amdhsa_user_sgpr_dispatch_ptr 0
		.amdhsa_user_sgpr_queue_ptr 0
		.amdhsa_user_sgpr_kernarg_segment_ptr 1
		.amdhsa_user_sgpr_dispatch_id 0
		.amdhsa_user_sgpr_flat_scratch_init 0
		.amdhsa_user_sgpr_kernarg_preload_length 0
		.amdhsa_user_sgpr_kernarg_preload_offset 0
		.amdhsa_user_sgpr_private_segment_size 0
		.amdhsa_uses_dynamic_stack 0
		.amdhsa_system_sgpr_private_segment_wavefront_offset 0
		.amdhsa_system_sgpr_workgroup_id_x 1
		.amdhsa_system_sgpr_workgroup_id_y 0
		.amdhsa_system_sgpr_workgroup_id_z 0
		.amdhsa_system_sgpr_workgroup_info 0
		.amdhsa_system_vgpr_workitem_id 0
		.amdhsa_next_free_vgpr 17
		.amdhsa_next_free_sgpr 27
		.amdhsa_accum_offset 20
		.amdhsa_reserve_vcc 1
		.amdhsa_reserve_flat_scratch 0
		.amdhsa_float_round_mode_32 0
		.amdhsa_float_round_mode_16_64 0
		.amdhsa_float_denorm_mode_32 3
		.amdhsa_float_denorm_mode_16_64 3
		.amdhsa_dx10_clamp 1
		.amdhsa_ieee_mode 1
		.amdhsa_fp16_overflow 0
		.amdhsa_tg_split 0
		.amdhsa_exception_fp_ieee_invalid_op 0
		.amdhsa_exception_fp_denorm_src 0
		.amdhsa_exception_fp_ieee_div_zero 0
		.amdhsa_exception_fp_ieee_overflow 0
		.amdhsa_exception_fp_ieee_underflow 0
		.amdhsa_exception_fp_ieee_inexact 0
		.amdhsa_exception_int_div_zero 0
	.end_amdhsa_kernel
	.section	.text._ZN9rocsparseL33bsr2csr_block_per_row_8_32_kernelILj1024ELj32E21rocsparse_complex_numIdEliEEv20rocsparse_direction_T3_S4_21rocsparse_index_base_PKT1_PKT2_PKS4_S4_S5_PS6_PS9_PS4_,"axG",@progbits,_ZN9rocsparseL33bsr2csr_block_per_row_8_32_kernelILj1024ELj32E21rocsparse_complex_numIdEliEEv20rocsparse_direction_T3_S4_21rocsparse_index_base_PKT1_PKT2_PKS4_S4_S5_PS6_PS9_PS4_,comdat
.Lfunc_end282:
	.size	_ZN9rocsparseL33bsr2csr_block_per_row_8_32_kernelILj1024ELj32E21rocsparse_complex_numIdEliEEv20rocsparse_direction_T3_S4_21rocsparse_index_base_PKT1_PKT2_PKS4_S4_S5_PS6_PS9_PS4_, .Lfunc_end282-_ZN9rocsparseL33bsr2csr_block_per_row_8_32_kernelILj1024ELj32E21rocsparse_complex_numIdEliEEv20rocsparse_direction_T3_S4_21rocsparse_index_base_PKT1_PKT2_PKS4_S4_S5_PS6_PS9_PS4_
                                        ; -- End function
	.section	.AMDGPU.csdata,"",@progbits
; Kernel info:
; codeLenInByte = 688
; NumSgprs: 31
; NumVgprs: 17
; NumAgprs: 0
; TotalNumVgprs: 17
; ScratchSize: 0
; MemoryBound: 0
; FloatMode: 240
; IeeeMode: 1
; LDSByteSize: 0 bytes/workgroup (compile time only)
; SGPRBlocks: 3
; VGPRBlocks: 2
; NumSGPRsForWavesPerEU: 31
; NumVGPRsForWavesPerEU: 17
; AccumOffset: 20
; Occupancy: 8
; WaveLimiterHint : 0
; COMPUTE_PGM_RSRC2:SCRATCH_EN: 0
; COMPUTE_PGM_RSRC2:USER_SGPR: 6
; COMPUTE_PGM_RSRC2:TRAP_HANDLER: 0
; COMPUTE_PGM_RSRC2:TGID_X_EN: 1
; COMPUTE_PGM_RSRC2:TGID_Y_EN: 0
; COMPUTE_PGM_RSRC2:TGID_Z_EN: 0
; COMPUTE_PGM_RSRC2:TIDIG_COMP_CNT: 0
; COMPUTE_PGM_RSRC3_GFX90A:ACCUM_OFFSET: 4
; COMPUTE_PGM_RSRC3_GFX90A:TG_SPLIT: 0
	.section	.text._ZN9rocsparseL35bsr2csr_block_per_row_33_256_kernelILj1024ELj64ELj32E21rocsparse_complex_numIdEliEEv20rocsparse_direction_T4_S4_21rocsparse_index_base_PKT2_PKT3_PKS4_S4_S5_PS6_PS9_PS4_,"axG",@progbits,_ZN9rocsparseL35bsr2csr_block_per_row_33_256_kernelILj1024ELj64ELj32E21rocsparse_complex_numIdEliEEv20rocsparse_direction_T4_S4_21rocsparse_index_base_PKT2_PKT3_PKS4_S4_S5_PS6_PS9_PS4_,comdat
	.globl	_ZN9rocsparseL35bsr2csr_block_per_row_33_256_kernelILj1024ELj64ELj32E21rocsparse_complex_numIdEliEEv20rocsparse_direction_T4_S4_21rocsparse_index_base_PKT2_PKT3_PKS4_S4_S5_PS6_PS9_PS4_ ; -- Begin function _ZN9rocsparseL35bsr2csr_block_per_row_33_256_kernelILj1024ELj64ELj32E21rocsparse_complex_numIdEliEEv20rocsparse_direction_T4_S4_21rocsparse_index_base_PKT2_PKT3_PKS4_S4_S5_PS6_PS9_PS4_
	.p2align	8
	.type	_ZN9rocsparseL35bsr2csr_block_per_row_33_256_kernelILj1024ELj64ELj32E21rocsparse_complex_numIdEliEEv20rocsparse_direction_T4_S4_21rocsparse_index_base_PKT2_PKT3_PKS4_S4_S5_PS6_PS9_PS4_,@function
_ZN9rocsparseL35bsr2csr_block_per_row_33_256_kernelILj1024ELj64ELj32E21rocsparse_complex_numIdEliEEv20rocsparse_direction_T4_S4_21rocsparse_index_base_PKT2_PKT3_PKS4_S4_S5_PS6_PS9_PS4_: ; @_ZN9rocsparseL35bsr2csr_block_per_row_33_256_kernelILj1024ELj64ELj32E21rocsparse_complex_numIdEliEEv20rocsparse_direction_T4_S4_21rocsparse_index_base_PKT2_PKT3_PKS4_S4_S5_PS6_PS9_PS4_
; %bb.0:
	s_load_dwordx2 s[2:3], s[4:5], 0x18
	s_load_dwordx2 s[12:13], s[4:5], 0x28
	;; [unrolled: 1-line block ×3, first 2 shown]
	s_ashr_i32 s7, s6, 31
	s_lshl_b64 s[8:9], s[6:7], 3
	s_waitcnt lgkmcnt(0)
	s_add_u32 s2, s2, s8
	s_addc_u32 s3, s3, s9
	s_load_dwordx4 s[8:11], s[2:3], 0x0
	v_or_b32_e32 v1, s6, v0
	s_mov_b32 s15, 0
	v_cmp_eq_u32_e32 vcc, 0, v1
	s_mov_b32 s16, s13
	s_and_saveexec_b64 s[2:3], vcc
	s_cbranch_execz .LBB283_2
; %bb.1:
	s_mov_b32 s17, s15
	v_mov_b32_e32 v1, 0
	v_pk_mov_b32 v[2:3], s[16:17], s[16:17] op_sel:[0,1]
	global_store_dwordx2 v1, v[2:3], s[0:1]
.LBB283_2:
	s_or_b64 exec, exec, s[2:3]
	s_load_dword s14, s[4:5], 0xc
	s_mul_i32 s24, s12, s12
	v_lshrrev_b32_e32 v8, 5, v0
	s_mul_i32 s25, s6, s12
	s_waitcnt lgkmcnt(0)
	s_sub_u32 s18, s8, s14
	s_subb_u32 s19, s9, 0
	s_mul_hi_u32 s2, s18, s24
	s_sub_u32 s20, s10, s14
	s_mul_i32 s3, s19, s24
	s_subb_u32 s21, s11, 0
	s_add_i32 s29, s2, s3
	s_sub_u32 s35, s20, s18
	s_subb_u32 s34, s21, s19
	s_mul_i32 s2, s34, s12
	s_mul_hi_u32 s3, s35, s12
	s_mul_i32 s28, s18, s24
	s_add_i32 s13, s3, s2
	s_add_u32 s2, s28, s16
	s_mul_i32 s17, s35, s12
	s_addc_u32 s3, s29, 0
	s_add_u32 s22, s2, s17
	s_addc_u32 s23, s3, s13
	v_cmp_gt_i32_e64 s[2:3], s12, v8
	s_and_saveexec_b64 s[6:7], s[2:3]
	s_cbranch_execz .LBB283_4
; %bb.3:
	v_pk_mov_b32 v[2:3], s[22:23], s[22:23] op_sel:[0,1]
	v_mad_u64_u32 v[2:3], s[26:27], s17, v8, v[2:3]
	v_mov_b32_e32 v4, v3
	v_mad_u64_u32 v[4:5], s[26:27], s13, v8, v[4:5]
	v_mov_b32_e32 v3, v4
	v_add_u32_e32 v4, s25, v8
	v_ashrrev_i32_e32 v5, 31, v4
	v_lshlrev_b64 v[4:5], 3, v[4:5]
	v_mov_b32_e32 v1, s1
	v_add_co_u32_e32 v4, vcc, s0, v4
	v_addc_co_u32_e32 v5, vcc, v1, v5, vcc
	global_store_dwordx2 v[4:5], v[2:3], off offset:8
.LBB283_4:
	s_or_b64 exec, exec, s[6:7]
	v_or_b32_e32 v10, 32, v8
	v_cmp_gt_i32_e64 s[6:7], s12, v10
	s_and_saveexec_b64 s[26:27], s[6:7]
	s_cbranch_execz .LBB283_6
; %bb.5:
	s_add_u32 s30, s0, 8
	v_pk_mov_b32 v[2:3], s[22:23], s[22:23] op_sel:[0,1]
	s_addc_u32 s31, s1, 0
	v_mad_u64_u32 v[2:3], s[0:1], s17, v10, v[2:3]
	v_mov_b32_e32 v4, v3
	v_mad_u64_u32 v[4:5], s[0:1], s13, v10, v[4:5]
	s_ashr_i32 s0, s25, 31
	v_mov_b32_e32 v3, v4
	v_mov_b32_e32 v1, s0
	v_add_co_u32_e32 v4, vcc, s25, v8
	v_addc_co_u32_e32 v5, vcc, 0, v1, vcc
	v_lshlrev_b64 v[4:5], 3, v[4:5]
	v_mov_b32_e32 v1, s31
	v_add_co_u32_e32 v4, vcc, s30, v4
	v_addc_co_u32_e32 v5, vcc, v1, v5, vcc
	global_store_dwordx2 v[4:5], v[2:3], off offset:256
.LBB283_6:
	s_or_b64 exec, exec, s[26:27]
	v_pk_mov_b32 v[2:3], s[10:11], s[10:11] op_sel:[0,1]
	v_cmp_lt_i64_e32 vcc, s[8:9], v[2:3]
	s_cbranch_vccz .LBB283_17
; %bb.7:
	s_load_dwordx2 s[26:27], s[4:5], 0x20
	s_load_dwordx2 s[36:37], s[4:5], 0x30
	;; [unrolled: 1-line block ×3, first 2 shown]
	s_load_dword s0, s[4:5], 0x0
	s_load_dwordx2 s[30:31], s[4:5], 0x40
	v_and_b32_e32 v12, 31, v0
	v_mul_lo_u32 v0, v8, s12
	v_mov_b32_e32 v1, 0
	s_waitcnt lgkmcnt(0)
	s_cmp_eq_u32 s0, 0
	s_cselect_b64 s[0:1], -1, 0
	s_lshl_b32 s17, s12, 5
	v_cmp_gt_i32_e32 vcc, s12, v12
	v_mov_b32_e32 v5, v1
	v_mov_b32_e32 v7, v1
	v_add_u32_e32 v2, s17, v0
	v_mov_b32_e32 v3, v1
	v_lshlrev_b64 v[0:1], 4, v[0:1]
	v_lshlrev_b32_e32 v22, 4, v12
	s_and_b64 s[10:11], s[2:3], vcc
	s_and_b64 s[22:23], s[6:7], vcc
	v_add_co_u32_e32 v0, vcc, v0, v22
	v_addc_co_u32_e32 v1, vcc, 0, v1, vcc
	v_mov_b32_e32 v9, s39
	v_add_co_u32_e32 v0, vcc, s38, v0
	v_addc_co_u32_e32 v1, vcc, v9, v1, vcc
	v_lshlrev_b64 v[2:3], 4, v[2:3]
	v_add_co_u32_e32 v2, vcc, v2, v22
	v_or_b32_e32 v13, 32, v12
	v_addc_co_u32_e32 v3, vcc, 0, v3, vcc
	v_mul_lo_u32 v4, v12, s12
	v_cmp_gt_i32_e64 s[4:5], s12, v13
	v_add_co_u32_e32 v2, vcc, s38, v2
	s_and_b64 s[2:3], s[2:3], s[4:5]
	v_add_u32_e32 v6, s17, v4
	s_and_b64 s[4:5], s[6:7], s[4:5]
	v_addc_co_u32_e32 v3, vcc, v9, v3, vcc
	v_lshlrev_b32_e32 v11, 4, v8
	v_lshlrev_b64 v[4:5], 4, v[4:5]
	s_mov_b32 s25, s15
	s_add_u32 s17, s36, 0x200
	v_add_co_u32_e32 v4, vcc, v11, v4
	s_addc_u32 s33, s37, 0
	s_lshl_b64 s[6:7], s[28:29], 4
	s_lshl_b64 s[24:25], s[24:25], 4
	v_addc_co_u32_e32 v5, vcc, 0, v5, vcc
	s_lshl_b64 s[8:9], s[8:9], 2
	s_lshl_b64 s[36:37], s[14:15], 2
	v_add_co_u32_e32 v4, vcc, s38, v4
	s_sub_u32 s8, s8, s36
	v_addc_co_u32_e32 v5, vcc, v9, v5, vcc
	v_lshlrev_b64 v[6:7], 4, v[6:7]
	s_subb_u32 s9, s9, s37
	v_add_co_u32_e32 v6, vcc, v11, v6
	s_add_u32 s8, s26, s8
	v_addc_co_u32_e32 v7, vcc, 0, v7, vcc
	s_addc_u32 s9, s27, s9
	v_mad_u64_u32 v[14:15], s[26:27], v8, s35, 0
	v_add_co_u32_e32 v6, vcc, s38, v6
	v_mov_b32_e32 v16, v15
	v_mad_u64_u32 v[18:19], s[26:27], v14, s12, 0
	v_addc_co_u32_e32 v7, vcc, v9, v7, vcc
	v_mad_u64_u32 v[8:9], s[26:27], v8, s34, v[16:17]
	v_mov_b32_e32 v14, v19
	v_mad_u64_u32 v[8:9], s[26:27], v8, s12, v[14:15]
	v_mov_b32_e32 v19, v8
	v_lshlrev_b64 v[8:9], 2, v[18:19]
	v_mov_b32_e32 v11, s31
	v_add_co_u32_e32 v8, vcc, s30, v8
	s_mov_b32 s13, s15
	v_addc_co_u32_e32 v9, vcc, v9, v11, vcc
	s_movk_i32 s15, 0x80
	v_mad_u64_u32 v[16:17], s[36:37], s35, v10, 0
	v_add_co_u32_e32 v14, vcc, s15, v8
	v_mov_b32_e32 v20, v17
	v_addc_co_u32_e32 v15, vcc, 0, v9, vcc
	s_lshl_b64 s[26:27], s[28:29], 2
	v_lshlrev_b32_e32 v8, 2, v12
	v_mad_u64_u32 v[10:11], s[34:35], s34, v10, v[20:21]
	v_mov_b32_e32 v9, s27
	v_add_co_u32_e32 v8, vcc, s26, v8
	v_mul_lo_u32 v17, v10, s12
	v_pk_mov_b32 v[10:11], s[28:29], s[28:29] op_sel:[0,1]
	v_addc_co_u32_e32 v9, vcc, 0, v9, vcc
	v_mad_u64_u32 v[10:11], s[28:29], v16, s12, v[10:11]
	v_add_u32_e32 v11, v17, v11
	v_add_co_u32_e32 v10, vcc, v10, v12
	v_addc_co_u32_e32 v11, vcc, 0, v11, vcc
	v_mad_u64_u32 v[20:21], s[34:35], v16, s12, 0
	v_lshlrev_b64 v[10:11], 4, v[10:11]
	v_add_u32_e32 v21, v21, v17
	v_mov_b32_e32 v16, s33
	v_add_co_u32_e32 v10, vcc, s17, v10
	v_addc_co_u32_e32 v11, vcc, v16, v11, vcc
	v_lshlrev_b64 v[16:17], 2, v[20:21]
	v_mov_b32_e32 v20, s31
	v_add_co_u32_e32 v16, vcc, s30, v16
	v_addc_co_u32_e32 v17, vcc, v20, v17, vcc
	v_lshlrev_b64 v[18:19], 4, v[18:19]
	v_add_co_u32_e32 v18, vcc, v18, v22
	v_addc_co_u32_e32 v19, vcc, 0, v19, vcc
	v_mov_b32_e32 v20, s7
	v_add_co_u32_e32 v18, vcc, s6, v18
	s_lshl_b64 s[26:27], s[12:13], 2
	s_lshl_b64 s[28:29], s[12:13], 4
	v_addc_co_u32_e32 v19, vcc, v20, v19, vcc
	s_branch .LBB283_9
.LBB283_8:                              ;   in Loop: Header=BB283_9 Depth=1
	s_or_b64 exec, exec, s[30:31]
	v_mov_b32_e32 v20, s25
	v_add_co_u32_e32 v0, vcc, s24, v0
	v_addc_co_u32_e32 v1, vcc, v1, v20, vcc
	v_add_co_u32_e32 v2, vcc, s24, v2
	v_addc_co_u32_e32 v3, vcc, v3, v20, vcc
	v_add_co_u32_e32 v4, vcc, s24, v4
	v_addc_co_u32_e32 v5, vcc, v5, v20, vcc
	v_add_co_u32_e32 v6, vcc, s24, v6
	v_addc_co_u32_e32 v7, vcc, v7, v20, vcc
	s_add_u32 s18, s18, 1
	v_mov_b32_e32 v20, s27
	v_add_co_u32_e32 v8, vcc, s26, v8
	s_addc_u32 s19, s19, 0
	v_addc_co_u32_e32 v9, vcc, v9, v20, vcc
	s_add_u32 s8, s8, 4
	v_mov_b32_e32 v20, s29
	v_add_co_u32_e32 v10, vcc, s28, v10
	s_addc_u32 s9, s9, 0
	v_addc_co_u32_e32 v11, vcc, v11, v20, vcc
	v_pk_mov_b32 v[20:21], s[20:21], s[20:21] op_sel:[0,1]
	s_add_u32 s17, s17, s28
	v_cmp_ge_i64_e32 vcc, s[18:19], v[20:21]
	s_addc_u32 s33, s33, s29
	s_cbranch_vccnz .LBB283_17
.LBB283_9:                              ; =>This Inner Loop Header: Depth=1
	s_load_dword s13, s[8:9], 0x0
	s_waitcnt lgkmcnt(0)
	s_sub_i32 s13, s13, s14
	s_mul_i32 s13, s13, s12
	s_add_i32 s13, s13, s16
	v_add_u32_e32 v20, s13, v12
	s_and_saveexec_b64 s[30:31], s[10:11]
	s_cbranch_execnz .LBB283_13
; %bb.10:                               ;   in Loop: Header=BB283_9 Depth=1
	s_or_b64 exec, exec, s[30:31]
	v_add_u32_e32 v21, s13, v13
	s_and_saveexec_b64 s[30:31], s[2:3]
	s_cbranch_execnz .LBB283_14
.LBB283_11:                             ;   in Loop: Header=BB283_9 Depth=1
	s_or_b64 exec, exec, s[30:31]
	s_and_saveexec_b64 s[30:31], s[22:23]
	s_cbranch_execnz .LBB283_15
.LBB283_12:                             ;   in Loop: Header=BB283_9 Depth=1
	s_or_b64 exec, exec, s[30:31]
	s_and_saveexec_b64 s[30:31], s[4:5]
	s_cbranch_execz .LBB283_8
	s_branch .LBB283_16
.LBB283_13:                             ;   in Loop: Header=BB283_9 Depth=1
	v_cndmask_b32_e64 v22, v4, v0, s[0:1]
	v_cndmask_b32_e64 v21, v5, v1, s[0:1]
	v_mov_b32_e32 v23, s7
	v_add_co_u32_e32 v22, vcc, s6, v22
	v_addc_co_u32_e32 v23, vcc, v21, v23, vcc
	global_load_dwordx4 v[22:25], v[22:23], off
	v_add_co_u32_e32 v26, vcc, v14, v8
	v_addc_co_u32_e32 v27, vcc, v15, v9, vcc
	global_store_dword v[26:27], v20, off offset:-128
	v_mov_b32_e32 v21, s33
	v_add_co_u32_e32 v26, vcc, s17, v18
	v_addc_co_u32_e32 v27, vcc, v21, v19, vcc
	s_waitcnt vmcnt(1)
	global_store_dwordx4 v[26:27], v[22:25], off offset:-512
	s_or_b64 exec, exec, s[30:31]
	v_add_u32_e32 v21, s13, v13
	s_and_saveexec_b64 s[30:31], s[2:3]
	s_cbranch_execz .LBB283_11
.LBB283_14:                             ;   in Loop: Header=BB283_9 Depth=1
	v_mov_b32_e32 v22, s7
	v_add_co_u32_e32 v23, vcc, s6, v0
	v_addc_co_u32_e32 v24, vcc, v1, v22, vcc
	v_add_co_u32_e32 v25, vcc, 0x200, v23
	v_addc_co_u32_e32 v23, vcc, 0, v24, vcc
	v_add_co_u32_e32 v24, vcc, s6, v6
	v_addc_co_u32_e32 v22, vcc, v7, v22, vcc
	v_cndmask_b32_e64 v23, v22, v23, s[0:1]
	v_cndmask_b32_e64 v22, v24, v25, s[0:1]
	global_load_dwordx4 v[22:25], v[22:23], off
	v_add_co_u32_e32 v26, vcc, v14, v8
	v_addc_co_u32_e32 v27, vcc, v15, v9, vcc
	global_store_dword v[26:27], v21, off
	v_mov_b32_e32 v27, s33
	v_add_co_u32_e32 v26, vcc, s17, v18
	v_addc_co_u32_e32 v27, vcc, v27, v19, vcc
	s_waitcnt vmcnt(1)
	global_store_dwordx4 v[26:27], v[22:25], off
	s_or_b64 exec, exec, s[30:31]
	s_and_saveexec_b64 s[30:31], s[22:23]
	s_cbranch_execz .LBB283_12
.LBB283_15:                             ;   in Loop: Header=BB283_9 Depth=1
	v_mov_b32_e32 v22, s7
	v_add_co_u32_e32 v24, vcc, s6, v2
	v_addc_co_u32_e32 v23, vcc, v3, v22, vcc
	v_add_co_u32_e32 v25, vcc, s6, v4
	v_addc_co_u32_e32 v22, vcc, v5, v22, vcc
	;; [unrolled: 2-line block ×3, first 2 shown]
	v_cndmask_b32_e64 v23, v22, v23, s[0:1]
	v_cndmask_b32_e64 v22, v25, v24, s[0:1]
	global_load_dwordx4 v[22:25], v[22:23], off
	v_add_co_u32_e32 v26, vcc, v16, v8
	v_addc_co_u32_e32 v27, vcc, v17, v9, vcc
	global_store_dword v[26:27], v20, off
	s_waitcnt vmcnt(1)
	global_store_dwordx4 v[10:11], v[22:25], off offset:-512
	s_or_b64 exec, exec, s[30:31]
	s_and_saveexec_b64 s[30:31], s[4:5]
	s_cbranch_execz .LBB283_8
.LBB283_16:                             ;   in Loop: Header=BB283_9 Depth=1
	v_cndmask_b32_e64 v22, v6, v2, s[0:1]
	v_cndmask_b32_e64 v20, v7, v3, s[0:1]
	v_mov_b32_e32 v23, s7
	v_add_co_u32_e32 v22, vcc, s6, v22
	v_addc_co_u32_e32 v23, vcc, v20, v23, vcc
	global_load_dwordx4 v[22:25], v[22:23], off offset:512
	v_add_co_u32_e32 v26, vcc, v16, v8
	v_addc_co_u32_e32 v27, vcc, v17, v9, vcc
	global_store_dword v[26:27], v21, off offset:128
	s_waitcnt vmcnt(1)
	global_store_dwordx4 v[10:11], v[22:25], off
	s_branch .LBB283_8
.LBB283_17:
	s_endpgm
	.section	.rodata,"a",@progbits
	.p2align	6, 0x0
	.amdhsa_kernel _ZN9rocsparseL35bsr2csr_block_per_row_33_256_kernelILj1024ELj64ELj32E21rocsparse_complex_numIdEliEEv20rocsparse_direction_T4_S4_21rocsparse_index_base_PKT2_PKT3_PKS4_S4_S5_PS6_PS9_PS4_
		.amdhsa_group_segment_fixed_size 0
		.amdhsa_private_segment_fixed_size 0
		.amdhsa_kernarg_size 72
		.amdhsa_user_sgpr_count 6
		.amdhsa_user_sgpr_private_segment_buffer 1
		.amdhsa_user_sgpr_dispatch_ptr 0
		.amdhsa_user_sgpr_queue_ptr 0
		.amdhsa_user_sgpr_kernarg_segment_ptr 1
		.amdhsa_user_sgpr_dispatch_id 0
		.amdhsa_user_sgpr_flat_scratch_init 0
		.amdhsa_user_sgpr_kernarg_preload_length 0
		.amdhsa_user_sgpr_kernarg_preload_offset 0
		.amdhsa_user_sgpr_private_segment_size 0
		.amdhsa_uses_dynamic_stack 0
		.amdhsa_system_sgpr_private_segment_wavefront_offset 0
		.amdhsa_system_sgpr_workgroup_id_x 1
		.amdhsa_system_sgpr_workgroup_id_y 0
		.amdhsa_system_sgpr_workgroup_id_z 0
		.amdhsa_system_sgpr_workgroup_info 0
		.amdhsa_system_vgpr_workitem_id 0
		.amdhsa_next_free_vgpr 28
		.amdhsa_next_free_sgpr 40
		.amdhsa_accum_offset 28
		.amdhsa_reserve_vcc 1
		.amdhsa_reserve_flat_scratch 0
		.amdhsa_float_round_mode_32 0
		.amdhsa_float_round_mode_16_64 0
		.amdhsa_float_denorm_mode_32 3
		.amdhsa_float_denorm_mode_16_64 3
		.amdhsa_dx10_clamp 1
		.amdhsa_ieee_mode 1
		.amdhsa_fp16_overflow 0
		.amdhsa_tg_split 0
		.amdhsa_exception_fp_ieee_invalid_op 0
		.amdhsa_exception_fp_denorm_src 0
		.amdhsa_exception_fp_ieee_div_zero 0
		.amdhsa_exception_fp_ieee_overflow 0
		.amdhsa_exception_fp_ieee_underflow 0
		.amdhsa_exception_fp_ieee_inexact 0
		.amdhsa_exception_int_div_zero 0
	.end_amdhsa_kernel
	.section	.text._ZN9rocsparseL35bsr2csr_block_per_row_33_256_kernelILj1024ELj64ELj32E21rocsparse_complex_numIdEliEEv20rocsparse_direction_T4_S4_21rocsparse_index_base_PKT2_PKT3_PKS4_S4_S5_PS6_PS9_PS4_,"axG",@progbits,_ZN9rocsparseL35bsr2csr_block_per_row_33_256_kernelILj1024ELj64ELj32E21rocsparse_complex_numIdEliEEv20rocsparse_direction_T4_S4_21rocsparse_index_base_PKT2_PKT3_PKS4_S4_S5_PS6_PS9_PS4_,comdat
.Lfunc_end283:
	.size	_ZN9rocsparseL35bsr2csr_block_per_row_33_256_kernelILj1024ELj64ELj32E21rocsparse_complex_numIdEliEEv20rocsparse_direction_T4_S4_21rocsparse_index_base_PKT2_PKT3_PKS4_S4_S5_PS6_PS9_PS4_, .Lfunc_end283-_ZN9rocsparseL35bsr2csr_block_per_row_33_256_kernelILj1024ELj64ELj32E21rocsparse_complex_numIdEliEEv20rocsparse_direction_T4_S4_21rocsparse_index_base_PKT2_PKT3_PKS4_S4_S5_PS6_PS9_PS4_
                                        ; -- End function
	.section	.AMDGPU.csdata,"",@progbits
; Kernel info:
; codeLenInByte = 1500
; NumSgprs: 44
; NumVgprs: 28
; NumAgprs: 0
; TotalNumVgprs: 28
; ScratchSize: 0
; MemoryBound: 0
; FloatMode: 240
; IeeeMode: 1
; LDSByteSize: 0 bytes/workgroup (compile time only)
; SGPRBlocks: 5
; VGPRBlocks: 3
; NumSGPRsForWavesPerEU: 44
; NumVGPRsForWavesPerEU: 28
; AccumOffset: 28
; Occupancy: 8
; WaveLimiterHint : 1
; COMPUTE_PGM_RSRC2:SCRATCH_EN: 0
; COMPUTE_PGM_RSRC2:USER_SGPR: 6
; COMPUTE_PGM_RSRC2:TRAP_HANDLER: 0
; COMPUTE_PGM_RSRC2:TGID_X_EN: 1
; COMPUTE_PGM_RSRC2:TGID_Y_EN: 0
; COMPUTE_PGM_RSRC2:TGID_Z_EN: 0
; COMPUTE_PGM_RSRC2:TIDIG_COMP_CNT: 0
; COMPUTE_PGM_RSRC3_GFX90A:ACCUM_OFFSET: 6
; COMPUTE_PGM_RSRC3_GFX90A:TG_SPLIT: 0
	.section	.text._ZN9rocsparseL35bsr2csr_block_per_row_33_256_kernelILj1024ELj128ELj32E21rocsparse_complex_numIdEliEEv20rocsparse_direction_T4_S4_21rocsparse_index_base_PKT2_PKT3_PKS4_S4_S5_PS6_PS9_PS4_,"axG",@progbits,_ZN9rocsparseL35bsr2csr_block_per_row_33_256_kernelILj1024ELj128ELj32E21rocsparse_complex_numIdEliEEv20rocsparse_direction_T4_S4_21rocsparse_index_base_PKT2_PKT3_PKS4_S4_S5_PS6_PS9_PS4_,comdat
	.globl	_ZN9rocsparseL35bsr2csr_block_per_row_33_256_kernelILj1024ELj128ELj32E21rocsparse_complex_numIdEliEEv20rocsparse_direction_T4_S4_21rocsparse_index_base_PKT2_PKT3_PKS4_S4_S5_PS6_PS9_PS4_ ; -- Begin function _ZN9rocsparseL35bsr2csr_block_per_row_33_256_kernelILj1024ELj128ELj32E21rocsparse_complex_numIdEliEEv20rocsparse_direction_T4_S4_21rocsparse_index_base_PKT2_PKT3_PKS4_S4_S5_PS6_PS9_PS4_
	.p2align	8
	.type	_ZN9rocsparseL35bsr2csr_block_per_row_33_256_kernelILj1024ELj128ELj32E21rocsparse_complex_numIdEliEEv20rocsparse_direction_T4_S4_21rocsparse_index_base_PKT2_PKT3_PKS4_S4_S5_PS6_PS9_PS4_,@function
_ZN9rocsparseL35bsr2csr_block_per_row_33_256_kernelILj1024ELj128ELj32E21rocsparse_complex_numIdEliEEv20rocsparse_direction_T4_S4_21rocsparse_index_base_PKT2_PKT3_PKS4_S4_S5_PS6_PS9_PS4_: ; @_ZN9rocsparseL35bsr2csr_block_per_row_33_256_kernelILj1024ELj128ELj32E21rocsparse_complex_numIdEliEEv20rocsparse_direction_T4_S4_21rocsparse_index_base_PKT2_PKT3_PKS4_S4_S5_PS6_PS9_PS4_
; %bb.0:
	s_load_dwordx2 s[0:1], s[4:5], 0x18
	s_load_dwordx2 s[20:21], s[4:5], 0x28
	;; [unrolled: 1-line block ×3, first 2 shown]
	s_ashr_i32 s7, s6, 31
	s_lshl_b64 s[2:3], s[6:7], 3
	s_waitcnt lgkmcnt(0)
	s_add_u32 s0, s0, s2
	s_addc_u32 s1, s1, s3
	s_load_dwordx4 s[16:19], s[0:1], 0x0
	v_or_b32_e32 v1, s6, v0
	s_mov_b32 s23, 0
	v_cmp_eq_u32_e32 vcc, 0, v1
	s_mov_b32 s24, s21
	s_and_saveexec_b64 s[0:1], vcc
	s_cbranch_execz .LBB284_2
; %bb.1:
	s_mov_b32 s25, s23
	v_mov_b32_e32 v1, 0
	v_pk_mov_b32 v[2:3], s[24:25], s[24:25] op_sel:[0,1]
	global_store_dwordx2 v1, v[2:3], s[8:9]
.LBB284_2:
	s_or_b64 exec, exec, s[0:1]
	s_load_dword s22, s[4:5], 0xc
	s_mul_i32 s56, s20, s20
	v_lshrrev_b32_e32 v1, 5, v0
	s_mul_i32 s21, s6, s20
	v_cmp_gt_i32_e64 s[2:3], s20, v1
	s_waitcnt lgkmcnt(0)
	s_sub_u32 s26, s16, s22
	s_subb_u32 s27, s17, 0
	s_mul_hi_u32 s0, s26, s56
	s_sub_u32 s28, s18, s22
	s_mul_i32 s1, s27, s56
	s_subb_u32 s29, s19, 0
	s_add_i32 s55, s0, s1
	s_sub_u32 s61, s28, s26
	s_subb_u32 s60, s29, s27
	s_mul_i32 s0, s60, s20
	s_mul_hi_u32 s1, s61, s20
	s_mul_i32 s54, s26, s56
	s_add_i32 s14, s1, s0
	s_add_u32 s0, s54, s24
	s_mul_i32 s15, s61, s20
	s_addc_u32 s1, s55, 0
	s_add_u32 s0, s0, s15
	s_addc_u32 s1, s1, s14
	s_and_saveexec_b64 s[6:7], s[2:3]
	s_cbranch_execz .LBB284_4
; %bb.3:
	v_pk_mov_b32 v[2:3], s[0:1], s[0:1] op_sel:[0,1]
	v_mad_u64_u32 v[2:3], s[10:11], s15, v1, v[2:3]
	v_mov_b32_e32 v4, v3
	v_mad_u64_u32 v[4:5], s[10:11], s14, v1, v[4:5]
	v_mov_b32_e32 v3, v4
	v_add_u32_e32 v4, s21, v1
	v_ashrrev_i32_e32 v5, 31, v4
	v_lshlrev_b64 v[4:5], 3, v[4:5]
	v_mov_b32_e32 v6, s9
	v_add_co_u32_e32 v4, vcc, s8, v4
	v_addc_co_u32_e32 v5, vcc, v6, v5, vcc
	global_store_dwordx2 v[4:5], v[2:3], off offset:8
.LBB284_4:
	s_or_b64 exec, exec, s[6:7]
	s_add_u32 s25, s8, 8
	v_or_b32_e32 v8, 32, v1
	s_addc_u32 s30, s9, 0
	v_cmp_gt_i32_e64 s[6:7], s20, v8
	s_and_saveexec_b64 s[8:9], s[6:7]
	s_cbranch_execz .LBB284_6
; %bb.5:
	v_pk_mov_b32 v[2:3], s[0:1], s[0:1] op_sel:[0,1]
	v_mad_u64_u32 v[2:3], s[10:11], s15, v8, v[2:3]
	v_mov_b32_e32 v4, v3
	v_mad_u64_u32 v[4:5], s[10:11], s14, v8, v[4:5]
	s_ashr_i32 s10, s21, 31
	v_mov_b32_e32 v3, v4
	v_mov_b32_e32 v5, s10
	v_add_co_u32_e32 v4, vcc, s21, v1
	v_addc_co_u32_e32 v5, vcc, 0, v5, vcc
	v_lshlrev_b64 v[4:5], 3, v[4:5]
	v_mov_b32_e32 v6, s30
	v_add_co_u32_e32 v4, vcc, s25, v4
	v_addc_co_u32_e32 v5, vcc, v6, v5, vcc
	global_store_dwordx2 v[4:5], v[2:3], off offset:256
.LBB284_6:
	s_or_b64 exec, exec, s[8:9]
	v_or_b32_e32 v12, 64, v1
	v_cmp_gt_i32_e64 s[8:9], s20, v12
	s_and_saveexec_b64 s[10:11], s[8:9]
	s_cbranch_execz .LBB284_8
; %bb.7:
	v_pk_mov_b32 v[2:3], s[0:1], s[0:1] op_sel:[0,1]
	v_mad_u64_u32 v[2:3], s[12:13], s15, v12, v[2:3]
	v_mov_b32_e32 v4, v3
	v_mad_u64_u32 v[4:5], s[12:13], s14, v12, v[4:5]
	s_ashr_i32 s12, s21, 31
	v_mov_b32_e32 v3, v4
	v_mov_b32_e32 v5, s12
	v_add_co_u32_e32 v4, vcc, s21, v1
	v_addc_co_u32_e32 v5, vcc, 0, v5, vcc
	v_lshlrev_b64 v[4:5], 3, v[4:5]
	v_mov_b32_e32 v6, s30
	v_add_co_u32_e32 v4, vcc, s25, v4
	v_addc_co_u32_e32 v5, vcc, v6, v5, vcc
	global_store_dwordx2 v[4:5], v[2:3], off offset:512
.LBB284_8:
	s_or_b64 exec, exec, s[10:11]
	v_or_b32_e32 v4, 0x60, v1
	v_cmp_gt_i32_e64 s[10:11], s20, v4
	s_and_saveexec_b64 s[12:13], s[10:11]
	s_cbranch_execz .LBB284_10
; %bb.9:
	v_pk_mov_b32 v[2:3], s[0:1], s[0:1] op_sel:[0,1]
	v_mad_u64_u32 v[2:3], s[0:1], s15, v4, v[2:3]
	v_mov_b32_e32 v6, v3
	v_mad_u64_u32 v[6:7], s[0:1], s14, v4, v[6:7]
	s_ashr_i32 s0, s21, 31
	v_mov_b32_e32 v3, v6
	v_mov_b32_e32 v5, s0
	v_add_co_u32_e32 v6, vcc, s21, v1
	v_addc_co_u32_e32 v7, vcc, 0, v5, vcc
	v_lshlrev_b64 v[6:7], 3, v[6:7]
	v_mov_b32_e32 v5, s30
	v_add_co_u32_e32 v6, vcc, s25, v6
	v_addc_co_u32_e32 v7, vcc, v5, v7, vcc
	global_store_dwordx2 v[6:7], v[2:3], off offset:768
.LBB284_10:
	s_or_b64 exec, exec, s[12:13]
	v_pk_mov_b32 v[2:3], s[18:19], s[18:19] op_sel:[0,1]
	v_cmp_lt_i64_e32 vcc, s[16:17], v[2:3]
	s_cbranch_vccz .LBB284_45
; %bb.11:
	s_load_dwordx2 s[58:59], s[4:5], 0x20
	s_load_dwordx2 s[18:19], s[4:5], 0x30
	;; [unrolled: 1-line block ×3, first 2 shown]
	s_load_dword s0, s[4:5], 0x0
	s_load_dwordx2 s[30:31], s[4:5], 0x40
	v_and_b32_e32 v16, 31, v0
	v_mul_lo_u32 v2, v1, s20
	v_mov_b32_e32 v3, 0
	s_waitcnt lgkmcnt(0)
	s_cmp_eq_u32 s0, 0
	s_cselect_b64 s[0:1], -1, 0
	s_lshl_b32 s25, s20, 5
	v_cmp_gt_i32_e32 vcc, s20, v16
	v_mov_b32_e32 v7, v3
	v_mov_b32_e32 v11, v3
	;; [unrolled: 1-line block ×4, first 2 shown]
	v_add_u32_e32 v22, s25, v2
	v_mov_b32_e32 v23, v3
	v_mov_b32_e32 v25, v3
	;; [unrolled: 1-line block ×3, first 2 shown]
	v_lshlrev_b64 v[2:3], 4, v[2:3]
	v_lshlrev_b32_e32 v0, 4, v16
	s_and_b64 s[34:35], s[2:3], vcc
	s_and_b64 s[40:41], s[6:7], vcc
	;; [unrolled: 1-line block ×4, first 2 shown]
	v_add_co_u32_e32 v20, vcc, v2, v0
	v_addc_co_u32_e32 v21, vcc, 0, v3, vcc
	v_lshlrev_b64 v[2:3], 4, v[22:23]
	v_add_u32_e32 v24, s25, v22
	v_add_co_u32_e32 v22, vcc, v2, v0
	v_addc_co_u32_e32 v23, vcc, 0, v3, vcc
	v_lshlrev_b64 v[2:3], 4, v[24:25]
	v_add_u32_e32 v26, s25, v24
	v_add_co_u32_e32 v24, vcc, v2, v0
	v_addc_co_u32_e32 v25, vcc, 0, v3, vcc
	v_lshlrev_b64 v[2:3], 4, v[26:27]
	v_mul_lo_u32 v6, v16, s20
	v_add_co_u32_e32 v26, vcc, v2, v0
	v_addc_co_u32_e32 v27, vcc, 0, v3, vcc
	v_lshlrev_b32_e32 v0, 4, v1
	v_lshlrev_b64 v[2:3], 4, v[6:7]
	v_add_u32_e32 v10, s25, v6
	v_add_co_u32_e32 v28, vcc, v0, v2
	v_or_b32_e32 v17, 32, v16
	v_or_b32_e32 v18, 64, v16
	;; [unrolled: 1-line block ×3, first 2 shown]
	v_addc_co_u32_e32 v29, vcc, 0, v3, vcc
	v_lshlrev_b64 v[2:3], 4, v[10:11]
	v_cmp_gt_i32_e64 s[4:5], s20, v17
	v_cmp_gt_i32_e64 s[12:13], s20, v18
	v_add_u32_e32 v14, s25, v10
	v_cmp_gt_i32_e64 s[14:15], s20, v19
	v_add_co_u32_e32 v30, vcc, v0, v2
	s_and_b64 s[36:37], s[2:3], s[4:5]
	s_and_b64 s[38:39], s[2:3], s[12:13]
	;; [unrolled: 1-line block ×12, first 2 shown]
	s_lshl_b64 s[14:15], s[54:55], 4
	v_addc_co_u32_e32 v31, vcc, 0, v3, vcc
	v_lshlrev_b64 v[2:3], 4, v[14:15]
	s_mov_b32 s57, s23
	v_add_u32_e32 v34, s25, v14
	s_add_u32 s25, s62, s14
	v_add_co_u32_e32 v32, vcc, v0, v2
	s_addc_u32 s33, s63, s15
	s_lshl_b64 s[14:15], s[56:57], 4
	v_addc_co_u32_e32 v33, vcc, 0, v3, vcc
	v_lshlrev_b64 v[2:3], 4, v[34:35]
	s_lshl_b64 s[16:17], s[16:17], 2
	s_lshl_b64 s[56:57], s[22:23], 2
	v_add_co_u32_e32 v34, vcc, v0, v2
	s_sub_u32 s16, s16, s56
	v_addc_co_u32_e32 v35, vcc, 0, v3, vcc
	s_subb_u32 s17, s17, s57
	v_mad_u64_u32 v[2:3], s[56:57], v1, s61, 0
	v_pk_mov_b32 v[14:15], s[54:55], s[54:55] op_sel:[0,1]
	v_mov_b32_e32 v0, v3
	v_mad_u64_u32 v[2:3], s[54:55], v2, s20, v[14:15]
	s_add_u32 s16, s58, s16
	v_mad_u64_u32 v[0:1], s[56:57], v1, s60, v[0:1]
	v_mov_b32_e32 v6, v3
	s_addc_u32 s17, s59, s17
	v_mad_u64_u32 v[0:1], s[54:55], v0, s20, v[6:7]
	v_mad_u64_u32 v[6:7], s[58:59], s61, v4, 0
	v_mov_b32_e32 v10, v7
	v_mad_u64_u32 v[6:7], s[58:59], v6, s20, v[14:15]
	v_mad_u64_u32 v[4:5], s[58:59], s60, v4, v[10:11]
	v_mov_b32_e32 v10, v7
	;; [unrolled: 3-line block ×3, first 2 shown]
	v_add_co_u32_e32 v2, vcc, v2, v16
	v_mov_b32_e32 v36, v11
	v_mad_u64_u32 v[10:11], s[58:59], v10, s20, v[14:15]
	v_addc_co_u32_e32 v3, vcc, 0, v1, vcc
	v_mad_u64_u32 v[8:9], s[58:59], s60, v8, v[36:37]
	v_mov_b32_e32 v36, v11
	v_mov_b32_e32 v5, v4
	v_add_co_u32_e32 v6, vcc, v6, v16
	v_mad_u64_u32 v[8:9], s[58:59], v8, s20, v[36:37]
	v_mad_u64_u32 v[36:37], s[58:59], s61, v12, 0
	v_addc_co_u32_e32 v7, vcc, 0, v5, vcc
	v_mov_b32_e32 v38, v37
	v_mad_u64_u32 v[14:15], s[58:59], v36, s20, v[14:15]
	v_mov_b32_e32 v9, v8
	v_add_co_u32_e32 v10, vcc, v10, v16
	v_mad_u64_u32 v[12:13], s[58:59], s60, v12, v[38:39]
	v_mov_b32_e32 v36, v15
	v_addc_co_u32_e32 v11, vcc, 0, v9, vcc
	v_mad_u64_u32 v[12:13], s[58:59], v12, s20, v[36:37]
	v_mov_b32_e32 v13, v12
	v_add_co_u32_e32 v14, vcc, v14, v16
	s_mov_b32 s21, s23
	v_addc_co_u32_e32 v15, vcc, 0, v13, vcc
	v_lshlrev_b64 v[0:1], 2, v[2:3]
	s_lshl_b64 s[54:55], s[20:21], 2
	v_lshlrev_b64 v[2:3], 4, v[2:3]
	s_lshl_b64 s[56:57], s[20:21], 4
	v_lshlrev_b64 v[4:5], 4, v[6:7]
	v_lshlrev_b64 v[6:7], 2, v[6:7]
	;; [unrolled: 1-line block ×6, first 2 shown]
	s_branch .LBB284_13
.LBB284_12:                             ;   in Loop: Header=BB284_13 Depth=1
	s_or_b64 exec, exec, s[58:59]
	s_add_u32 s26, s26, 1
	s_addc_u32 s27, s27, 0
	s_add_u32 s25, s25, s14
	s_addc_u32 s33, s33, s15
	;; [unrolled: 2-line block ×4, first 2 shown]
	v_pk_mov_b32 v[36:37], s[28:29], s[28:29] op_sel:[0,1]
	s_add_u32 s18, s18, s56
	v_cmp_ge_i64_e32 vcc, s[26:27], v[36:37]
	s_addc_u32 s19, s19, s57
	s_cbranch_vccnz .LBB284_45
.LBB284_13:                             ; =>This Inner Loop Header: Depth=1
	s_load_dword s21, s[16:17], 0x0
	s_waitcnt lgkmcnt(0)
	s_sub_i32 s21, s21, s22
	s_mul_i32 s21, s21, s20
	s_add_i32 s21, s21, s24
	v_add_u32_e32 v39, s21, v16
	s_and_saveexec_b64 s[58:59], s[34:35]
	s_cbranch_execnz .LBB284_29
; %bb.14:                               ;   in Loop: Header=BB284_13 Depth=1
	s_or_b64 exec, exec, s[58:59]
	v_add_u32_e32 v37, s21, v17
	s_and_saveexec_b64 s[58:59], s[36:37]
	s_cbranch_execnz .LBB284_30
.LBB284_15:                             ;   in Loop: Header=BB284_13 Depth=1
	s_or_b64 exec, exec, s[58:59]
	v_add_u32_e32 v36, s21, v18
	s_and_saveexec_b64 s[58:59], s[38:39]
	s_cbranch_execnz .LBB284_31
.LBB284_16:                             ;   in Loop: Header=BB284_13 Depth=1
	s_or_b64 exec, exec, s[58:59]
	v_add_u32_e32 v38, s21, v19
	s_and_saveexec_b64 s[58:59], s[2:3]
	s_cbranch_execnz .LBB284_32
.LBB284_17:                             ;   in Loop: Header=BB284_13 Depth=1
	s_or_b64 exec, exec, s[58:59]
	s_and_saveexec_b64 s[58:59], s[40:41]
	s_cbranch_execnz .LBB284_33
.LBB284_18:                             ;   in Loop: Header=BB284_13 Depth=1
	s_or_b64 exec, exec, s[58:59]
	s_and_saveexec_b64 s[58:59], s[42:43]
	s_cbranch_execnz .LBB284_34
.LBB284_19:                             ;   in Loop: Header=BB284_13 Depth=1
	s_or_b64 exec, exec, s[58:59]
	s_and_saveexec_b64 s[58:59], s[44:45]
	s_cbranch_execnz .LBB284_35
.LBB284_20:                             ;   in Loop: Header=BB284_13 Depth=1
	s_or_b64 exec, exec, s[58:59]
	s_and_saveexec_b64 s[58:59], s[6:7]
	s_cbranch_execnz .LBB284_36
.LBB284_21:                             ;   in Loop: Header=BB284_13 Depth=1
	s_or_b64 exec, exec, s[58:59]
	s_and_saveexec_b64 s[58:59], s[46:47]
	s_cbranch_execnz .LBB284_37
.LBB284_22:                             ;   in Loop: Header=BB284_13 Depth=1
	s_or_b64 exec, exec, s[58:59]
	s_and_saveexec_b64 s[58:59], s[48:49]
	s_cbranch_execnz .LBB284_38
.LBB284_23:                             ;   in Loop: Header=BB284_13 Depth=1
	s_or_b64 exec, exec, s[58:59]
	s_and_saveexec_b64 s[58:59], s[50:51]
	s_cbranch_execnz .LBB284_39
.LBB284_24:                             ;   in Loop: Header=BB284_13 Depth=1
	s_or_b64 exec, exec, s[58:59]
	s_and_saveexec_b64 s[58:59], s[8:9]
	s_cbranch_execnz .LBB284_40
.LBB284_25:                             ;   in Loop: Header=BB284_13 Depth=1
	s_or_b64 exec, exec, s[58:59]
	s_and_saveexec_b64 s[58:59], s[52:53]
	s_cbranch_execnz .LBB284_41
.LBB284_26:                             ;   in Loop: Header=BB284_13 Depth=1
	s_or_b64 exec, exec, s[58:59]
	s_and_saveexec_b64 s[58:59], s[4:5]
	s_cbranch_execnz .LBB284_42
.LBB284_27:                             ;   in Loop: Header=BB284_13 Depth=1
	s_or_b64 exec, exec, s[58:59]
	s_and_saveexec_b64 s[58:59], s[12:13]
	s_cbranch_execnz .LBB284_43
.LBB284_28:                             ;   in Loop: Header=BB284_13 Depth=1
	s_or_b64 exec, exec, s[58:59]
	s_and_saveexec_b64 s[58:59], s[10:11]
	s_cbranch_execz .LBB284_12
	s_branch .LBB284_44
.LBB284_29:                             ;   in Loop: Header=BB284_13 Depth=1
	v_cndmask_b32_e64 v36, v28, v20, s[0:1]
	v_cndmask_b32_e64 v37, v29, v21, s[0:1]
	v_mov_b32_e32 v38, s33
	v_add_co_u32_e32 v36, vcc, s25, v36
	v_addc_co_u32_e32 v37, vcc, v38, v37, vcc
	global_load_dwordx4 v[40:43], v[36:37], off
	v_mov_b32_e32 v37, s31
	v_add_co_u32_e32 v36, vcc, s30, v0
	v_addc_co_u32_e32 v37, vcc, v37, v1, vcc
	global_store_dword v[36:37], v39, off
	v_mov_b32_e32 v37, s19
	v_add_co_u32_e32 v36, vcc, s18, v2
	v_addc_co_u32_e32 v37, vcc, v37, v3, vcc
	s_waitcnt vmcnt(1)
	global_store_dwordx4 v[36:37], v[40:43], off
	s_or_b64 exec, exec, s[58:59]
	v_add_u32_e32 v37, s21, v17
	s_and_saveexec_b64 s[58:59], s[36:37]
	s_cbranch_execz .LBB284_15
.LBB284_30:                             ;   in Loop: Header=BB284_13 Depth=1
	v_mov_b32_e32 v36, s33
	v_add_co_u32_e32 v38, vcc, s25, v20
	v_addc_co_u32_e32 v40, vcc, v36, v21, vcc
	v_add_co_u32_e32 v38, vcc, 0x200, v38
	v_addc_co_u32_e32 v40, vcc, 0, v40, vcc
	v_add_co_u32_e32 v42, vcc, s25, v30
	v_addc_co_u32_e32 v36, vcc, v36, v31, vcc
	v_cndmask_b32_e64 v41, v36, v40, s[0:1]
	v_cndmask_b32_e64 v40, v42, v38, s[0:1]
	global_load_dwordx4 v[40:43], v[40:41], off
	v_mov_b32_e32 v36, s31
	v_add_co_u32_e32 v44, vcc, s30, v0
	v_addc_co_u32_e32 v45, vcc, v36, v1, vcc
	global_store_dword v[44:45], v37, off offset:128
	v_mov_b32_e32 v36, s19
	v_add_co_u32_e32 v44, vcc, s18, v2
	v_addc_co_u32_e32 v45, vcc, v36, v3, vcc
	s_waitcnt vmcnt(1)
	global_store_dwordx4 v[44:45], v[40:43], off offset:512
	s_or_b64 exec, exec, s[58:59]
	v_add_u32_e32 v36, s21, v18
	s_and_saveexec_b64 s[58:59], s[38:39]
	s_cbranch_execz .LBB284_16
.LBB284_31:                             ;   in Loop: Header=BB284_13 Depth=1
	v_mov_b32_e32 v38, s33
	v_add_co_u32_e32 v40, vcc, s25, v20
	v_addc_co_u32_e32 v41, vcc, v38, v21, vcc
	v_add_co_u32_e32 v40, vcc, 0x400, v40
	v_addc_co_u32_e32 v41, vcc, 0, v41, vcc
	;; [unrolled: 2-line block ×3, first 2 shown]
	v_cndmask_b32_e64 v41, v38, v41, s[0:1]
	v_cndmask_b32_e64 v40, v42, v40, s[0:1]
	global_load_dwordx4 v[40:43], v[40:41], off
	v_mov_b32_e32 v38, s31
	v_add_co_u32_e32 v44, vcc, s30, v0
	v_addc_co_u32_e32 v45, vcc, v38, v1, vcc
	global_store_dword v[44:45], v36, off offset:256
	v_mov_b32_e32 v38, s19
	v_add_co_u32_e32 v44, vcc, s18, v2
	v_addc_co_u32_e32 v45, vcc, v38, v3, vcc
	s_waitcnt vmcnt(1)
	global_store_dwordx4 v[44:45], v[40:43], off offset:1024
	s_or_b64 exec, exec, s[58:59]
	v_add_u32_e32 v38, s21, v19
	s_and_saveexec_b64 s[58:59], s[2:3]
	s_cbranch_execz .LBB284_17
.LBB284_32:                             ;   in Loop: Header=BB284_13 Depth=1
	v_mov_b32_e32 v40, s33
	v_add_co_u32_e32 v41, vcc, s25, v20
	v_addc_co_u32_e32 v42, vcc, v40, v21, vcc
	v_add_co_u32_e32 v43, vcc, 0x600, v41
	v_addc_co_u32_e32 v41, vcc, 0, v42, vcc
	;; [unrolled: 2-line block ×3, first 2 shown]
	v_cndmask_b32_e64 v41, v40, v41, s[0:1]
	v_cndmask_b32_e64 v40, v42, v43, s[0:1]
	global_load_dwordx4 v[40:43], v[40:41], off
	v_mov_b32_e32 v45, s31
	v_add_co_u32_e32 v44, vcc, s30, v0
	v_addc_co_u32_e32 v45, vcc, v45, v1, vcc
	global_store_dword v[44:45], v38, off offset:384
	v_mov_b32_e32 v45, s19
	v_add_co_u32_e32 v44, vcc, s18, v2
	v_addc_co_u32_e32 v45, vcc, v45, v3, vcc
	s_waitcnt vmcnt(1)
	global_store_dwordx4 v[44:45], v[40:43], off offset:1536
	s_or_b64 exec, exec, s[58:59]
	s_and_saveexec_b64 s[58:59], s[40:41]
	s_cbranch_execz .LBB284_18
.LBB284_33:                             ;   in Loop: Header=BB284_13 Depth=1
	v_mov_b32_e32 v40, s33
	v_add_co_u32_e32 v42, vcc, s25, v22
	v_addc_co_u32_e32 v41, vcc, v40, v23, vcc
	v_add_co_u32_e32 v43, vcc, s25, v28
	v_addc_co_u32_e32 v40, vcc, v40, v29, vcc
	;; [unrolled: 2-line block ×3, first 2 shown]
	v_cndmask_b32_e64 v41, v40, v41, s[0:1]
	v_cndmask_b32_e64 v40, v43, v42, s[0:1]
	global_load_dwordx4 v[40:43], v[40:41], off
	v_mov_b32_e32 v45, s31
	v_add_co_u32_e32 v44, vcc, s30, v8
	v_addc_co_u32_e32 v45, vcc, v45, v9, vcc
	global_store_dword v[44:45], v39, off
	v_mov_b32_e32 v45, s19
	v_add_co_u32_e32 v44, vcc, s18, v10
	v_addc_co_u32_e32 v45, vcc, v45, v11, vcc
	s_waitcnt vmcnt(1)
	global_store_dwordx4 v[44:45], v[40:43], off
	s_or_b64 exec, exec, s[58:59]
	s_and_saveexec_b64 s[58:59], s[42:43]
	s_cbranch_execz .LBB284_19
.LBB284_34:                             ;   in Loop: Header=BB284_13 Depth=1
	v_cndmask_b32_e64 v40, v30, v22, s[0:1]
	v_cndmask_b32_e64 v41, v31, v23, s[0:1]
	v_mov_b32_e32 v42, s33
	v_add_co_u32_e32 v40, vcc, s25, v40
	v_addc_co_u32_e32 v41, vcc, v42, v41, vcc
	global_load_dwordx4 v[40:43], v[40:41], off offset:512
	v_mov_b32_e32 v45, s31
	v_add_co_u32_e32 v44, vcc, s30, v8
	v_addc_co_u32_e32 v45, vcc, v45, v9, vcc
	global_store_dword v[44:45], v37, off offset:128
	v_mov_b32_e32 v45, s19
	v_add_co_u32_e32 v44, vcc, s18, v10
	v_addc_co_u32_e32 v45, vcc, v45, v11, vcc
	s_waitcnt vmcnt(1)
	global_store_dwordx4 v[44:45], v[40:43], off offset:512
	s_or_b64 exec, exec, s[58:59]
	s_and_saveexec_b64 s[58:59], s[44:45]
	s_cbranch_execz .LBB284_20
.LBB284_35:                             ;   in Loop: Header=BB284_13 Depth=1
	v_mov_b32_e32 v40, s33
	v_add_co_u32_e32 v41, vcc, s25, v22
	v_addc_co_u32_e32 v42, vcc, v40, v23, vcc
	v_add_co_u32_e32 v43, vcc, 0x400, v41
	v_addc_co_u32_e32 v41, vcc, 0, v42, vcc
	;; [unrolled: 2-line block ×4, first 2 shown]
	v_cndmask_b32_e64 v41, v40, v41, s[0:1]
	v_cndmask_b32_e64 v40, v42, v43, s[0:1]
	global_load_dwordx4 v[40:43], v[40:41], off
	v_mov_b32_e32 v45, s31
	v_add_co_u32_e32 v44, vcc, s30, v8
	v_addc_co_u32_e32 v45, vcc, v45, v9, vcc
	global_store_dword v[44:45], v36, off offset:256
	v_mov_b32_e32 v45, s19
	v_add_co_u32_e32 v44, vcc, s18, v10
	v_addc_co_u32_e32 v45, vcc, v45, v11, vcc
	s_waitcnt vmcnt(1)
	global_store_dwordx4 v[44:45], v[40:43], off offset:1024
	s_or_b64 exec, exec, s[58:59]
	s_and_saveexec_b64 s[58:59], s[6:7]
	s_cbranch_execz .LBB284_21
.LBB284_36:                             ;   in Loop: Header=BB284_13 Depth=1
	v_mov_b32_e32 v40, s33
	v_add_co_u32_e32 v41, vcc, s25, v22
	v_addc_co_u32_e32 v42, vcc, v40, v23, vcc
	v_add_co_u32_e32 v43, vcc, 0x600, v41
	v_addc_co_u32_e32 v41, vcc, 0, v42, vcc
	;; [unrolled: 2-line block ×4, first 2 shown]
	v_cndmask_b32_e64 v41, v40, v41, s[0:1]
	v_cndmask_b32_e64 v40, v42, v43, s[0:1]
	global_load_dwordx4 v[40:43], v[40:41], off
	v_mov_b32_e32 v45, s31
	v_add_co_u32_e32 v44, vcc, s30, v8
	v_addc_co_u32_e32 v45, vcc, v45, v9, vcc
	global_store_dword v[44:45], v38, off offset:384
	v_mov_b32_e32 v45, s19
	v_add_co_u32_e32 v44, vcc, s18, v10
	v_addc_co_u32_e32 v45, vcc, v45, v11, vcc
	s_waitcnt vmcnt(1)
	global_store_dwordx4 v[44:45], v[40:43], off offset:1536
	s_or_b64 exec, exec, s[58:59]
	s_and_saveexec_b64 s[58:59], s[46:47]
	s_cbranch_execz .LBB284_22
.LBB284_37:                             ;   in Loop: Header=BB284_13 Depth=1
	v_mov_b32_e32 v40, s33
	v_add_co_u32_e32 v42, vcc, s25, v24
	v_addc_co_u32_e32 v41, vcc, v40, v25, vcc
	v_add_co_u32_e32 v43, vcc, s25, v28
	v_addc_co_u32_e32 v40, vcc, v40, v29, vcc
	;; [unrolled: 2-line block ×3, first 2 shown]
	v_cndmask_b32_e64 v41, v40, v41, s[0:1]
	v_cndmask_b32_e64 v40, v43, v42, s[0:1]
	global_load_dwordx4 v[40:43], v[40:41], off
	v_mov_b32_e32 v45, s31
	v_add_co_u32_e32 v44, vcc, s30, v14
	v_addc_co_u32_e32 v45, vcc, v45, v15, vcc
	global_store_dword v[44:45], v39, off
	v_mov_b32_e32 v45, s19
	v_add_co_u32_e32 v44, vcc, s18, v12
	v_addc_co_u32_e32 v45, vcc, v45, v13, vcc
	s_waitcnt vmcnt(1)
	global_store_dwordx4 v[44:45], v[40:43], off
	s_or_b64 exec, exec, s[58:59]
	s_and_saveexec_b64 s[58:59], s[48:49]
	s_cbranch_execz .LBB284_23
.LBB284_38:                             ;   in Loop: Header=BB284_13 Depth=1
	v_mov_b32_e32 v40, s33
	v_add_co_u32_e32 v41, vcc, s25, v24
	v_addc_co_u32_e32 v42, vcc, v40, v25, vcc
	v_add_co_u32_e32 v43, vcc, 0x200, v41
	v_addc_co_u32_e32 v41, vcc, 0, v42, vcc
	;; [unrolled: 2-line block ×4, first 2 shown]
	v_cndmask_b32_e64 v41, v40, v41, s[0:1]
	v_cndmask_b32_e64 v40, v42, v43, s[0:1]
	global_load_dwordx4 v[40:43], v[40:41], off
	v_mov_b32_e32 v45, s31
	v_add_co_u32_e32 v44, vcc, s30, v14
	v_addc_co_u32_e32 v45, vcc, v45, v15, vcc
	global_store_dword v[44:45], v37, off offset:128
	v_mov_b32_e32 v45, s19
	v_add_co_u32_e32 v44, vcc, s18, v12
	v_addc_co_u32_e32 v45, vcc, v45, v13, vcc
	s_waitcnt vmcnt(1)
	global_store_dwordx4 v[44:45], v[40:43], off offset:512
	s_or_b64 exec, exec, s[58:59]
	s_and_saveexec_b64 s[58:59], s[50:51]
	s_cbranch_execz .LBB284_24
.LBB284_39:                             ;   in Loop: Header=BB284_13 Depth=1
	v_cndmask_b32_e64 v40, v32, v24, s[0:1]
	v_cndmask_b32_e64 v41, v33, v25, s[0:1]
	v_mov_b32_e32 v42, s33
	v_add_co_u32_e32 v40, vcc, s25, v40
	v_addc_co_u32_e32 v41, vcc, v42, v41, vcc
	global_load_dwordx4 v[40:43], v[40:41], off offset:1024
	v_mov_b32_e32 v45, s31
	v_add_co_u32_e32 v44, vcc, s30, v14
	v_addc_co_u32_e32 v45, vcc, v45, v15, vcc
	global_store_dword v[44:45], v36, off offset:256
	v_mov_b32_e32 v45, s19
	v_add_co_u32_e32 v44, vcc, s18, v12
	v_addc_co_u32_e32 v45, vcc, v45, v13, vcc
	s_waitcnt vmcnt(1)
	global_store_dwordx4 v[44:45], v[40:43], off offset:1024
	s_or_b64 exec, exec, s[58:59]
	s_and_saveexec_b64 s[58:59], s[8:9]
	s_cbranch_execz .LBB284_25
.LBB284_40:                             ;   in Loop: Header=BB284_13 Depth=1
	v_mov_b32_e32 v40, s33
	v_add_co_u32_e32 v41, vcc, s25, v24
	v_addc_co_u32_e32 v42, vcc, v40, v25, vcc
	v_add_co_u32_e32 v43, vcc, 0x600, v41
	v_addc_co_u32_e32 v41, vcc, 0, v42, vcc
	;; [unrolled: 2-line block ×4, first 2 shown]
	v_cndmask_b32_e64 v41, v40, v41, s[0:1]
	v_cndmask_b32_e64 v40, v42, v43, s[0:1]
	global_load_dwordx4 v[40:43], v[40:41], off
	v_mov_b32_e32 v45, s31
	v_add_co_u32_e32 v44, vcc, s30, v14
	v_addc_co_u32_e32 v45, vcc, v45, v15, vcc
	global_store_dword v[44:45], v38, off offset:384
	v_mov_b32_e32 v45, s19
	v_add_co_u32_e32 v44, vcc, s18, v12
	v_addc_co_u32_e32 v45, vcc, v45, v13, vcc
	s_waitcnt vmcnt(1)
	global_store_dwordx4 v[44:45], v[40:43], off offset:1536
	s_or_b64 exec, exec, s[58:59]
	s_and_saveexec_b64 s[58:59], s[52:53]
	s_cbranch_execz .LBB284_26
.LBB284_41:                             ;   in Loop: Header=BB284_13 Depth=1
	v_mov_b32_e32 v40, s33
	v_add_co_u32_e32 v42, vcc, s25, v26
	v_addc_co_u32_e32 v41, vcc, v40, v27, vcc
	v_add_co_u32_e32 v43, vcc, s25, v28
	v_addc_co_u32_e32 v40, vcc, v40, v29, vcc
	;; [unrolled: 2-line block ×3, first 2 shown]
	v_cndmask_b32_e64 v41, v40, v41, s[0:1]
	v_cndmask_b32_e64 v40, v43, v42, s[0:1]
	global_load_dwordx4 v[40:43], v[40:41], off
	v_mov_b32_e32 v45, s31
	v_add_co_u32_e32 v44, vcc, s30, v6
	v_addc_co_u32_e32 v45, vcc, v45, v7, vcc
	global_store_dword v[44:45], v39, off
	v_mov_b32_e32 v39, s19
	v_add_co_u32_e32 v44, vcc, s18, v4
	v_addc_co_u32_e32 v45, vcc, v39, v5, vcc
	s_waitcnt vmcnt(1)
	global_store_dwordx4 v[44:45], v[40:43], off
	s_or_b64 exec, exec, s[58:59]
	s_and_saveexec_b64 s[58:59], s[4:5]
	s_cbranch_execz .LBB284_27
.LBB284_42:                             ;   in Loop: Header=BB284_13 Depth=1
	v_mov_b32_e32 v39, s33
	v_add_co_u32_e32 v40, vcc, s25, v26
	v_addc_co_u32_e32 v41, vcc, v39, v27, vcc
	v_add_co_u32_e32 v40, vcc, 0x200, v40
	v_addc_co_u32_e32 v41, vcc, 0, v41, vcc
	;; [unrolled: 2-line block ×4, first 2 shown]
	v_cndmask_b32_e64 v41, v39, v41, s[0:1]
	v_cndmask_b32_e64 v40, v42, v40, s[0:1]
	global_load_dwordx4 v[40:43], v[40:41], off
	v_mov_b32_e32 v39, s31
	v_add_co_u32_e32 v44, vcc, s30, v6
	v_addc_co_u32_e32 v45, vcc, v39, v7, vcc
	global_store_dword v[44:45], v37, off offset:128
	v_mov_b32_e32 v37, s19
	v_add_co_u32_e32 v44, vcc, s18, v4
	v_addc_co_u32_e32 v45, vcc, v37, v5, vcc
	s_waitcnt vmcnt(1)
	global_store_dwordx4 v[44:45], v[40:43], off offset:512
	s_or_b64 exec, exec, s[58:59]
	s_and_saveexec_b64 s[58:59], s[12:13]
	s_cbranch_execz .LBB284_28
.LBB284_43:                             ;   in Loop: Header=BB284_13 Depth=1
	v_mov_b32_e32 v37, s33
	v_add_co_u32_e32 v39, vcc, s25, v26
	v_addc_co_u32_e32 v40, vcc, v37, v27, vcc
	v_add_co_u32_e32 v39, vcc, 0x400, v39
	v_addc_co_u32_e32 v40, vcc, 0, v40, vcc
	;; [unrolled: 2-line block ×4, first 2 shown]
	v_cndmask_b32_e64 v41, v37, v40, s[0:1]
	v_cndmask_b32_e64 v40, v42, v39, s[0:1]
	global_load_dwordx4 v[40:43], v[40:41], off
	v_mov_b32_e32 v37, s31
	v_add_co_u32_e32 v44, vcc, s30, v6
	v_addc_co_u32_e32 v45, vcc, v37, v7, vcc
	global_store_dword v[44:45], v36, off offset:256
	v_mov_b32_e32 v37, s19
	v_add_co_u32_e32 v36, vcc, s18, v4
	v_addc_co_u32_e32 v37, vcc, v37, v5, vcc
	s_waitcnt vmcnt(1)
	global_store_dwordx4 v[36:37], v[40:43], off offset:1024
	s_or_b64 exec, exec, s[58:59]
	s_and_saveexec_b64 s[58:59], s[10:11]
	s_cbranch_execz .LBB284_12
.LBB284_44:                             ;   in Loop: Header=BB284_13 Depth=1
	v_cndmask_b32_e64 v36, v34, v26, s[0:1]
	v_cndmask_b32_e64 v37, v35, v27, s[0:1]
	v_mov_b32_e32 v39, s33
	v_add_co_u32_e32 v36, vcc, s25, v36
	v_addc_co_u32_e32 v37, vcc, v39, v37, vcc
	global_load_dwordx4 v[40:43], v[36:37], off offset:1536
	v_mov_b32_e32 v37, s31
	v_add_co_u32_e32 v36, vcc, s30, v6
	v_addc_co_u32_e32 v37, vcc, v37, v7, vcc
	global_store_dword v[36:37], v38, off offset:384
	v_mov_b32_e32 v37, s19
	v_add_co_u32_e32 v36, vcc, s18, v4
	v_addc_co_u32_e32 v37, vcc, v37, v5, vcc
	s_waitcnt vmcnt(1)
	global_store_dwordx4 v[36:37], v[40:43], off offset:1536
	s_branch .LBB284_12
.LBB284_45:
	s_endpgm
	.section	.rodata,"a",@progbits
	.p2align	6, 0x0
	.amdhsa_kernel _ZN9rocsparseL35bsr2csr_block_per_row_33_256_kernelILj1024ELj128ELj32E21rocsparse_complex_numIdEliEEv20rocsparse_direction_T4_S4_21rocsparse_index_base_PKT2_PKT3_PKS4_S4_S5_PS6_PS9_PS4_
		.amdhsa_group_segment_fixed_size 0
		.amdhsa_private_segment_fixed_size 0
		.amdhsa_kernarg_size 72
		.amdhsa_user_sgpr_count 6
		.amdhsa_user_sgpr_private_segment_buffer 1
		.amdhsa_user_sgpr_dispatch_ptr 0
		.amdhsa_user_sgpr_queue_ptr 0
		.amdhsa_user_sgpr_kernarg_segment_ptr 1
		.amdhsa_user_sgpr_dispatch_id 0
		.amdhsa_user_sgpr_flat_scratch_init 0
		.amdhsa_user_sgpr_kernarg_preload_length 0
		.amdhsa_user_sgpr_kernarg_preload_offset 0
		.amdhsa_user_sgpr_private_segment_size 0
		.amdhsa_uses_dynamic_stack 0
		.amdhsa_system_sgpr_private_segment_wavefront_offset 0
		.amdhsa_system_sgpr_workgroup_id_x 1
		.amdhsa_system_sgpr_workgroup_id_y 0
		.amdhsa_system_sgpr_workgroup_id_z 0
		.amdhsa_system_sgpr_workgroup_info 0
		.amdhsa_system_vgpr_workitem_id 0
		.amdhsa_next_free_vgpr 46
		.amdhsa_next_free_sgpr 64
		.amdhsa_accum_offset 48
		.amdhsa_reserve_vcc 1
		.amdhsa_reserve_flat_scratch 0
		.amdhsa_float_round_mode_32 0
		.amdhsa_float_round_mode_16_64 0
		.amdhsa_float_denorm_mode_32 3
		.amdhsa_float_denorm_mode_16_64 3
		.amdhsa_dx10_clamp 1
		.amdhsa_ieee_mode 1
		.amdhsa_fp16_overflow 0
		.amdhsa_tg_split 0
		.amdhsa_exception_fp_ieee_invalid_op 0
		.amdhsa_exception_fp_denorm_src 0
		.amdhsa_exception_fp_ieee_div_zero 0
		.amdhsa_exception_fp_ieee_overflow 0
		.amdhsa_exception_fp_ieee_underflow 0
		.amdhsa_exception_fp_ieee_inexact 0
		.amdhsa_exception_int_div_zero 0
	.end_amdhsa_kernel
	.section	.text._ZN9rocsparseL35bsr2csr_block_per_row_33_256_kernelILj1024ELj128ELj32E21rocsparse_complex_numIdEliEEv20rocsparse_direction_T4_S4_21rocsparse_index_base_PKT2_PKT3_PKS4_S4_S5_PS6_PS9_PS4_,"axG",@progbits,_ZN9rocsparseL35bsr2csr_block_per_row_33_256_kernelILj1024ELj128ELj32E21rocsparse_complex_numIdEliEEv20rocsparse_direction_T4_S4_21rocsparse_index_base_PKT2_PKT3_PKS4_S4_S5_PS6_PS9_PS4_,comdat
.Lfunc_end284:
	.size	_ZN9rocsparseL35bsr2csr_block_per_row_33_256_kernelILj1024ELj128ELj32E21rocsparse_complex_numIdEliEEv20rocsparse_direction_T4_S4_21rocsparse_index_base_PKT2_PKT3_PKS4_S4_S5_PS6_PS9_PS4_, .Lfunc_end284-_ZN9rocsparseL35bsr2csr_block_per_row_33_256_kernelILj1024ELj128ELj32E21rocsparse_complex_numIdEliEEv20rocsparse_direction_T4_S4_21rocsparse_index_base_PKT2_PKT3_PKS4_S4_S5_PS6_PS9_PS4_
                                        ; -- End function
	.section	.AMDGPU.csdata,"",@progbits
; Kernel info:
; codeLenInByte = 3416
; NumSgprs: 68
; NumVgprs: 46
; NumAgprs: 0
; TotalNumVgprs: 46
; ScratchSize: 0
; MemoryBound: 0
; FloatMode: 240
; IeeeMode: 1
; LDSByteSize: 0 bytes/workgroup (compile time only)
; SGPRBlocks: 8
; VGPRBlocks: 5
; NumSGPRsForWavesPerEU: 68
; NumVGPRsForWavesPerEU: 46
; AccumOffset: 48
; Occupancy: 8
; WaveLimiterHint : 1
; COMPUTE_PGM_RSRC2:SCRATCH_EN: 0
; COMPUTE_PGM_RSRC2:USER_SGPR: 6
; COMPUTE_PGM_RSRC2:TRAP_HANDLER: 0
; COMPUTE_PGM_RSRC2:TGID_X_EN: 1
; COMPUTE_PGM_RSRC2:TGID_Y_EN: 0
; COMPUTE_PGM_RSRC2:TGID_Z_EN: 0
; COMPUTE_PGM_RSRC2:TIDIG_COMP_CNT: 0
; COMPUTE_PGM_RSRC3_GFX90A:ACCUM_OFFSET: 11
; COMPUTE_PGM_RSRC3_GFX90A:TG_SPLIT: 0
	.section	.text._ZN9rocsparseL35bsr2csr_block_per_row_33_256_kernelILj1024ELj256ELj32E21rocsparse_complex_numIdEliEEv20rocsparse_direction_T4_S4_21rocsparse_index_base_PKT2_PKT3_PKS4_S4_S5_PS6_PS9_PS4_,"axG",@progbits,_ZN9rocsparseL35bsr2csr_block_per_row_33_256_kernelILj1024ELj256ELj32E21rocsparse_complex_numIdEliEEv20rocsparse_direction_T4_S4_21rocsparse_index_base_PKT2_PKT3_PKS4_S4_S5_PS6_PS9_PS4_,comdat
	.globl	_ZN9rocsparseL35bsr2csr_block_per_row_33_256_kernelILj1024ELj256ELj32E21rocsparse_complex_numIdEliEEv20rocsparse_direction_T4_S4_21rocsparse_index_base_PKT2_PKT3_PKS4_S4_S5_PS6_PS9_PS4_ ; -- Begin function _ZN9rocsparseL35bsr2csr_block_per_row_33_256_kernelILj1024ELj256ELj32E21rocsparse_complex_numIdEliEEv20rocsparse_direction_T4_S4_21rocsparse_index_base_PKT2_PKT3_PKS4_S4_S5_PS6_PS9_PS4_
	.p2align	8
	.type	_ZN9rocsparseL35bsr2csr_block_per_row_33_256_kernelILj1024ELj256ELj32E21rocsparse_complex_numIdEliEEv20rocsparse_direction_T4_S4_21rocsparse_index_base_PKT2_PKT3_PKS4_S4_S5_PS6_PS9_PS4_,@function
_ZN9rocsparseL35bsr2csr_block_per_row_33_256_kernelILj1024ELj256ELj32E21rocsparse_complex_numIdEliEEv20rocsparse_direction_T4_S4_21rocsparse_index_base_PKT2_PKT3_PKS4_S4_S5_PS6_PS9_PS4_: ; @_ZN9rocsparseL35bsr2csr_block_per_row_33_256_kernelILj1024ELj256ELj32E21rocsparse_complex_numIdEliEEv20rocsparse_direction_T4_S4_21rocsparse_index_base_PKT2_PKT3_PKS4_S4_S5_PS6_PS9_PS4_
; %bb.0:
	s_load_dwordx2 s[0:1], s[4:5], 0x18
	s_load_dwordx2 s[36:37], s[4:5], 0x28
	;; [unrolled: 1-line block ×3, first 2 shown]
	s_ashr_i32 s7, s6, 31
	s_lshl_b64 s[2:3], s[6:7], 3
	s_waitcnt lgkmcnt(0)
	s_add_u32 s0, s0, s2
	s_addc_u32 s1, s1, s3
	s_load_dwordx4 s[20:23], s[0:1], 0x0
	v_or_b32_e32 v1, s6, v0
	s_mov_b32 s39, 0
	v_cmp_eq_u32_e32 vcc, 0, v1
	s_mov_b32 s38, s37
	s_and_saveexec_b64 s[0:1], vcc
	s_cbranch_execz .LBB285_2
; %bb.1:
	v_mov_b32_e32 v1, 0
	v_pk_mov_b32 v[2:3], s[38:39], s[38:39] op_sel:[0,1]
	global_store_dwordx2 v1, v[2:3], s[8:9]
.LBB285_2:
	s_or_b64 exec, exec, s[0:1]
	s_load_dword s1, s[4:5], 0xc
	s_mul_i32 s37, s36, s36
                                        ; implicit-def: $vgpr82 : SGPR spill to VGPR lane
	v_lshrrev_b32_e32 v18, 5, v0
	s_mul_i32 s28, s6, s36
	v_cmp_gt_i32_e64 s[2:3], s36, v18
	s_waitcnt lgkmcnt(0)
	s_sub_u32 s48, s20, s1
	s_subb_u32 s49, s21, 0
	s_mul_hi_u32 s0, s48, s37
	v_writelane_b32 v82, s1, 0
	s_sub_u32 s42, s22, s1
	s_mul_i32 s1, s49, s37
	s_subb_u32 s43, s23, 0
	s_add_i32 s45, s0, s1
	s_sub_u32 s39, s42, s48
	s_subb_u32 s33, s43, s49
	s_mul_i32 s0, s33, s36
	s_mul_hi_u32 s1, s39, s36
	s_mul_i32 s44, s48, s37
	s_add_i32 s26, s1, s0
	s_add_u32 s0, s44, s38
	s_mul_i32 s27, s39, s36
	s_addc_u32 s1, s45, 0
	s_add_u32 s0, s0, s27
	s_addc_u32 s1, s1, s26
	s_and_saveexec_b64 s[6:7], s[2:3]
	s_cbranch_execz .LBB285_4
; %bb.3:
	v_pk_mov_b32 v[2:3], s[0:1], s[0:1] op_sel:[0,1]
	v_mad_u64_u32 v[2:3], s[10:11], s27, v18, v[2:3]
	v_mov_b32_e32 v4, v3
	v_mad_u64_u32 v[4:5], s[10:11], s26, v18, v[4:5]
	v_mov_b32_e32 v3, v4
	v_add_u32_e32 v4, s28, v18
	v_ashrrev_i32_e32 v5, 31, v4
	v_lshlrev_b64 v[4:5], 3, v[4:5]
	v_mov_b32_e32 v1, s9
	v_add_co_u32_e32 v4, vcc, s8, v4
	v_addc_co_u32_e32 v5, vcc, v1, v5, vcc
	global_store_dwordx2 v[4:5], v[2:3], off offset:8
.LBB285_4:
	s_or_b64 exec, exec, s[6:7]
	s_add_u32 s29, s8, 8
	v_or_b32_e32 v1, 32, v18
	s_addc_u32 s30, s9, 0
	v_cmp_gt_i32_e64 s[6:7], s36, v1
	s_and_saveexec_b64 s[8:9], s[6:7]
	s_cbranch_execz .LBB285_6
; %bb.5:
	v_pk_mov_b32 v[2:3], s[0:1], s[0:1] op_sel:[0,1]
	v_mad_u64_u32 v[2:3], s[10:11], s27, v1, v[2:3]
	v_mov_b32_e32 v4, v3
	v_mad_u64_u32 v[4:5], s[10:11], s26, v1, v[4:5]
	s_ashr_i32 s10, s28, 31
	v_mov_b32_e32 v3, v4
	v_mov_b32_e32 v5, s10
	v_add_co_u32_e32 v4, vcc, s28, v18
	v_addc_co_u32_e32 v5, vcc, 0, v5, vcc
	v_lshlrev_b64 v[4:5], 3, v[4:5]
	v_mov_b32_e32 v6, s30
	v_add_co_u32_e32 v4, vcc, s29, v4
	v_addc_co_u32_e32 v5, vcc, v6, v5, vcc
	global_store_dwordx2 v[4:5], v[2:3], off offset:256
.LBB285_6:
	s_or_b64 exec, exec, s[8:9]
	v_or_b32_e32 v19, 64, v18
	v_cmp_gt_i32_e64 s[8:9], s36, v19
	s_and_saveexec_b64 s[10:11], s[8:9]
	s_cbranch_execz .LBB285_8
; %bb.7:
	v_pk_mov_b32 v[2:3], s[0:1], s[0:1] op_sel:[0,1]
	v_mad_u64_u32 v[2:3], s[12:13], s27, v19, v[2:3]
	v_mov_b32_e32 v4, v3
	v_mad_u64_u32 v[4:5], s[12:13], s26, v19, v[4:5]
	s_ashr_i32 s12, s28, 31
	v_mov_b32_e32 v3, v4
	v_mov_b32_e32 v5, s12
	v_add_co_u32_e32 v4, vcc, s28, v18
	v_addc_co_u32_e32 v5, vcc, 0, v5, vcc
	v_lshlrev_b64 v[4:5], 3, v[4:5]
	v_mov_b32_e32 v6, s30
	v_add_co_u32_e32 v4, vcc, s29, v4
	v_addc_co_u32_e32 v5, vcc, v6, v5, vcc
	global_store_dwordx2 v[4:5], v[2:3], off offset:512
.LBB285_8:
	s_or_b64 exec, exec, s[10:11]
	v_or_b32_e32 v20, 0x60, v18
	;; [unrolled: 21-line block ×6, first 2 shown]
	v_cmp_gt_i32_e64 s[18:19], s36, v24
	s_and_saveexec_b64 s[24:25], s[18:19]
	s_cbranch_execz .LBB285_18
; %bb.17:
	v_pk_mov_b32 v[2:3], s[0:1], s[0:1] op_sel:[0,1]
	v_mad_u64_u32 v[2:3], s[0:1], s27, v24, v[2:3]
	v_mov_b32_e32 v4, v3
	v_mad_u64_u32 v[4:5], s[0:1], s26, v24, v[4:5]
	s_ashr_i32 s0, s28, 31
	v_mov_b32_e32 v3, v4
	v_mov_b32_e32 v5, s0
	v_add_co_u32_e32 v4, vcc, s28, v18
	v_addc_co_u32_e32 v5, vcc, 0, v5, vcc
	v_lshlrev_b64 v[4:5], 3, v[4:5]
	v_mov_b32_e32 v6, s30
	v_add_co_u32_e32 v4, vcc, s29, v4
	v_addc_co_u32_e32 v5, vcc, v6, v5, vcc
	global_store_dwordx2 v[4:5], v[2:3], off offset:1792
.LBB285_18:
	s_or_b64 exec, exec, s[24:25]
	v_pk_mov_b32 v[2:3], s[22:23], s[22:23] op_sel:[0,1]
	v_cmp_lt_i64_e32 vcc, s[20:21], v[2:3]
	s_cbranch_vccz .LBB285_149
; %bb.19:
	s_load_dword s0, s[4:5], 0x0
	s_load_dwordx2 s[46:47], s[4:5], 0x30
	s_load_dwordx2 s[22:23], s[4:5], 0x10
	v_and_b32_e32 v0, 31, v0
	v_cmp_gt_i32_e32 vcc, s36, v0
	v_or_b32_e32 v52, 32, v0
	s_waitcnt lgkmcnt(0)
	s_cmp_eq_u32 s0, 0
	v_writelane_b32 v82, s22, 1
	v_writelane_b32 v82, s23, 2
	s_cselect_b64 s[0:1], -1, 0
	s_and_b64 s[40:41], s[2:3], vcc
	v_cmp_gt_i32_e64 s[20:21], s36, v52
	v_writelane_b32 v82, s40, 3
	v_or_b32_e32 v53, 64, v0
	v_writelane_b32 v82, s41, 4
	s_and_b64 s[40:41], s[2:3], s[20:21]
	v_cmp_gt_i32_e64 s[22:23], s36, v53
	v_writelane_b32 v82, s40, 5
	v_or_b32_e32 v54, 0x60, v0
	v_writelane_b32 v82, s41, 6
	s_and_b64 s[40:41], s[2:3], s[22:23]
	;; [unrolled: 5-line block ×6, first 2 shown]
	v_cmp_gt_i32_e64 s[34:35], s36, v58
	v_writelane_b32 v82, s40, 15
	v_writelane_b32 v82, s41, 16
	s_and_b64 s[2:3], s[2:3], s[34:35]
	v_writelane_b32 v82, s2, 17
	v_writelane_b32 v82, s3, 18
	s_and_b64 s[2:3], s[6:7], vcc
	v_writelane_b32 v82, s2, 19
	v_writelane_b32 v82, s3, 20
	s_and_b64 s[2:3], s[6:7], s[20:21]
	v_writelane_b32 v82, s2, 21
	v_writelane_b32 v82, s3, 22
	s_and_b64 s[2:3], s[6:7], s[22:23]
	v_writelane_b32 v82, s2, 23
	v_writelane_b32 v82, s3, 24
	s_and_b64 s[2:3], s[6:7], s[24:25]
	v_writelane_b32 v82, s2, 25
	v_writelane_b32 v82, s3, 26
	s_and_b64 s[2:3], s[6:7], s[26:27]
	v_writelane_b32 v82, s2, 27
	v_writelane_b32 v82, s3, 28
	s_and_b64 s[2:3], s[6:7], s[28:29]
	v_writelane_b32 v82, s2, 29
	v_writelane_b32 v82, s3, 30
	s_and_b64 s[2:3], s[6:7], s[30:31]
	v_writelane_b32 v82, s2, 31
	v_writelane_b32 v82, s3, 32
	s_and_b64 s[2:3], s[6:7], s[34:35]
	v_writelane_b32 v82, s2, 33
	v_writelane_b32 v82, s3, 34
	s_and_b64 s[2:3], s[8:9], vcc
	v_writelane_b32 v82, s2, 35
	v_writelane_b32 v82, s3, 36
	s_and_b64 s[2:3], s[8:9], s[20:21]
	v_writelane_b32 v82, s2, 37
	v_writelane_b32 v82, s3, 38
	s_and_b64 s[2:3], s[8:9], s[22:23]
	v_writelane_b32 v82, s2, 39
	v_writelane_b32 v82, s3, 40
	s_and_b64 s[2:3], s[8:9], s[24:25]
	v_writelane_b32 v82, s2, 41
	v_writelane_b32 v82, s3, 42
	s_and_b64 s[2:3], s[8:9], s[26:27]
	v_writelane_b32 v82, s2, 43
	v_writelane_b32 v82, s3, 44
	s_and_b64 s[2:3], s[8:9], s[28:29]
	v_writelane_b32 v82, s2, 45
	v_writelane_b32 v82, s3, 46
	s_and_b64 s[2:3], s[8:9], s[30:31]
	v_writelane_b32 v82, s2, 47
	v_writelane_b32 v82, s3, 48
	s_and_b64 s[2:3], s[8:9], s[34:35]
	v_writelane_b32 v82, s2, 49
	v_writelane_b32 v82, s3, 50
	s_and_b64 s[2:3], s[10:11], vcc
	v_writelane_b32 v82, s2, 51
	v_writelane_b32 v82, s3, 52
	s_and_b64 s[2:3], s[10:11], s[20:21]
	v_writelane_b32 v82, s2, 53
	v_writelane_b32 v82, s3, 54
	s_and_b64 s[2:3], s[10:11], s[22:23]
	v_writelane_b32 v82, s2, 55
	v_writelane_b32 v82, s3, 56
	s_and_b64 s[2:3], s[10:11], s[24:25]
	v_writelane_b32 v82, s2, 57
	v_writelane_b32 v82, s3, 58
	s_and_b64 s[2:3], s[10:11], s[26:27]
	v_writelane_b32 v82, s2, 59
	v_writelane_b32 v82, s3, 60
	s_and_b64 s[2:3], s[10:11], s[28:29]
	v_writelane_b32 v82, s2, 61
	v_writelane_b32 v82, s3, 62
	s_and_b64 s[2:3], s[10:11], s[30:31]
                                        ; implicit-def: $vgpr81 : SGPR spill to VGPR lane
	v_writelane_b32 v82, s2, 63
	v_writelane_b32 v81, s3, 0
	s_and_b64 s[2:3], s[10:11], s[34:35]
	v_writelane_b32 v81, s2, 1
	v_writelane_b32 v81, s3, 2
	s_and_b64 s[2:3], s[12:13], vcc
	v_writelane_b32 v81, s2, 3
	v_writelane_b32 v81, s3, 4
	s_and_b64 s[2:3], s[12:13], s[20:21]
	v_writelane_b32 v81, s2, 5
	v_writelane_b32 v81, s3, 6
	s_and_b64 s[2:3], s[12:13], s[22:23]
	;; [unrolled: 3-line block ×7, first 2 shown]
	v_writelane_b32 v81, s2, 17
	v_writelane_b32 v81, s3, 18
	s_and_b64 s[2:3], s[14:15], vcc
	v_writelane_b32 v81, s2, 19
	v_writelane_b32 v81, s3, 20
	s_and_b64 s[2:3], s[14:15], s[20:21]
	v_writelane_b32 v81, s2, 21
	v_writelane_b32 v81, s3, 22
	s_and_b64 s[2:3], s[14:15], s[22:23]
	;; [unrolled: 3-line block ×7, first 2 shown]
	s_and_b64 s[82:83], s[16:17], vcc
	s_and_b64 s[84:85], s[16:17], s[20:21]
	s_and_b64 s[86:87], s[16:17], s[22:23]
	;; [unrolled: 1-line block ×7, first 2 shown]
	s_and_b64 s[94:95], s[18:19], vcc
	s_and_b64 s[20:21], s[18:19], s[20:21]
	s_and_b64 s[22:23], s[18:19], s[22:23]
	;; [unrolled: 1-line block ×7, first 2 shown]
	v_mad_u64_u32 v[8:9], s[2:3], s39, v20, 0
	v_mad_u64_u32 v[12:13], s[2:3], s39, v22, 0
	s_load_dwordx2 s[34:35], s[4:5], 0x20
	s_nop 0
	s_load_dwordx2 s[4:5], s[4:5], 0x40
	v_mad_u64_u32 v[2:3], s[2:3], s39, v18, 0
	v_mad_u64_u32 v[4:5], s[2:3], s39, v1, 0
	;; [unrolled: 1-line block ×6, first 2 shown]
	v_mov_b32_e32 v32, v9
	v_mov_b32_e32 v34, v13
	;; [unrolled: 1-line block ×5, first 2 shown]
	v_mad_u64_u32 v[32:33], s[2:3], s33, v20, v[32:33]
	v_mov_b32_e32 v20, v11
	v_mad_u64_u32 v[34:35], s[2:3], s33, v22, v[34:35]
	v_mov_b32_e32 v22, v15
	v_mov_b32_e32 v36, v17
	v_mad_u64_u32 v[26:27], s[2:3], s33, v18, v[26:27]
	v_mad_u64_u32 v[28:29], s[2:3], s33, v1, v[28:29]
	;; [unrolled: 1-line block ×6, first 2 shown]
	s_lshl_b32 s2, s36, 5
	s_waitcnt lgkmcnt(0)
	s_add_u32 s39, s4, 0x80
	s_addc_u32 s33, s5, 0
	s_add_u32 s52, s46, 0x200
	s_addc_u32 s53, s47, 0
	;; [unrolled: 2-line block ×4, first 2 shown]
	s_add_u32 s10, s4, 0x180
	v_mul_lo_u32 v36, v0, s36
	v_mul_lo_u32 v60, v18, s36
	s_addc_u32 s11, s5, 0
	v_add_u32_e32 v38, s2, v36
	v_add_u32_e32 v62, s2, v60
	s_add_u32 s58, s46, 0x600
	v_add_u32_e32 v40, s2, v38
	v_add_u32_e32 v64, s2, v62
	s_addc_u32 s59, s47, 0
	v_add_u32_e32 v42, s2, v40
	v_add_u32_e32 v66, s2, v64
	s_add_u32 s60, s4, 0x200
	v_add_u32_e32 v44, s2, v42
	v_add_u32_e32 v68, s2, v66
	;; [unrolled: 6-line block ×3, first 2 shown]
	s_addc_u32 s63, s47, 0
	v_add_u32_e32 v50, s2, v48
	v_add_u32_e32 v74, s2, v72
	s_add_u32 s2, s4, 0x280
	s_addc_u32 s3, s5, 0
	s_add_u32 s64, s46, 0xa00
	s_addc_u32 s65, s47, 0
	;; [unrolled: 2-line block ×4, first 2 shown]
	s_add_u32 s12, s4, 0x380
	v_mov_b32_e32 v37, 0
	s_addc_u32 s13, s5, 0
	v_mov_b32_e32 v39, v37
	v_mov_b32_e32 v41, v37
	;; [unrolled: 1-line block ×15, first 2 shown]
	s_add_u32 s70, s46, 0xe00
	v_mov_b32_e32 v1, v26
	v_mov_b32_e32 v3, v28
	;; [unrolled: 1-line block ×8, first 2 shown]
	v_lshlrev_b32_e32 v59, 4, v18
	v_lshlrev_b64 v[18:19], 4, v[60:61]
	v_lshlrev_b64 v[20:21], 4, v[62:63]
	;; [unrolled: 1-line block ×16, first 2 shown]
	s_addc_u32 s71, s47, 0
	s_movk_i32 s72, 0x200
	s_movk_i32 s73, 0x400
	;; [unrolled: 1-line block ×7, first 2 shown]
	s_mov_b64 s[40:41], s[48:49]
	s_branch .LBB285_21
.LBB285_20:                             ;   in Loop: Header=BB285_21 Depth=1
	s_or_b64 exec, exec, s[50:51]
	s_add_u32 s40, s40, 1
	s_addc_u32 s41, s41, 0
	v_pk_mov_b32 v[50:51], s[42:43], s[42:43] op_sel:[0,1]
	v_cmp_ge_i64_e32 vcc, s[40:41], v[50:51]
	s_cbranch_vccnz .LBB285_149
.LBB285_21:                             ; =>This Inner Loop Header: Depth=1
	s_lshl_b64 s[50:51], s[40:41], 2
	s_add_u32 s50, s34, s50
	s_addc_u32 s51, s35, s51
	s_load_dword s7, s[50:51], 0x0
	v_readlane_b32 s78, v82, 0
	s_mul_i32 s50, s41, s37
	s_mul_hi_u32 s51, s40, s37
	v_readlane_b32 vcc_lo, v82, 1
	s_waitcnt lgkmcnt(0)
	s_sub_i32 s7, s7, s78
	s_sub_u32 s78, s40, s48
	s_mul_i32 s81, s7, s36
	s_subb_u32 s80, s41, s49
	s_add_i32 s51, s51, s50
	s_mul_i32 s50, s40, s37
	s_add_i32 s81, s81, s38
	s_lshl_b64 s[50:51], s[50:51], 4
	v_readlane_b32 vcc_hi, v82, 2
	s_add_u32 s7, vcc_lo, s50
	s_addc_u32 s79, vcc_hi, s51
	v_add_co_u32_e32 v60, vcc, s78, v2
	v_pk_mov_b32 v[50:51], s[44:45], s[44:45] op_sel:[0,1]
	v_mov_b32_e32 v17, s80
	v_mad_u64_u32 v[50:51], s[50:51], v60, s36, v[50:51]
	v_addc_co_u32_e32 v17, vcc, v1, v17, vcc
	v_mov_b32_e32 v60, v51
	v_mad_u64_u32 v[60:61], s[50:51], v17, s36, v[60:61]
	v_mov_b32_e32 v17, v60
	v_mov_b32_e32 v51, s79
	v_add_co_u32_e32 v60, vcc, s7, v59
	v_addc_co_u32_e32 v61, vcc, 0, v51, vcc
	v_mov_b32_e32 v62, s79
	v_add_co_u32_e32 v51, vcc, s7, v18
	v_add_u32_e32 v63, s81, v0
	v_addc_co_u32_e32 v71, vcc, v62, v19, vcc
	v_lshlrev_b32_e32 v62, 4, v0
	s_mov_b64 s[50:51], exec
	v_readlane_b32 vcc_lo, v82, 3
	v_readlane_b32 vcc_hi, v82, 4
	s_and_b64 vcc, s[50:51], vcc
	s_mov_b64 exec, vcc
	s_cbranch_execz .LBB285_23
; %bb.22:                               ;   in Loop: Header=BB285_21 Depth=1
	v_add_co_u32_e32 v64, vcc, v51, v62
	v_addc_co_u32_e32 v65, vcc, 0, v71, vcc
	v_add_co_u32_e32 v66, vcc, v60, v34
	v_addc_co_u32_e32 v67, vcc, v61, v35, vcc
	v_cndmask_b32_e64 v65, v67, v65, s[0:1]
	v_cndmask_b32_e64 v64, v66, v64, s[0:1]
	global_load_dwordx4 v[64:67], v[64:65], off
	v_add_co_u32_e32 v68, vcc, v50, v0
	v_addc_co_u32_e32 v69, vcc, 0, v17, vcc
	v_lshlrev_b64 v[72:73], 2, v[68:69]
	v_mov_b32_e32 v70, s5
	v_add_co_u32_e32 v72, vcc, s4, v72
	v_addc_co_u32_e32 v73, vcc, v70, v73, vcc
	v_lshlrev_b64 v[68:69], 4, v[68:69]
	v_mov_b32_e32 v70, s47
	v_add_co_u32_e32 v68, vcc, s46, v68
	v_addc_co_u32_e32 v69, vcc, v70, v69, vcc
	global_store_dword v[72:73], v63, off
	s_waitcnt vmcnt(1)
	global_store_dwordx4 v[68:69], v[64:67], off
.LBB285_23:                             ;   in Loop: Header=BB285_21 Depth=1
	s_or_b64 exec, exec, s[50:51]
	v_add_u32_e32 v69, s81, v52
	s_mov_b64 s[50:51], exec
	v_readlane_b32 vcc_lo, v82, 5
	v_readlane_b32 vcc_hi, v82, 6
	s_and_b64 vcc, s[50:51], vcc
	s_mov_b64 exec, vcc
	s_cbranch_execz .LBB285_25
; %bb.24:                               ;   in Loop: Header=BB285_21 Depth=1
	v_add_co_u32_e32 v64, vcc, v51, v62
	v_addc_co_u32_e32 v65, vcc, 0, v71, vcc
	v_add_co_u32_e32 v64, vcc, s72, v64
	v_addc_co_u32_e32 v65, vcc, 0, v65, vcc
	v_add_co_u32_e32 v66, vcc, v60, v36
	v_addc_co_u32_e32 v67, vcc, v61, v37, vcc
	v_cndmask_b32_e64 v65, v67, v65, s[0:1]
	v_cndmask_b32_e64 v64, v66, v64, s[0:1]
	global_load_dwordx4 v[64:67], v[64:65], off
	v_add_co_u32_e32 v72, vcc, v50, v0
	v_addc_co_u32_e32 v73, vcc, 0, v17, vcc
	v_lshlrev_b64 v[74:75], 2, v[72:73]
	v_mov_b32_e32 v68, s33
	v_add_co_u32_e32 v74, vcc, s39, v74
	v_addc_co_u32_e32 v75, vcc, v68, v75, vcc
	v_lshlrev_b64 v[72:73], 4, v[72:73]
	v_mov_b32_e32 v68, s53
	v_add_co_u32_e32 v72, vcc, s52, v72
	v_addc_co_u32_e32 v73, vcc, v68, v73, vcc
	global_store_dword v[74:75], v69, off
	s_waitcnt vmcnt(1)
	global_store_dwordx4 v[72:73], v[64:67], off
.LBB285_25:                             ;   in Loop: Header=BB285_21 Depth=1
	s_or_b64 exec, exec, s[50:51]
	v_add_u32_e32 v68, s81, v53
	s_mov_b64 s[50:51], exec
	v_readlane_b32 vcc_lo, v82, 7
	v_readlane_b32 vcc_hi, v82, 8
	s_and_b64 vcc, s[50:51], vcc
	s_mov_b64 exec, vcc
	s_cbranch_execz .LBB285_27
; %bb.26:                               ;   in Loop: Header=BB285_21 Depth=1
	v_add_co_u32_e32 v64, vcc, v51, v62
	v_addc_co_u32_e32 v65, vcc, 0, v71, vcc
	v_add_co_u32_e32 v64, vcc, s73, v64
	v_addc_co_u32_e32 v65, vcc, 0, v65, vcc
	v_add_co_u32_e32 v66, vcc, v60, v38
	v_addc_co_u32_e32 v67, vcc, v61, v39, vcc
	v_cndmask_b32_e64 v65, v67, v65, s[0:1]
	v_cndmask_b32_e64 v64, v66, v64, s[0:1]
	global_load_dwordx4 v[64:67], v[64:65], off
	v_add_co_u32_e32 v72, vcc, v50, v0
	v_addc_co_u32_e32 v73, vcc, 0, v17, vcc
	v_lshlrev_b64 v[74:75], 2, v[72:73]
	v_mov_b32_e32 v70, s55
	v_add_co_u32_e32 v74, vcc, s54, v74
	v_addc_co_u32_e32 v75, vcc, v70, v75, vcc
	v_lshlrev_b64 v[72:73], 4, v[72:73]
	v_mov_b32_e32 v70, s57
	v_add_co_u32_e32 v72, vcc, s56, v72
	v_addc_co_u32_e32 v73, vcc, v70, v73, vcc
	global_store_dword v[74:75], v68, off
	s_waitcnt vmcnt(1)
	global_store_dwordx4 v[72:73], v[64:67], off
.LBB285_27:                             ;   in Loop: Header=BB285_21 Depth=1
	;; [unrolled: 32-line block ×7, first 2 shown]
	s_or_b64 exec, exec, s[50:51]
	v_add_co_u32_e32 v71, vcc, s78, v4
	v_pk_mov_b32 v[50:51], s[44:45], s[44:45] op_sel:[0,1]
	v_mov_b32_e32 v17, s80
	v_mad_u64_u32 v[50:51], s[50:51], v71, s36, v[50:51]
	v_addc_co_u32_e32 v17, vcc, v3, v17, vcc
	v_mov_b32_e32 v72, v51
	v_mad_u64_u32 v[72:73], s[50:51], v17, s36, v[72:73]
	v_mov_b32_e32 v71, s79
	v_add_co_u32_e32 v51, vcc, s7, v20
	v_mov_b32_e32 v17, v72
	v_addc_co_u32_e32 v71, vcc, v71, v21, vcc
	s_mov_b64 s[50:51], exec
	v_readlane_b32 vcc_lo, v82, 19
	v_readlane_b32 vcc_hi, v82, 20
	s_and_b64 vcc, s[50:51], vcc
	s_mov_b64 exec, vcc
	s_cbranch_execz .LBB285_39
; %bb.38:                               ;   in Loop: Header=BB285_21 Depth=1
	v_add_co_u32_e32 v72, vcc, v51, v62
	v_addc_co_u32_e32 v73, vcc, 0, v71, vcc
	v_add_co_u32_e32 v74, vcc, v60, v34
	v_addc_co_u32_e32 v75, vcc, v61, v35, vcc
	;; [unrolled: 2-line block ×3, first 2 shown]
	v_cndmask_b32_e64 v73, v75, v73, s[0:1]
	v_cndmask_b32_e64 v72, v74, v72, s[0:1]
	global_load_dwordx4 v[72:75], v[72:73], off
	v_add_co_u32_e32 v76, vcc, v50, v0
	v_addc_co_u32_e32 v77, vcc, 0, v17, vcc
	v_lshlrev_b64 v[78:79], 2, v[76:77]
	v_mov_b32_e32 v80, s5
	v_add_co_u32_e32 v78, vcc, s4, v78
	v_addc_co_u32_e32 v79, vcc, v80, v79, vcc
	v_lshlrev_b64 v[76:77], 4, v[76:77]
	global_store_dword v[78:79], v63, off
	v_mov_b32_e32 v78, s47
	v_add_co_u32_e32 v76, vcc, s46, v76
	v_addc_co_u32_e32 v77, vcc, v78, v77, vcc
	s_waitcnt vmcnt(1)
	global_store_dwordx4 v[76:77], v[72:75], off
.LBB285_39:                             ;   in Loop: Header=BB285_21 Depth=1
	s_or_b64 exec, exec, s[50:51]
	s_mov_b64 s[50:51], exec
	v_readlane_b32 vcc_lo, v82, 21
	v_readlane_b32 vcc_hi, v82, 22
	s_and_b64 vcc, s[50:51], vcc
	s_mov_b64 exec, vcc
	s_cbranch_execz .LBB285_41
; %bb.40:                               ;   in Loop: Header=BB285_21 Depth=1
	v_add_co_u32_e32 v72, vcc, v51, v62
	v_addc_co_u32_e32 v73, vcc, 0, v71, vcc
	v_add_co_u32_e32 v74, vcc, v60, v36
	v_addc_co_u32_e32 v75, vcc, v61, v37, vcc
	v_cndmask_b32_e64 v73, v75, v73, s[0:1]
	v_cndmask_b32_e64 v72, v74, v72, s[0:1]
	global_load_dwordx4 v[72:75], v[72:73], off offset:512
	v_add_co_u32_e32 v76, vcc, v50, v0
	v_addc_co_u32_e32 v77, vcc, 0, v17, vcc
	v_lshlrev_b64 v[78:79], 2, v[76:77]
	v_mov_b32_e32 v80, s33
	v_add_co_u32_e32 v78, vcc, s39, v78
	v_addc_co_u32_e32 v79, vcc, v80, v79, vcc
	v_lshlrev_b64 v[76:77], 4, v[76:77]
	global_store_dword v[78:79], v69, off
	v_mov_b32_e32 v78, s53
	v_add_co_u32_e32 v76, vcc, s52, v76
	v_addc_co_u32_e32 v77, vcc, v78, v77, vcc
	s_waitcnt vmcnt(1)
	global_store_dwordx4 v[76:77], v[72:75], off
.LBB285_41:                             ;   in Loop: Header=BB285_21 Depth=1
	s_or_b64 exec, exec, s[50:51]
	s_mov_b64 s[50:51], exec
	v_readlane_b32 vcc_lo, v82, 23
	v_readlane_b32 vcc_hi, v82, 24
	s_and_b64 vcc, s[50:51], vcc
	s_mov_b64 exec, vcc
	s_cbranch_execz .LBB285_43
; %bb.42:                               ;   in Loop: Header=BB285_21 Depth=1
	v_add_co_u32_e32 v72, vcc, v51, v62
	v_addc_co_u32_e32 v73, vcc, 0, v71, vcc
	v_add_co_u32_e32 v72, vcc, s73, v72
	v_addc_co_u32_e32 v73, vcc, 0, v73, vcc
	v_add_co_u32_e32 v74, vcc, v60, v38
	v_addc_co_u32_e32 v75, vcc, v61, v39, vcc
	v_add_co_u32_e32 v74, vcc, 0x200, v74
	v_addc_co_u32_e32 v75, vcc, 0, v75, vcc
	v_cndmask_b32_e64 v73, v75, v73, s[0:1]
	v_cndmask_b32_e64 v72, v74, v72, s[0:1]
	global_load_dwordx4 v[72:75], v[72:73], off
	v_add_co_u32_e32 v76, vcc, v50, v0
	v_addc_co_u32_e32 v77, vcc, 0, v17, vcc
	v_lshlrev_b64 v[78:79], 2, v[76:77]
	v_mov_b32_e32 v80, s55
	v_add_co_u32_e32 v78, vcc, s54, v78
	v_addc_co_u32_e32 v79, vcc, v80, v79, vcc
	v_lshlrev_b64 v[76:77], 4, v[76:77]
	global_store_dword v[78:79], v68, off
	v_mov_b32_e32 v78, s57
	v_add_co_u32_e32 v76, vcc, s56, v76
	v_addc_co_u32_e32 v77, vcc, v78, v77, vcc
	s_waitcnt vmcnt(1)
	global_store_dwordx4 v[76:77], v[72:75], off
.LBB285_43:                             ;   in Loop: Header=BB285_21 Depth=1
	s_or_b64 exec, exec, s[50:51]
	s_mov_b64 s[50:51], exec
	v_readlane_b32 vcc_lo, v82, 25
	v_readlane_b32 vcc_hi, v82, 26
	s_and_b64 vcc, s[50:51], vcc
	s_mov_b64 exec, vcc
	s_cbranch_execz .LBB285_45
; %bb.44:                               ;   in Loop: Header=BB285_21 Depth=1
	v_add_co_u32_e32 v72, vcc, v51, v62
	v_addc_co_u32_e32 v73, vcc, 0, v71, vcc
	v_add_co_u32_e32 v72, vcc, s74, v72
	v_addc_co_u32_e32 v73, vcc, 0, v73, vcc
	v_add_co_u32_e32 v74, vcc, v60, v40
	v_addc_co_u32_e32 v75, vcc, v61, v41, vcc
	v_add_co_u32_e32 v74, vcc, 0x200, v74
	v_addc_co_u32_e32 v75, vcc, 0, v75, vcc
	v_cndmask_b32_e64 v73, v75, v73, s[0:1]
	v_cndmask_b32_e64 v72, v74, v72, s[0:1]
	global_load_dwordx4 v[72:75], v[72:73], off
	v_add_co_u32_e32 v76, vcc, v50, v0
	v_addc_co_u32_e32 v77, vcc, 0, v17, vcc
	v_lshlrev_b64 v[78:79], 2, v[76:77]
	v_mov_b32_e32 v80, s11
	v_add_co_u32_e32 v78, vcc, s10, v78
	v_addc_co_u32_e32 v79, vcc, v80, v79, vcc
	v_lshlrev_b64 v[76:77], 4, v[76:77]
	global_store_dword v[78:79], v67, off
	v_mov_b32_e32 v78, s59
	v_add_co_u32_e32 v76, vcc, s58, v76
	v_addc_co_u32_e32 v77, vcc, v78, v77, vcc
	s_waitcnt vmcnt(1)
	global_store_dwordx4 v[76:77], v[72:75], off
.LBB285_45:                             ;   in Loop: Header=BB285_21 Depth=1
	s_or_b64 exec, exec, s[50:51]
	s_mov_b64 s[50:51], exec
	v_readlane_b32 vcc_lo, v82, 27
	v_readlane_b32 vcc_hi, v82, 28
	s_and_b64 vcc, s[50:51], vcc
	s_mov_b64 exec, vcc
	s_cbranch_execz .LBB285_47
; %bb.46:                               ;   in Loop: Header=BB285_21 Depth=1
	v_add_co_u32_e32 v72, vcc, v51, v62
	v_addc_co_u32_e32 v73, vcc, 0, v71, vcc
	v_add_co_u32_e32 v72, vcc, s75, v72
	v_addc_co_u32_e32 v73, vcc, 0, v73, vcc
	v_add_co_u32_e32 v74, vcc, v60, v42
	v_addc_co_u32_e32 v75, vcc, v61, v43, vcc
	v_add_co_u32_e32 v74, vcc, 0x200, v74
	v_addc_co_u32_e32 v75, vcc, 0, v75, vcc
	v_cndmask_b32_e64 v73, v75, v73, s[0:1]
	v_cndmask_b32_e64 v72, v74, v72, s[0:1]
	global_load_dwordx4 v[72:75], v[72:73], off
	v_add_co_u32_e32 v76, vcc, v50, v0
	v_addc_co_u32_e32 v77, vcc, 0, v17, vcc
	v_lshlrev_b64 v[78:79], 2, v[76:77]
	v_mov_b32_e32 v80, s61
	v_add_co_u32_e32 v78, vcc, s60, v78
	v_addc_co_u32_e32 v79, vcc, v80, v79, vcc
	v_lshlrev_b64 v[76:77], 4, v[76:77]
	global_store_dword v[78:79], v66, off
	v_mov_b32_e32 v78, s63
	v_add_co_u32_e32 v76, vcc, s62, v76
	v_addc_co_u32_e32 v77, vcc, v78, v77, vcc
	s_waitcnt vmcnt(1)
	global_store_dwordx4 v[76:77], v[72:75], off
.LBB285_47:                             ;   in Loop: Header=BB285_21 Depth=1
	s_or_b64 exec, exec, s[50:51]
	s_mov_b64 s[50:51], exec
	v_readlane_b32 vcc_lo, v82, 29
	v_readlane_b32 vcc_hi, v82, 30
	s_and_b64 vcc, s[50:51], vcc
	s_mov_b64 exec, vcc
	s_cbranch_execz .LBB285_49
; %bb.48:                               ;   in Loop: Header=BB285_21 Depth=1
	v_add_co_u32_e32 v72, vcc, v51, v62
	v_addc_co_u32_e32 v73, vcc, 0, v71, vcc
	v_add_co_u32_e32 v72, vcc, s76, v72
	v_addc_co_u32_e32 v73, vcc, 0, v73, vcc
	v_add_co_u32_e32 v74, vcc, v60, v44
	v_addc_co_u32_e32 v75, vcc, v61, v45, vcc
	v_add_co_u32_e32 v74, vcc, 0x200, v74
	v_addc_co_u32_e32 v75, vcc, 0, v75, vcc
	v_cndmask_b32_e64 v73, v75, v73, s[0:1]
	v_cndmask_b32_e64 v72, v74, v72, s[0:1]
	global_load_dwordx4 v[72:75], v[72:73], off
	v_add_co_u32_e32 v76, vcc, v50, v0
	v_addc_co_u32_e32 v77, vcc, 0, v17, vcc
	v_lshlrev_b64 v[78:79], 2, v[76:77]
	v_mov_b32_e32 v80, s3
	v_add_co_u32_e32 v78, vcc, s2, v78
	v_addc_co_u32_e32 v79, vcc, v80, v79, vcc
	v_lshlrev_b64 v[76:77], 4, v[76:77]
	global_store_dword v[78:79], v65, off
	v_mov_b32_e32 v78, s65
	v_add_co_u32_e32 v76, vcc, s64, v76
	v_addc_co_u32_e32 v77, vcc, v78, v77, vcc
	s_waitcnt vmcnt(1)
	global_store_dwordx4 v[76:77], v[72:75], off
.LBB285_49:                             ;   in Loop: Header=BB285_21 Depth=1
	s_or_b64 exec, exec, s[50:51]
	s_mov_b64 s[50:51], exec
	v_readlane_b32 vcc_lo, v82, 31
	v_readlane_b32 vcc_hi, v82, 32
	s_and_b64 vcc, s[50:51], vcc
	s_mov_b64 exec, vcc
	s_cbranch_execz .LBB285_51
; %bb.50:                               ;   in Loop: Header=BB285_21 Depth=1
	v_add_co_u32_e32 v72, vcc, v51, v62
	v_addc_co_u32_e32 v73, vcc, 0, v71, vcc
	v_add_co_u32_e32 v72, vcc, s77, v72
	v_addc_co_u32_e32 v73, vcc, 0, v73, vcc
	v_add_co_u32_e32 v74, vcc, v60, v46
	v_addc_co_u32_e32 v75, vcc, v61, v47, vcc
	v_add_co_u32_e32 v74, vcc, 0x200, v74
	v_addc_co_u32_e32 v75, vcc, 0, v75, vcc
	v_cndmask_b32_e64 v73, v75, v73, s[0:1]
	v_cndmask_b32_e64 v72, v74, v72, s[0:1]
	global_load_dwordx4 v[72:75], v[72:73], off
	v_add_co_u32_e32 v76, vcc, v50, v0
	v_addc_co_u32_e32 v77, vcc, 0, v17, vcc
	v_lshlrev_b64 v[78:79], 2, v[76:77]
	v_mov_b32_e32 v80, s67
	v_add_co_u32_e32 v78, vcc, s66, v78
	v_addc_co_u32_e32 v79, vcc, v80, v79, vcc
	v_lshlrev_b64 v[76:77], 4, v[76:77]
	global_store_dword v[78:79], v64, off
	v_mov_b32_e32 v78, s69
	v_add_co_u32_e32 v76, vcc, s68, v76
	v_addc_co_u32_e32 v77, vcc, v78, v77, vcc
	s_waitcnt vmcnt(1)
	global_store_dwordx4 v[76:77], v[72:75], off
.LBB285_51:                             ;   in Loop: Header=BB285_21 Depth=1
	s_or_b64 exec, exec, s[50:51]
	s_mov_b64 s[50:51], exec
	v_readlane_b32 vcc_lo, v82, 33
	v_readlane_b32 vcc_hi, v82, 34
	s_and_b64 vcc, s[50:51], vcc
	s_mov_b64 exec, vcc
	s_cbranch_execz .LBB285_53
; %bb.52:                               ;   in Loop: Header=BB285_21 Depth=1
	v_add_co_u32_e32 v51, vcc, v51, v62
	v_addc_co_u32_e32 v71, vcc, 0, v71, vcc
	v_add_co_u32_e32 v51, vcc, s6, v51
	v_addc_co_u32_e32 v71, vcc, 0, v71, vcc
	;; [unrolled: 2-line block ×4, first 2 shown]
	v_cndmask_b32_e64 v73, v73, v71, s[0:1]
	v_cndmask_b32_e64 v72, v72, v51, s[0:1]
	global_load_dwordx4 v[72:75], v[72:73], off
	v_add_co_u32_e32 v50, vcc, v50, v0
	v_addc_co_u32_e32 v51, vcc, 0, v17, vcc
	v_lshlrev_b64 v[76:77], 2, v[50:51]
	v_mov_b32_e32 v17, s13
	v_add_co_u32_e32 v76, vcc, s12, v76
	v_addc_co_u32_e32 v77, vcc, v17, v77, vcc
	v_lshlrev_b64 v[50:51], 4, v[50:51]
	v_mov_b32_e32 v17, s71
	v_add_co_u32_e32 v50, vcc, s70, v50
	v_addc_co_u32_e32 v51, vcc, v17, v51, vcc
	global_store_dword v[76:77], v70, off
	s_waitcnt vmcnt(1)
	global_store_dwordx4 v[50:51], v[72:75], off
.LBB285_53:                             ;   in Loop: Header=BB285_21 Depth=1
	s_or_b64 exec, exec, s[50:51]
	v_add_co_u32_e32 v71, vcc, s78, v6
	v_pk_mov_b32 v[50:51], s[44:45], s[44:45] op_sel:[0,1]
	v_mov_b32_e32 v17, s80
	v_mad_u64_u32 v[50:51], s[50:51], v71, s36, v[50:51]
	v_addc_co_u32_e32 v17, vcc, v5, v17, vcc
	v_mov_b32_e32 v72, v51
	v_mad_u64_u32 v[72:73], s[50:51], v17, s36, v[72:73]
	v_mov_b32_e32 v71, s79
	v_add_co_u32_e32 v51, vcc, s7, v22
	v_mov_b32_e32 v17, v72
	v_addc_co_u32_e32 v71, vcc, v71, v23, vcc
	s_mov_b64 s[50:51], exec
	v_readlane_b32 vcc_lo, v82, 35
	v_readlane_b32 vcc_hi, v82, 36
	s_and_b64 vcc, s[50:51], vcc
	s_mov_b64 exec, vcc
	s_cbranch_execz .LBB285_55
; %bb.54:                               ;   in Loop: Header=BB285_21 Depth=1
	v_add_co_u32_e32 v72, vcc, v51, v62
	v_addc_co_u32_e32 v73, vcc, 0, v71, vcc
	v_add_co_u32_e32 v74, vcc, v60, v34
	v_addc_co_u32_e32 v75, vcc, v61, v35, vcc
	;; [unrolled: 2-line block ×3, first 2 shown]
	v_cndmask_b32_e64 v73, v75, v73, s[0:1]
	v_cndmask_b32_e64 v72, v74, v72, s[0:1]
	global_load_dwordx4 v[72:75], v[72:73], off
	v_add_co_u32_e32 v76, vcc, v50, v0
	v_addc_co_u32_e32 v77, vcc, 0, v17, vcc
	v_lshlrev_b64 v[78:79], 2, v[76:77]
	v_mov_b32_e32 v80, s5
	v_add_co_u32_e32 v78, vcc, s4, v78
	v_addc_co_u32_e32 v79, vcc, v80, v79, vcc
	v_lshlrev_b64 v[76:77], 4, v[76:77]
	global_store_dword v[78:79], v63, off
	v_mov_b32_e32 v78, s47
	v_add_co_u32_e32 v76, vcc, s46, v76
	v_addc_co_u32_e32 v77, vcc, v78, v77, vcc
	s_waitcnt vmcnt(1)
	global_store_dwordx4 v[76:77], v[72:75], off
.LBB285_55:                             ;   in Loop: Header=BB285_21 Depth=1
	s_or_b64 exec, exec, s[50:51]
	s_mov_b64 s[50:51], exec
	v_readlane_b32 vcc_lo, v82, 37
	v_readlane_b32 vcc_hi, v82, 38
	s_and_b64 vcc, s[50:51], vcc
	s_mov_b64 exec, vcc
	s_cbranch_execz .LBB285_57
; %bb.56:                               ;   in Loop: Header=BB285_21 Depth=1
	v_add_co_u32_e32 v72, vcc, v51, v62
	v_addc_co_u32_e32 v73, vcc, 0, v71, vcc
	v_add_co_u32_e32 v72, vcc, s72, v72
	v_addc_co_u32_e32 v73, vcc, 0, v73, vcc
	;; [unrolled: 2-line block ×4, first 2 shown]
	v_cndmask_b32_e64 v73, v75, v73, s[0:1]
	v_cndmask_b32_e64 v72, v74, v72, s[0:1]
	global_load_dwordx4 v[72:75], v[72:73], off
	v_add_co_u32_e32 v76, vcc, v50, v0
	v_addc_co_u32_e32 v77, vcc, 0, v17, vcc
	v_lshlrev_b64 v[78:79], 2, v[76:77]
	v_mov_b32_e32 v80, s33
	v_add_co_u32_e32 v78, vcc, s39, v78
	v_addc_co_u32_e32 v79, vcc, v80, v79, vcc
	v_lshlrev_b64 v[76:77], 4, v[76:77]
	global_store_dword v[78:79], v69, off
	v_mov_b32_e32 v78, s53
	v_add_co_u32_e32 v76, vcc, s52, v76
	v_addc_co_u32_e32 v77, vcc, v78, v77, vcc
	s_waitcnt vmcnt(1)
	global_store_dwordx4 v[76:77], v[72:75], off
.LBB285_57:                             ;   in Loop: Header=BB285_21 Depth=1
	s_or_b64 exec, exec, s[50:51]
	s_mov_b64 s[50:51], exec
	v_readlane_b32 vcc_lo, v82, 39
	v_readlane_b32 vcc_hi, v82, 40
	s_and_b64 vcc, s[50:51], vcc
	s_mov_b64 exec, vcc
	s_cbranch_execz .LBB285_59
; %bb.58:                               ;   in Loop: Header=BB285_21 Depth=1
	v_add_co_u32_e32 v72, vcc, v51, v62
	v_addc_co_u32_e32 v73, vcc, 0, v71, vcc
	v_add_co_u32_e32 v74, vcc, v60, v38
	v_addc_co_u32_e32 v75, vcc, v61, v39, vcc
	v_cndmask_b32_e64 v73, v75, v73, s[0:1]
	v_cndmask_b32_e64 v72, v74, v72, s[0:1]
	global_load_dwordx4 v[72:75], v[72:73], off offset:1024
	v_add_co_u32_e32 v76, vcc, v50, v0
	v_addc_co_u32_e32 v77, vcc, 0, v17, vcc
	v_lshlrev_b64 v[78:79], 2, v[76:77]
	v_mov_b32_e32 v80, s55
	v_add_co_u32_e32 v78, vcc, s54, v78
	v_addc_co_u32_e32 v79, vcc, v80, v79, vcc
	v_lshlrev_b64 v[76:77], 4, v[76:77]
	global_store_dword v[78:79], v68, off
	v_mov_b32_e32 v78, s57
	v_add_co_u32_e32 v76, vcc, s56, v76
	v_addc_co_u32_e32 v77, vcc, v78, v77, vcc
	s_waitcnt vmcnt(1)
	global_store_dwordx4 v[76:77], v[72:75], off
.LBB285_59:                             ;   in Loop: Header=BB285_21 Depth=1
	s_or_b64 exec, exec, s[50:51]
	s_mov_b64 s[50:51], exec
	v_readlane_b32 vcc_lo, v82, 41
	v_readlane_b32 vcc_hi, v82, 42
	s_and_b64 vcc, s[50:51], vcc
	s_mov_b64 exec, vcc
	s_cbranch_execz .LBB285_61
; %bb.60:                               ;   in Loop: Header=BB285_21 Depth=1
	v_add_co_u32_e32 v72, vcc, v51, v62
	v_addc_co_u32_e32 v73, vcc, 0, v71, vcc
	v_add_co_u32_e32 v72, vcc, s74, v72
	v_addc_co_u32_e32 v73, vcc, 0, v73, vcc
	v_add_co_u32_e32 v74, vcc, v60, v40
	v_addc_co_u32_e32 v75, vcc, v61, v41, vcc
	v_add_co_u32_e32 v74, vcc, 0x400, v74
	v_addc_co_u32_e32 v75, vcc, 0, v75, vcc
	v_cndmask_b32_e64 v73, v75, v73, s[0:1]
	v_cndmask_b32_e64 v72, v74, v72, s[0:1]
	global_load_dwordx4 v[72:75], v[72:73], off
	v_add_co_u32_e32 v76, vcc, v50, v0
	v_addc_co_u32_e32 v77, vcc, 0, v17, vcc
	v_lshlrev_b64 v[78:79], 2, v[76:77]
	v_mov_b32_e32 v80, s11
	v_add_co_u32_e32 v78, vcc, s10, v78
	v_addc_co_u32_e32 v79, vcc, v80, v79, vcc
	v_lshlrev_b64 v[76:77], 4, v[76:77]
	global_store_dword v[78:79], v67, off
	v_mov_b32_e32 v78, s59
	v_add_co_u32_e32 v76, vcc, s58, v76
	v_addc_co_u32_e32 v77, vcc, v78, v77, vcc
	s_waitcnt vmcnt(1)
	global_store_dwordx4 v[76:77], v[72:75], off
.LBB285_61:                             ;   in Loop: Header=BB285_21 Depth=1
	s_or_b64 exec, exec, s[50:51]
	s_mov_b64 s[50:51], exec
	v_readlane_b32 vcc_lo, v82, 43
	v_readlane_b32 vcc_hi, v82, 44
	s_and_b64 vcc, s[50:51], vcc
	s_mov_b64 exec, vcc
	s_cbranch_execz .LBB285_63
; %bb.62:                               ;   in Loop: Header=BB285_21 Depth=1
	v_add_co_u32_e32 v72, vcc, v51, v62
	v_addc_co_u32_e32 v73, vcc, 0, v71, vcc
	v_add_co_u32_e32 v72, vcc, s75, v72
	v_addc_co_u32_e32 v73, vcc, 0, v73, vcc
	v_add_co_u32_e32 v74, vcc, v60, v42
	v_addc_co_u32_e32 v75, vcc, v61, v43, vcc
	v_add_co_u32_e32 v74, vcc, 0x400, v74
	v_addc_co_u32_e32 v75, vcc, 0, v75, vcc
	v_cndmask_b32_e64 v73, v75, v73, s[0:1]
	v_cndmask_b32_e64 v72, v74, v72, s[0:1]
	global_load_dwordx4 v[72:75], v[72:73], off
	v_add_co_u32_e32 v76, vcc, v50, v0
	v_addc_co_u32_e32 v77, vcc, 0, v17, vcc
	v_lshlrev_b64 v[78:79], 2, v[76:77]
	v_mov_b32_e32 v80, s61
	v_add_co_u32_e32 v78, vcc, s60, v78
	v_addc_co_u32_e32 v79, vcc, v80, v79, vcc
	v_lshlrev_b64 v[76:77], 4, v[76:77]
	global_store_dword v[78:79], v66, off
	v_mov_b32_e32 v78, s63
	v_add_co_u32_e32 v76, vcc, s62, v76
	v_addc_co_u32_e32 v77, vcc, v78, v77, vcc
	s_waitcnt vmcnt(1)
	global_store_dwordx4 v[76:77], v[72:75], off
.LBB285_63:                             ;   in Loop: Header=BB285_21 Depth=1
	;; [unrolled: 33-line block ×4, first 2 shown]
	s_or_b64 exec, exec, s[50:51]
	s_mov_b64 s[50:51], exec
	v_readlane_b32 vcc_lo, v82, 49
	v_readlane_b32 vcc_hi, v82, 50
	s_and_b64 vcc, s[50:51], vcc
	s_mov_b64 exec, vcc
	s_cbranch_execz .LBB285_69
; %bb.68:                               ;   in Loop: Header=BB285_21 Depth=1
	v_add_co_u32_e32 v51, vcc, v51, v62
	v_addc_co_u32_e32 v71, vcc, 0, v71, vcc
	v_add_co_u32_e32 v51, vcc, s6, v51
	v_addc_co_u32_e32 v71, vcc, 0, v71, vcc
	;; [unrolled: 2-line block ×4, first 2 shown]
	v_cndmask_b32_e64 v73, v73, v71, s[0:1]
	v_cndmask_b32_e64 v72, v72, v51, s[0:1]
	global_load_dwordx4 v[72:75], v[72:73], off
	v_add_co_u32_e32 v50, vcc, v50, v0
	v_addc_co_u32_e32 v51, vcc, 0, v17, vcc
	v_lshlrev_b64 v[76:77], 2, v[50:51]
	v_mov_b32_e32 v17, s13
	v_add_co_u32_e32 v76, vcc, s12, v76
	v_addc_co_u32_e32 v77, vcc, v17, v77, vcc
	v_lshlrev_b64 v[50:51], 4, v[50:51]
	v_mov_b32_e32 v17, s71
	v_add_co_u32_e32 v50, vcc, s70, v50
	v_addc_co_u32_e32 v51, vcc, v17, v51, vcc
	global_store_dword v[76:77], v70, off
	s_waitcnt vmcnt(1)
	global_store_dwordx4 v[50:51], v[72:75], off
.LBB285_69:                             ;   in Loop: Header=BB285_21 Depth=1
	s_or_b64 exec, exec, s[50:51]
	v_add_co_u32_e32 v71, vcc, s78, v8
	v_pk_mov_b32 v[50:51], s[44:45], s[44:45] op_sel:[0,1]
	v_mov_b32_e32 v17, s80
	v_mad_u64_u32 v[50:51], s[50:51], v71, s36, v[50:51]
	v_addc_co_u32_e32 v17, vcc, v7, v17, vcc
	v_mov_b32_e32 v72, v51
	v_mad_u64_u32 v[72:73], s[50:51], v17, s36, v[72:73]
	v_mov_b32_e32 v71, s79
	v_add_co_u32_e32 v51, vcc, s7, v24
	v_mov_b32_e32 v17, v72
	v_addc_co_u32_e32 v71, vcc, v71, v25, vcc
	s_mov_b64 s[50:51], exec
	v_readlane_b32 vcc_lo, v82, 51
	v_readlane_b32 vcc_hi, v82, 52
	s_and_b64 vcc, s[50:51], vcc
	s_mov_b64 exec, vcc
	s_cbranch_execz .LBB285_71
; %bb.70:                               ;   in Loop: Header=BB285_21 Depth=1
	v_add_co_u32_e32 v72, vcc, v51, v62
	v_addc_co_u32_e32 v73, vcc, 0, v71, vcc
	v_add_co_u32_e32 v74, vcc, v60, v34
	v_addc_co_u32_e32 v75, vcc, v61, v35, vcc
	v_add_co_u32_e32 v74, vcc, 0x600, v74
	v_addc_co_u32_e32 v75, vcc, 0, v75, vcc
	v_cndmask_b32_e64 v73, v75, v73, s[0:1]
	v_cndmask_b32_e64 v72, v74, v72, s[0:1]
	global_load_dwordx4 v[72:75], v[72:73], off
	v_add_co_u32_e32 v76, vcc, v50, v0
	v_addc_co_u32_e32 v77, vcc, 0, v17, vcc
	v_lshlrev_b64 v[78:79], 2, v[76:77]
	v_mov_b32_e32 v80, s5
	v_add_co_u32_e32 v78, vcc, s4, v78
	v_addc_co_u32_e32 v79, vcc, v80, v79, vcc
	v_lshlrev_b64 v[76:77], 4, v[76:77]
	global_store_dword v[78:79], v63, off
	v_mov_b32_e32 v78, s47
	v_add_co_u32_e32 v76, vcc, s46, v76
	v_addc_co_u32_e32 v77, vcc, v78, v77, vcc
	s_waitcnt vmcnt(1)
	global_store_dwordx4 v[76:77], v[72:75], off
.LBB285_71:                             ;   in Loop: Header=BB285_21 Depth=1
	s_or_b64 exec, exec, s[50:51]
	s_mov_b64 s[50:51], exec
	v_readlane_b32 vcc_lo, v82, 53
	v_readlane_b32 vcc_hi, v82, 54
	s_and_b64 vcc, s[50:51], vcc
	s_mov_b64 exec, vcc
	s_cbranch_execz .LBB285_73
; %bb.72:                               ;   in Loop: Header=BB285_21 Depth=1
	v_add_co_u32_e32 v72, vcc, v51, v62
	v_addc_co_u32_e32 v73, vcc, 0, v71, vcc
	v_add_co_u32_e32 v72, vcc, s72, v72
	v_addc_co_u32_e32 v73, vcc, 0, v73, vcc
	v_add_co_u32_e32 v74, vcc, v60, v36
	v_addc_co_u32_e32 v75, vcc, v61, v37, vcc
	v_add_co_u32_e32 v74, vcc, 0x600, v74
	v_addc_co_u32_e32 v75, vcc, 0, v75, vcc
	v_cndmask_b32_e64 v73, v75, v73, s[0:1]
	v_cndmask_b32_e64 v72, v74, v72, s[0:1]
	global_load_dwordx4 v[72:75], v[72:73], off
	v_add_co_u32_e32 v76, vcc, v50, v0
	v_addc_co_u32_e32 v77, vcc, 0, v17, vcc
	v_lshlrev_b64 v[78:79], 2, v[76:77]
	v_mov_b32_e32 v80, s33
	v_add_co_u32_e32 v78, vcc, s39, v78
	v_addc_co_u32_e32 v79, vcc, v80, v79, vcc
	v_lshlrev_b64 v[76:77], 4, v[76:77]
	global_store_dword v[78:79], v69, off
	v_mov_b32_e32 v78, s53
	v_add_co_u32_e32 v76, vcc, s52, v76
	v_addc_co_u32_e32 v77, vcc, v78, v77, vcc
	s_waitcnt vmcnt(1)
	global_store_dwordx4 v[76:77], v[72:75], off
.LBB285_73:                             ;   in Loop: Header=BB285_21 Depth=1
	s_or_b64 exec, exec, s[50:51]
	s_mov_b64 s[50:51], exec
	v_readlane_b32 vcc_lo, v82, 55
	v_readlane_b32 vcc_hi, v82, 56
	s_and_b64 vcc, s[50:51], vcc
	s_mov_b64 exec, vcc
	s_cbranch_execz .LBB285_75
; %bb.74:                               ;   in Loop: Header=BB285_21 Depth=1
	v_add_co_u32_e32 v72, vcc, v51, v62
	v_addc_co_u32_e32 v73, vcc, 0, v71, vcc
	v_add_co_u32_e32 v72, vcc, s73, v72
	v_addc_co_u32_e32 v73, vcc, 0, v73, vcc
	;; [unrolled: 2-line block ×4, first 2 shown]
	v_cndmask_b32_e64 v73, v75, v73, s[0:1]
	v_cndmask_b32_e64 v72, v74, v72, s[0:1]
	global_load_dwordx4 v[72:75], v[72:73], off
	v_add_co_u32_e32 v76, vcc, v50, v0
	v_addc_co_u32_e32 v77, vcc, 0, v17, vcc
	v_lshlrev_b64 v[78:79], 2, v[76:77]
	v_mov_b32_e32 v80, s55
	v_add_co_u32_e32 v78, vcc, s54, v78
	v_addc_co_u32_e32 v79, vcc, v80, v79, vcc
	v_lshlrev_b64 v[76:77], 4, v[76:77]
	global_store_dword v[78:79], v68, off
	v_mov_b32_e32 v78, s57
	v_add_co_u32_e32 v76, vcc, s56, v76
	v_addc_co_u32_e32 v77, vcc, v78, v77, vcc
	s_waitcnt vmcnt(1)
	global_store_dwordx4 v[76:77], v[72:75], off
.LBB285_75:                             ;   in Loop: Header=BB285_21 Depth=1
	s_or_b64 exec, exec, s[50:51]
	s_mov_b64 s[50:51], exec
	v_readlane_b32 vcc_lo, v82, 57
	v_readlane_b32 vcc_hi, v82, 58
	s_and_b64 vcc, s[50:51], vcc
	s_mov_b64 exec, vcc
	s_cbranch_execz .LBB285_77
; %bb.76:                               ;   in Loop: Header=BB285_21 Depth=1
	v_add_co_u32_e32 v72, vcc, v51, v62
	v_addc_co_u32_e32 v73, vcc, 0, v71, vcc
	v_add_co_u32_e32 v74, vcc, v60, v40
	v_addc_co_u32_e32 v75, vcc, v61, v41, vcc
	v_cndmask_b32_e64 v73, v75, v73, s[0:1]
	v_cndmask_b32_e64 v72, v74, v72, s[0:1]
	global_load_dwordx4 v[72:75], v[72:73], off offset:1536
	v_add_co_u32_e32 v76, vcc, v50, v0
	v_addc_co_u32_e32 v77, vcc, 0, v17, vcc
	v_lshlrev_b64 v[78:79], 2, v[76:77]
	v_mov_b32_e32 v80, s11
	v_add_co_u32_e32 v78, vcc, s10, v78
	v_addc_co_u32_e32 v79, vcc, v80, v79, vcc
	v_lshlrev_b64 v[76:77], 4, v[76:77]
	global_store_dword v[78:79], v67, off
	v_mov_b32_e32 v78, s59
	v_add_co_u32_e32 v76, vcc, s58, v76
	v_addc_co_u32_e32 v77, vcc, v78, v77, vcc
	s_waitcnt vmcnt(1)
	global_store_dwordx4 v[76:77], v[72:75], off
.LBB285_77:                             ;   in Loop: Header=BB285_21 Depth=1
	s_or_b64 exec, exec, s[50:51]
	s_mov_b64 s[50:51], exec
	v_readlane_b32 vcc_lo, v82, 59
	v_readlane_b32 vcc_hi, v82, 60
	s_and_b64 vcc, s[50:51], vcc
	s_mov_b64 exec, vcc
	s_cbranch_execz .LBB285_79
; %bb.78:                               ;   in Loop: Header=BB285_21 Depth=1
	v_add_co_u32_e32 v72, vcc, v51, v62
	v_addc_co_u32_e32 v73, vcc, 0, v71, vcc
	v_add_co_u32_e32 v72, vcc, s75, v72
	v_addc_co_u32_e32 v73, vcc, 0, v73, vcc
	v_add_co_u32_e32 v74, vcc, v60, v42
	v_addc_co_u32_e32 v75, vcc, v61, v43, vcc
	v_add_co_u32_e32 v74, vcc, 0x600, v74
	v_addc_co_u32_e32 v75, vcc, 0, v75, vcc
	v_cndmask_b32_e64 v73, v75, v73, s[0:1]
	v_cndmask_b32_e64 v72, v74, v72, s[0:1]
	global_load_dwordx4 v[72:75], v[72:73], off
	v_add_co_u32_e32 v76, vcc, v50, v0
	v_addc_co_u32_e32 v77, vcc, 0, v17, vcc
	v_lshlrev_b64 v[78:79], 2, v[76:77]
	v_mov_b32_e32 v80, s61
	v_add_co_u32_e32 v78, vcc, s60, v78
	v_addc_co_u32_e32 v79, vcc, v80, v79, vcc
	v_lshlrev_b64 v[76:77], 4, v[76:77]
	global_store_dword v[78:79], v66, off
	v_mov_b32_e32 v78, s63
	v_add_co_u32_e32 v76, vcc, s62, v76
	v_addc_co_u32_e32 v77, vcc, v78, v77, vcc
	s_waitcnt vmcnt(1)
	global_store_dwordx4 v[76:77], v[72:75], off
.LBB285_79:                             ;   in Loop: Header=BB285_21 Depth=1
	s_or_b64 exec, exec, s[50:51]
	s_mov_b64 s[50:51], exec
	v_readlane_b32 vcc_lo, v82, 61
	v_readlane_b32 vcc_hi, v82, 62
	s_and_b64 vcc, s[50:51], vcc
	s_mov_b64 exec, vcc
	s_cbranch_execz .LBB285_81
; %bb.80:                               ;   in Loop: Header=BB285_21 Depth=1
	v_add_co_u32_e32 v72, vcc, v51, v62
	v_addc_co_u32_e32 v73, vcc, 0, v71, vcc
	v_add_co_u32_e32 v72, vcc, s76, v72
	v_addc_co_u32_e32 v73, vcc, 0, v73, vcc
	v_add_co_u32_e32 v74, vcc, v60, v44
	v_addc_co_u32_e32 v75, vcc, v61, v45, vcc
	v_add_co_u32_e32 v74, vcc, 0x600, v74
	v_addc_co_u32_e32 v75, vcc, 0, v75, vcc
	v_cndmask_b32_e64 v73, v75, v73, s[0:1]
	v_cndmask_b32_e64 v72, v74, v72, s[0:1]
	global_load_dwordx4 v[72:75], v[72:73], off
	v_add_co_u32_e32 v76, vcc, v50, v0
	v_addc_co_u32_e32 v77, vcc, 0, v17, vcc
	v_lshlrev_b64 v[78:79], 2, v[76:77]
	v_mov_b32_e32 v80, s3
	v_add_co_u32_e32 v78, vcc, s2, v78
	v_addc_co_u32_e32 v79, vcc, v80, v79, vcc
	v_lshlrev_b64 v[76:77], 4, v[76:77]
	global_store_dword v[78:79], v65, off
	v_mov_b32_e32 v78, s65
	v_add_co_u32_e32 v76, vcc, s64, v76
	v_addc_co_u32_e32 v77, vcc, v78, v77, vcc
	s_waitcnt vmcnt(1)
	global_store_dwordx4 v[76:77], v[72:75], off
.LBB285_81:                             ;   in Loop: Header=BB285_21 Depth=1
	;; [unrolled: 33-line block ×3, first 2 shown]
	s_or_b64 exec, exec, s[50:51]
	s_mov_b64 s[50:51], exec
	v_readlane_b32 vcc_lo, v81, 1
	v_readlane_b32 vcc_hi, v81, 2
	s_and_b64 vcc, s[50:51], vcc
	s_mov_b64 exec, vcc
	s_cbranch_execz .LBB285_85
; %bb.84:                               ;   in Loop: Header=BB285_21 Depth=1
	v_add_co_u32_e32 v51, vcc, v51, v62
	v_addc_co_u32_e32 v71, vcc, 0, v71, vcc
	v_add_co_u32_e32 v51, vcc, s6, v51
	v_addc_co_u32_e32 v71, vcc, 0, v71, vcc
	;; [unrolled: 2-line block ×4, first 2 shown]
	v_cndmask_b32_e64 v73, v73, v71, s[0:1]
	v_cndmask_b32_e64 v72, v72, v51, s[0:1]
	global_load_dwordx4 v[72:75], v[72:73], off
	v_add_co_u32_e32 v50, vcc, v50, v0
	v_addc_co_u32_e32 v51, vcc, 0, v17, vcc
	v_lshlrev_b64 v[76:77], 2, v[50:51]
	v_mov_b32_e32 v17, s13
	v_add_co_u32_e32 v76, vcc, s12, v76
	v_addc_co_u32_e32 v77, vcc, v17, v77, vcc
	v_lshlrev_b64 v[50:51], 4, v[50:51]
	v_mov_b32_e32 v17, s71
	v_add_co_u32_e32 v50, vcc, s70, v50
	v_addc_co_u32_e32 v51, vcc, v17, v51, vcc
	global_store_dword v[76:77], v70, off
	s_waitcnt vmcnt(1)
	global_store_dwordx4 v[50:51], v[72:75], off
.LBB285_85:                             ;   in Loop: Header=BB285_21 Depth=1
	s_or_b64 exec, exec, s[50:51]
	v_add_co_u32_e32 v71, vcc, s78, v10
	v_pk_mov_b32 v[50:51], s[44:45], s[44:45] op_sel:[0,1]
	v_mov_b32_e32 v17, s80
	v_mad_u64_u32 v[50:51], s[50:51], v71, s36, v[50:51]
	v_addc_co_u32_e32 v17, vcc, v9, v17, vcc
	v_mov_b32_e32 v72, v51
	v_mad_u64_u32 v[72:73], s[50:51], v17, s36, v[72:73]
	v_mov_b32_e32 v71, s79
	v_add_co_u32_e32 v51, vcc, s7, v26
	v_mov_b32_e32 v17, v72
	v_addc_co_u32_e32 v71, vcc, v71, v27, vcc
	s_mov_b64 s[50:51], exec
	v_readlane_b32 vcc_lo, v81, 3
	v_readlane_b32 vcc_hi, v81, 4
	s_and_b64 vcc, s[50:51], vcc
	s_mov_b64 exec, vcc
	s_cbranch_execz .LBB285_87
; %bb.86:                               ;   in Loop: Header=BB285_21 Depth=1
	v_add_co_u32_e32 v72, vcc, v51, v62
	v_addc_co_u32_e32 v73, vcc, 0, v71, vcc
	v_add_co_u32_e32 v74, vcc, v60, v34
	v_addc_co_u32_e32 v75, vcc, v61, v35, vcc
	;; [unrolled: 2-line block ×3, first 2 shown]
	v_cndmask_b32_e64 v73, v75, v73, s[0:1]
	v_cndmask_b32_e64 v72, v74, v72, s[0:1]
	global_load_dwordx4 v[72:75], v[72:73], off
	v_add_co_u32_e32 v76, vcc, v50, v0
	v_addc_co_u32_e32 v77, vcc, 0, v17, vcc
	v_lshlrev_b64 v[78:79], 2, v[76:77]
	v_mov_b32_e32 v80, s5
	v_add_co_u32_e32 v78, vcc, s4, v78
	v_addc_co_u32_e32 v79, vcc, v80, v79, vcc
	v_lshlrev_b64 v[76:77], 4, v[76:77]
	global_store_dword v[78:79], v63, off
	v_mov_b32_e32 v78, s47
	v_add_co_u32_e32 v76, vcc, s46, v76
	v_addc_co_u32_e32 v77, vcc, v78, v77, vcc
	s_waitcnt vmcnt(1)
	global_store_dwordx4 v[76:77], v[72:75], off
.LBB285_87:                             ;   in Loop: Header=BB285_21 Depth=1
	s_or_b64 exec, exec, s[50:51]
	s_mov_b64 s[50:51], exec
	v_readlane_b32 vcc_lo, v81, 5
	v_readlane_b32 vcc_hi, v81, 6
	s_and_b64 vcc, s[50:51], vcc
	s_mov_b64 exec, vcc
	s_cbranch_execz .LBB285_89
; %bb.88:                               ;   in Loop: Header=BB285_21 Depth=1
	v_add_co_u32_e32 v72, vcc, v51, v62
	v_addc_co_u32_e32 v73, vcc, 0, v71, vcc
	v_add_co_u32_e32 v72, vcc, s72, v72
	v_addc_co_u32_e32 v73, vcc, 0, v73, vcc
	v_add_co_u32_e32 v74, vcc, v60, v36
	v_addc_co_u32_e32 v75, vcc, v61, v37, vcc
	v_add_co_u32_e32 v74, vcc, 0x800, v74
	v_addc_co_u32_e32 v75, vcc, 0, v75, vcc
	v_cndmask_b32_e64 v73, v75, v73, s[0:1]
	v_cndmask_b32_e64 v72, v74, v72, s[0:1]
	global_load_dwordx4 v[72:75], v[72:73], off
	v_add_co_u32_e32 v76, vcc, v50, v0
	v_addc_co_u32_e32 v77, vcc, 0, v17, vcc
	v_lshlrev_b64 v[78:79], 2, v[76:77]
	v_mov_b32_e32 v80, s33
	v_add_co_u32_e32 v78, vcc, s39, v78
	v_addc_co_u32_e32 v79, vcc, v80, v79, vcc
	v_lshlrev_b64 v[76:77], 4, v[76:77]
	global_store_dword v[78:79], v69, off
	v_mov_b32_e32 v78, s53
	v_add_co_u32_e32 v76, vcc, s52, v76
	v_addc_co_u32_e32 v77, vcc, v78, v77, vcc
	s_waitcnt vmcnt(1)
	global_store_dwordx4 v[76:77], v[72:75], off
.LBB285_89:                             ;   in Loop: Header=BB285_21 Depth=1
	s_or_b64 exec, exec, s[50:51]
	s_mov_b64 s[50:51], exec
	v_readlane_b32 vcc_lo, v81, 7
	v_readlane_b32 vcc_hi, v81, 8
	s_and_b64 vcc, s[50:51], vcc
	s_mov_b64 exec, vcc
	s_cbranch_execz .LBB285_91
; %bb.90:                               ;   in Loop: Header=BB285_21 Depth=1
	v_add_co_u32_e32 v72, vcc, v51, v62
	v_addc_co_u32_e32 v73, vcc, 0, v71, vcc
	v_add_co_u32_e32 v72, vcc, s73, v72
	v_addc_co_u32_e32 v73, vcc, 0, v73, vcc
	v_add_co_u32_e32 v74, vcc, v60, v38
	v_addc_co_u32_e32 v75, vcc, v61, v39, vcc
	v_add_co_u32_e32 v74, vcc, 0x800, v74
	v_addc_co_u32_e32 v75, vcc, 0, v75, vcc
	v_cndmask_b32_e64 v73, v75, v73, s[0:1]
	v_cndmask_b32_e64 v72, v74, v72, s[0:1]
	global_load_dwordx4 v[72:75], v[72:73], off
	v_add_co_u32_e32 v76, vcc, v50, v0
	v_addc_co_u32_e32 v77, vcc, 0, v17, vcc
	v_lshlrev_b64 v[78:79], 2, v[76:77]
	v_mov_b32_e32 v80, s55
	v_add_co_u32_e32 v78, vcc, s54, v78
	v_addc_co_u32_e32 v79, vcc, v80, v79, vcc
	v_lshlrev_b64 v[76:77], 4, v[76:77]
	global_store_dword v[78:79], v68, off
	v_mov_b32_e32 v78, s57
	v_add_co_u32_e32 v76, vcc, s56, v76
	v_addc_co_u32_e32 v77, vcc, v78, v77, vcc
	s_waitcnt vmcnt(1)
	global_store_dwordx4 v[76:77], v[72:75], off
.LBB285_91:                             ;   in Loop: Header=BB285_21 Depth=1
	;; [unrolled: 33-line block ×3, first 2 shown]
	s_or_b64 exec, exec, s[50:51]
	s_mov_b64 s[50:51], exec
	v_readlane_b32 vcc_lo, v81, 11
	v_readlane_b32 vcc_hi, v81, 12
	s_and_b64 vcc, s[50:51], vcc
	s_mov_b64 exec, vcc
	s_cbranch_execz .LBB285_95
; %bb.94:                               ;   in Loop: Header=BB285_21 Depth=1
	v_add_co_u32_e32 v72, vcc, v51, v62
	v_addc_co_u32_e32 v73, vcc, 0, v71, vcc
	v_add_co_u32_e32 v74, vcc, v60, v42
	v_addc_co_u32_e32 v75, vcc, v61, v43, vcc
	v_cndmask_b32_e64 v73, v75, v73, s[0:1]
	v_cndmask_b32_e64 v72, v74, v72, s[0:1]
	global_load_dwordx4 v[72:75], v[72:73], off offset:2048
	v_add_co_u32_e32 v76, vcc, v50, v0
	v_addc_co_u32_e32 v77, vcc, 0, v17, vcc
	v_lshlrev_b64 v[78:79], 2, v[76:77]
	v_mov_b32_e32 v80, s61
	v_add_co_u32_e32 v78, vcc, s60, v78
	v_addc_co_u32_e32 v79, vcc, v80, v79, vcc
	v_lshlrev_b64 v[76:77], 4, v[76:77]
	global_store_dword v[78:79], v66, off
	v_mov_b32_e32 v78, s63
	v_add_co_u32_e32 v76, vcc, s62, v76
	v_addc_co_u32_e32 v77, vcc, v78, v77, vcc
	s_waitcnt vmcnt(1)
	global_store_dwordx4 v[76:77], v[72:75], off
.LBB285_95:                             ;   in Loop: Header=BB285_21 Depth=1
	s_or_b64 exec, exec, s[50:51]
	s_mov_b64 s[50:51], exec
	v_readlane_b32 vcc_lo, v81, 13
	v_readlane_b32 vcc_hi, v81, 14
	s_and_b64 vcc, s[50:51], vcc
	s_mov_b64 exec, vcc
	s_cbranch_execz .LBB285_97
; %bb.96:                               ;   in Loop: Header=BB285_21 Depth=1
	v_add_co_u32_e32 v72, vcc, v51, v62
	v_addc_co_u32_e32 v73, vcc, 0, v71, vcc
	v_add_co_u32_e32 v72, vcc, s76, v72
	v_addc_co_u32_e32 v73, vcc, 0, v73, vcc
	;; [unrolled: 2-line block ×4, first 2 shown]
	v_cndmask_b32_e64 v73, v75, v73, s[0:1]
	v_cndmask_b32_e64 v72, v74, v72, s[0:1]
	global_load_dwordx4 v[72:75], v[72:73], off
	v_add_co_u32_e32 v76, vcc, v50, v0
	v_addc_co_u32_e32 v77, vcc, 0, v17, vcc
	v_lshlrev_b64 v[78:79], 2, v[76:77]
	v_mov_b32_e32 v80, s3
	v_add_co_u32_e32 v78, vcc, s2, v78
	v_addc_co_u32_e32 v79, vcc, v80, v79, vcc
	v_lshlrev_b64 v[76:77], 4, v[76:77]
	global_store_dword v[78:79], v65, off
	v_mov_b32_e32 v78, s65
	v_add_co_u32_e32 v76, vcc, s64, v76
	v_addc_co_u32_e32 v77, vcc, v78, v77, vcc
	s_waitcnt vmcnt(1)
	global_store_dwordx4 v[76:77], v[72:75], off
.LBB285_97:                             ;   in Loop: Header=BB285_21 Depth=1
	s_or_b64 exec, exec, s[50:51]
	s_mov_b64 s[50:51], exec
	v_readlane_b32 vcc_lo, v81, 15
	v_readlane_b32 vcc_hi, v81, 16
	s_and_b64 vcc, s[50:51], vcc
	s_mov_b64 exec, vcc
	s_cbranch_execz .LBB285_99
; %bb.98:                               ;   in Loop: Header=BB285_21 Depth=1
	v_add_co_u32_e32 v72, vcc, v51, v62
	v_addc_co_u32_e32 v73, vcc, 0, v71, vcc
	v_add_co_u32_e32 v72, vcc, s77, v72
	v_addc_co_u32_e32 v73, vcc, 0, v73, vcc
	;; [unrolled: 2-line block ×4, first 2 shown]
	v_cndmask_b32_e64 v73, v75, v73, s[0:1]
	v_cndmask_b32_e64 v72, v74, v72, s[0:1]
	global_load_dwordx4 v[72:75], v[72:73], off
	v_add_co_u32_e32 v76, vcc, v50, v0
	v_addc_co_u32_e32 v77, vcc, 0, v17, vcc
	v_lshlrev_b64 v[78:79], 2, v[76:77]
	v_mov_b32_e32 v80, s67
	v_add_co_u32_e32 v78, vcc, s66, v78
	v_addc_co_u32_e32 v79, vcc, v80, v79, vcc
	v_lshlrev_b64 v[76:77], 4, v[76:77]
	global_store_dword v[78:79], v64, off
	v_mov_b32_e32 v78, s69
	v_add_co_u32_e32 v76, vcc, s68, v76
	v_addc_co_u32_e32 v77, vcc, v78, v77, vcc
	s_waitcnt vmcnt(1)
	global_store_dwordx4 v[76:77], v[72:75], off
.LBB285_99:                             ;   in Loop: Header=BB285_21 Depth=1
	s_or_b64 exec, exec, s[50:51]
	s_mov_b64 s[50:51], exec
	v_readlane_b32 vcc_lo, v81, 17
	v_readlane_b32 vcc_hi, v81, 18
	s_and_b64 vcc, s[50:51], vcc
	s_mov_b64 exec, vcc
	s_cbranch_execz .LBB285_101
; %bb.100:                              ;   in Loop: Header=BB285_21 Depth=1
	v_add_co_u32_e32 v51, vcc, v51, v62
	v_addc_co_u32_e32 v71, vcc, 0, v71, vcc
	v_add_co_u32_e32 v51, vcc, s6, v51
	v_addc_co_u32_e32 v71, vcc, 0, v71, vcc
	;; [unrolled: 2-line block ×4, first 2 shown]
	v_cndmask_b32_e64 v73, v73, v71, s[0:1]
	v_cndmask_b32_e64 v72, v72, v51, s[0:1]
	global_load_dwordx4 v[72:75], v[72:73], off
	v_add_co_u32_e32 v50, vcc, v50, v0
	v_addc_co_u32_e32 v51, vcc, 0, v17, vcc
	v_lshlrev_b64 v[76:77], 2, v[50:51]
	v_mov_b32_e32 v17, s13
	v_add_co_u32_e32 v76, vcc, s12, v76
	v_addc_co_u32_e32 v77, vcc, v17, v77, vcc
	v_lshlrev_b64 v[50:51], 4, v[50:51]
	v_mov_b32_e32 v17, s71
	v_add_co_u32_e32 v50, vcc, s70, v50
	v_addc_co_u32_e32 v51, vcc, v17, v51, vcc
	global_store_dword v[76:77], v70, off
	s_waitcnt vmcnt(1)
	global_store_dwordx4 v[50:51], v[72:75], off
.LBB285_101:                            ;   in Loop: Header=BB285_21 Depth=1
	s_or_b64 exec, exec, s[50:51]
	v_add_co_u32_e32 v71, vcc, s78, v12
	v_pk_mov_b32 v[50:51], s[44:45], s[44:45] op_sel:[0,1]
	v_mov_b32_e32 v17, s80
	v_mad_u64_u32 v[50:51], s[50:51], v71, s36, v[50:51]
	v_addc_co_u32_e32 v17, vcc, v11, v17, vcc
	v_mov_b32_e32 v72, v51
	v_mad_u64_u32 v[72:73], s[50:51], v17, s36, v[72:73]
	v_mov_b32_e32 v71, s79
	v_add_co_u32_e32 v51, vcc, s7, v28
	v_mov_b32_e32 v17, v72
	v_addc_co_u32_e32 v71, vcc, v71, v29, vcc
	s_mov_b64 s[50:51], exec
	v_readlane_b32 vcc_lo, v81, 19
	v_readlane_b32 vcc_hi, v81, 20
	s_and_b64 vcc, s[50:51], vcc
	s_mov_b64 exec, vcc
	s_cbranch_execz .LBB285_103
; %bb.102:                              ;   in Loop: Header=BB285_21 Depth=1
	v_add_co_u32_e32 v72, vcc, v51, v62
	v_addc_co_u32_e32 v73, vcc, 0, v71, vcc
	v_add_co_u32_e32 v74, vcc, v60, v34
	v_addc_co_u32_e32 v75, vcc, v61, v35, vcc
	;; [unrolled: 2-line block ×3, first 2 shown]
	v_cndmask_b32_e64 v73, v75, v73, s[0:1]
	v_cndmask_b32_e64 v72, v74, v72, s[0:1]
	global_load_dwordx4 v[72:75], v[72:73], off
	v_add_co_u32_e32 v76, vcc, v50, v0
	v_addc_co_u32_e32 v77, vcc, 0, v17, vcc
	v_lshlrev_b64 v[78:79], 2, v[76:77]
	v_mov_b32_e32 v80, s5
	v_add_co_u32_e32 v78, vcc, s4, v78
	v_addc_co_u32_e32 v79, vcc, v80, v79, vcc
	v_lshlrev_b64 v[76:77], 4, v[76:77]
	global_store_dword v[78:79], v63, off
	v_mov_b32_e32 v78, s47
	v_add_co_u32_e32 v76, vcc, s46, v76
	v_addc_co_u32_e32 v77, vcc, v78, v77, vcc
	s_waitcnt vmcnt(1)
	global_store_dwordx4 v[76:77], v[72:75], off
.LBB285_103:                            ;   in Loop: Header=BB285_21 Depth=1
	s_or_b64 exec, exec, s[50:51]
	s_mov_b64 s[50:51], exec
	v_readlane_b32 vcc_lo, v81, 21
	v_readlane_b32 vcc_hi, v81, 22
	s_and_b64 vcc, s[50:51], vcc
	s_mov_b64 exec, vcc
	s_cbranch_execz .LBB285_105
; %bb.104:                              ;   in Loop: Header=BB285_21 Depth=1
	v_add_co_u32_e32 v72, vcc, v51, v62
	v_addc_co_u32_e32 v73, vcc, 0, v71, vcc
	v_add_co_u32_e32 v72, vcc, s72, v72
	v_addc_co_u32_e32 v73, vcc, 0, v73, vcc
	v_add_co_u32_e32 v74, vcc, v60, v36
	v_addc_co_u32_e32 v75, vcc, v61, v37, vcc
	v_add_co_u32_e32 v74, vcc, 0xa00, v74
	v_addc_co_u32_e32 v75, vcc, 0, v75, vcc
	v_cndmask_b32_e64 v73, v75, v73, s[0:1]
	v_cndmask_b32_e64 v72, v74, v72, s[0:1]
	global_load_dwordx4 v[72:75], v[72:73], off
	v_add_co_u32_e32 v76, vcc, v50, v0
	v_addc_co_u32_e32 v77, vcc, 0, v17, vcc
	v_lshlrev_b64 v[78:79], 2, v[76:77]
	v_mov_b32_e32 v80, s33
	v_add_co_u32_e32 v78, vcc, s39, v78
	v_addc_co_u32_e32 v79, vcc, v80, v79, vcc
	v_lshlrev_b64 v[76:77], 4, v[76:77]
	global_store_dword v[78:79], v69, off
	v_mov_b32_e32 v78, s53
	v_add_co_u32_e32 v76, vcc, s52, v76
	v_addc_co_u32_e32 v77, vcc, v78, v77, vcc
	s_waitcnt vmcnt(1)
	global_store_dwordx4 v[76:77], v[72:75], off
.LBB285_105:                            ;   in Loop: Header=BB285_21 Depth=1
	s_or_b64 exec, exec, s[50:51]
	s_mov_b64 s[50:51], exec
	v_readlane_b32 vcc_lo, v81, 23
	v_readlane_b32 vcc_hi, v81, 24
	s_and_b64 vcc, s[50:51], vcc
	s_mov_b64 exec, vcc
	s_cbranch_execz .LBB285_107
; %bb.106:                              ;   in Loop: Header=BB285_21 Depth=1
	v_add_co_u32_e32 v72, vcc, v51, v62
	v_addc_co_u32_e32 v73, vcc, 0, v71, vcc
	v_add_co_u32_e32 v72, vcc, s73, v72
	v_addc_co_u32_e32 v73, vcc, 0, v73, vcc
	v_add_co_u32_e32 v74, vcc, v60, v38
	v_addc_co_u32_e32 v75, vcc, v61, v39, vcc
	v_add_co_u32_e32 v74, vcc, 0xa00, v74
	v_addc_co_u32_e32 v75, vcc, 0, v75, vcc
	v_cndmask_b32_e64 v73, v75, v73, s[0:1]
	v_cndmask_b32_e64 v72, v74, v72, s[0:1]
	global_load_dwordx4 v[72:75], v[72:73], off
	v_add_co_u32_e32 v76, vcc, v50, v0
	v_addc_co_u32_e32 v77, vcc, 0, v17, vcc
	v_lshlrev_b64 v[78:79], 2, v[76:77]
	v_mov_b32_e32 v80, s55
	v_add_co_u32_e32 v78, vcc, s54, v78
	v_addc_co_u32_e32 v79, vcc, v80, v79, vcc
	v_lshlrev_b64 v[76:77], 4, v[76:77]
	global_store_dword v[78:79], v68, off
	v_mov_b32_e32 v78, s57
	v_add_co_u32_e32 v76, vcc, s56, v76
	v_addc_co_u32_e32 v77, vcc, v78, v77, vcc
	s_waitcnt vmcnt(1)
	global_store_dwordx4 v[76:77], v[72:75], off
.LBB285_107:                            ;   in Loop: Header=BB285_21 Depth=1
	;; [unrolled: 33-line block ×4, first 2 shown]
	s_or_b64 exec, exec, s[50:51]
	s_mov_b64 s[50:51], exec
	v_readlane_b32 vcc_lo, v81, 29
	v_readlane_b32 vcc_hi, v81, 30
	s_and_b64 vcc, s[50:51], vcc
	s_mov_b64 exec, vcc
	s_cbranch_execz .LBB285_113
; %bb.112:                              ;   in Loop: Header=BB285_21 Depth=1
	v_add_co_u32_e32 v72, vcc, v51, v62
	v_addc_co_u32_e32 v73, vcc, 0, v71, vcc
	v_add_co_u32_e32 v74, vcc, v60, v44
	v_addc_co_u32_e32 v75, vcc, v61, v45, vcc
	v_cndmask_b32_e64 v73, v75, v73, s[0:1]
	v_cndmask_b32_e64 v72, v74, v72, s[0:1]
	global_load_dwordx4 v[72:75], v[72:73], off offset:2560
	v_add_co_u32_e32 v76, vcc, v50, v0
	v_addc_co_u32_e32 v77, vcc, 0, v17, vcc
	v_lshlrev_b64 v[78:79], 2, v[76:77]
	v_mov_b32_e32 v80, s3
	v_add_co_u32_e32 v78, vcc, s2, v78
	v_addc_co_u32_e32 v79, vcc, v80, v79, vcc
	v_lshlrev_b64 v[76:77], 4, v[76:77]
	global_store_dword v[78:79], v65, off
	v_mov_b32_e32 v78, s65
	v_add_co_u32_e32 v76, vcc, s64, v76
	v_addc_co_u32_e32 v77, vcc, v78, v77, vcc
	s_waitcnt vmcnt(1)
	global_store_dwordx4 v[76:77], v[72:75], off
.LBB285_113:                            ;   in Loop: Header=BB285_21 Depth=1
	s_or_b64 exec, exec, s[50:51]
	s_mov_b64 s[50:51], exec
	v_readlane_b32 vcc_lo, v81, 31
	v_readlane_b32 vcc_hi, v81, 32
	s_and_b64 vcc, s[50:51], vcc
	s_mov_b64 exec, vcc
	s_cbranch_execz .LBB285_115
; %bb.114:                              ;   in Loop: Header=BB285_21 Depth=1
	v_add_co_u32_e32 v72, vcc, v51, v62
	v_addc_co_u32_e32 v73, vcc, 0, v71, vcc
	v_add_co_u32_e32 v72, vcc, s77, v72
	v_addc_co_u32_e32 v73, vcc, 0, v73, vcc
	;; [unrolled: 2-line block ×4, first 2 shown]
	v_cndmask_b32_e64 v73, v75, v73, s[0:1]
	v_cndmask_b32_e64 v72, v74, v72, s[0:1]
	global_load_dwordx4 v[72:75], v[72:73], off
	v_add_co_u32_e32 v76, vcc, v50, v0
	v_addc_co_u32_e32 v77, vcc, 0, v17, vcc
	v_lshlrev_b64 v[78:79], 2, v[76:77]
	v_mov_b32_e32 v80, s67
	v_add_co_u32_e32 v78, vcc, s66, v78
	v_addc_co_u32_e32 v79, vcc, v80, v79, vcc
	v_lshlrev_b64 v[76:77], 4, v[76:77]
	global_store_dword v[78:79], v64, off
	v_mov_b32_e32 v78, s69
	v_add_co_u32_e32 v76, vcc, s68, v76
	v_addc_co_u32_e32 v77, vcc, v78, v77, vcc
	s_waitcnt vmcnt(1)
	global_store_dwordx4 v[76:77], v[72:75], off
.LBB285_115:                            ;   in Loop: Header=BB285_21 Depth=1
	s_or_b64 exec, exec, s[50:51]
	s_and_saveexec_b64 s[50:51], s[14:15]
	s_cbranch_execz .LBB285_117
; %bb.116:                              ;   in Loop: Header=BB285_21 Depth=1
	v_add_co_u32_e32 v51, vcc, v51, v62
	v_addc_co_u32_e32 v71, vcc, 0, v71, vcc
	v_add_co_u32_e32 v51, vcc, s6, v51
	v_addc_co_u32_e32 v71, vcc, 0, v71, vcc
	;; [unrolled: 2-line block ×4, first 2 shown]
	v_cndmask_b32_e64 v73, v73, v71, s[0:1]
	v_cndmask_b32_e64 v72, v72, v51, s[0:1]
	global_load_dwordx4 v[72:75], v[72:73], off
	v_add_co_u32_e32 v50, vcc, v50, v0
	v_addc_co_u32_e32 v51, vcc, 0, v17, vcc
	v_lshlrev_b64 v[76:77], 2, v[50:51]
	v_mov_b32_e32 v17, s13
	v_add_co_u32_e32 v76, vcc, s12, v76
	v_addc_co_u32_e32 v77, vcc, v17, v77, vcc
	v_lshlrev_b64 v[50:51], 4, v[50:51]
	v_mov_b32_e32 v17, s71
	v_add_co_u32_e32 v50, vcc, s70, v50
	v_addc_co_u32_e32 v51, vcc, v17, v51, vcc
	global_store_dword v[76:77], v70, off
	s_waitcnt vmcnt(1)
	global_store_dwordx4 v[50:51], v[72:75], off
.LBB285_117:                            ;   in Loop: Header=BB285_21 Depth=1
	s_or_b64 exec, exec, s[50:51]
	v_add_co_u32_e32 v71, vcc, s78, v14
	v_pk_mov_b32 v[50:51], s[44:45], s[44:45] op_sel:[0,1]
	v_mov_b32_e32 v17, s80
	v_mad_u64_u32 v[50:51], s[50:51], v71, s36, v[50:51]
	v_addc_co_u32_e32 v17, vcc, v13, v17, vcc
	v_mov_b32_e32 v72, v51
	v_mad_u64_u32 v[72:73], s[50:51], v17, s36, v[72:73]
	v_mov_b32_e32 v71, s79
	v_add_co_u32_e32 v51, vcc, s7, v30
	v_mov_b32_e32 v17, v72
	v_addc_co_u32_e32 v71, vcc, v71, v31, vcc
	s_and_saveexec_b64 s[50:51], s[82:83]
	s_cbranch_execnz .LBB285_134
; %bb.118:                              ;   in Loop: Header=BB285_21 Depth=1
	s_or_b64 exec, exec, s[50:51]
	s_and_saveexec_b64 s[50:51], s[84:85]
	s_cbranch_execnz .LBB285_135
.LBB285_119:                            ;   in Loop: Header=BB285_21 Depth=1
	s_or_b64 exec, exec, s[50:51]
	s_and_saveexec_b64 s[50:51], s[86:87]
	s_cbranch_execnz .LBB285_136
.LBB285_120:                            ;   in Loop: Header=BB285_21 Depth=1
	s_or_b64 exec, exec, s[50:51]
	s_and_saveexec_b64 s[50:51], s[88:89]
	s_cbranch_execnz .LBB285_137
.LBB285_121:                            ;   in Loop: Header=BB285_21 Depth=1
	s_or_b64 exec, exec, s[50:51]
	s_and_saveexec_b64 s[50:51], s[90:91]
	s_cbranch_execnz .LBB285_138
.LBB285_122:                            ;   in Loop: Header=BB285_21 Depth=1
	s_or_b64 exec, exec, s[50:51]
	s_and_saveexec_b64 s[50:51], s[8:9]
	s_cbranch_execnz .LBB285_139
.LBB285_123:                            ;   in Loop: Header=BB285_21 Depth=1
	s_or_b64 exec, exec, s[50:51]
	s_and_saveexec_b64 s[50:51], s[92:93]
	s_cbranch_execnz .LBB285_140
.LBB285_124:                            ;   in Loop: Header=BB285_21 Depth=1
	s_or_b64 exec, exec, s[50:51]
	s_and_saveexec_b64 s[50:51], s[16:17]
	s_cbranch_execz .LBB285_126
.LBB285_125:                            ;   in Loop: Header=BB285_21 Depth=1
	v_add_co_u32_e32 v51, vcc, v51, v62
	v_addc_co_u32_e32 v71, vcc, 0, v71, vcc
	v_add_co_u32_e32 v51, vcc, s6, v51
	v_addc_co_u32_e32 v71, vcc, 0, v71, vcc
	;; [unrolled: 2-line block ×4, first 2 shown]
	v_cndmask_b32_e64 v73, v73, v71, s[0:1]
	v_cndmask_b32_e64 v72, v72, v51, s[0:1]
	global_load_dwordx4 v[72:75], v[72:73], off
	v_add_co_u32_e32 v50, vcc, v50, v0
	v_addc_co_u32_e32 v51, vcc, 0, v17, vcc
	v_lshlrev_b64 v[76:77], 2, v[50:51]
	v_mov_b32_e32 v17, s13
	v_add_co_u32_e32 v76, vcc, s12, v76
	v_addc_co_u32_e32 v77, vcc, v17, v77, vcc
	v_lshlrev_b64 v[50:51], 4, v[50:51]
	v_mov_b32_e32 v17, s71
	v_add_co_u32_e32 v50, vcc, s70, v50
	v_addc_co_u32_e32 v51, vcc, v17, v51, vcc
	global_store_dword v[76:77], v70, off
	s_waitcnt vmcnt(1)
	global_store_dwordx4 v[50:51], v[72:75], off
.LBB285_126:                            ;   in Loop: Header=BB285_21 Depth=1
	s_or_b64 exec, exec, s[50:51]
	v_add_co_u32_e32 v71, vcc, s78, v16
	v_pk_mov_b32 v[50:51], s[44:45], s[44:45] op_sel:[0,1]
	v_mov_b32_e32 v17, s80
	v_mad_u64_u32 v[50:51], s[50:51], v71, s36, v[50:51]
	v_addc_co_u32_e32 v17, vcc, v15, v17, vcc
	v_mov_b32_e32 v72, v51
	v_mad_u64_u32 v[72:73], s[50:51], v17, s36, v[72:73]
	v_mov_b32_e32 v71, s79
	v_add_co_u32_e32 v51, vcc, s7, v32
	v_mov_b32_e32 v17, v72
	v_addc_co_u32_e32 v71, vcc, v71, v33, vcc
	s_and_saveexec_b64 s[50:51], s[94:95]
	s_cbranch_execnz .LBB285_141
; %bb.127:                              ;   in Loop: Header=BB285_21 Depth=1
	s_or_b64 exec, exec, s[50:51]
	s_and_saveexec_b64 s[50:51], s[20:21]
	s_cbranch_execnz .LBB285_142
.LBB285_128:                            ;   in Loop: Header=BB285_21 Depth=1
	s_or_b64 exec, exec, s[50:51]
	s_and_saveexec_b64 s[50:51], s[22:23]
	s_cbranch_execnz .LBB285_143
.LBB285_129:                            ;   in Loop: Header=BB285_21 Depth=1
	s_or_b64 exec, exec, s[50:51]
	s_and_saveexec_b64 s[50:51], s[24:25]
	s_cbranch_execnz .LBB285_144
.LBB285_130:                            ;   in Loop: Header=BB285_21 Depth=1
	s_or_b64 exec, exec, s[50:51]
	s_and_saveexec_b64 s[50:51], s[26:27]
	s_cbranch_execnz .LBB285_145
.LBB285_131:                            ;   in Loop: Header=BB285_21 Depth=1
	s_or_b64 exec, exec, s[50:51]
	s_and_saveexec_b64 s[50:51], s[28:29]
	s_cbranch_execnz .LBB285_146
.LBB285_132:                            ;   in Loop: Header=BB285_21 Depth=1
	s_or_b64 exec, exec, s[50:51]
	s_and_saveexec_b64 s[50:51], s[30:31]
	s_cbranch_execnz .LBB285_147
.LBB285_133:                            ;   in Loop: Header=BB285_21 Depth=1
	s_or_b64 exec, exec, s[50:51]
	s_and_saveexec_b64 s[50:51], s[18:19]
	s_cbranch_execz .LBB285_20
	s_branch .LBB285_148
.LBB285_134:                            ;   in Loop: Header=BB285_21 Depth=1
	v_add_co_u32_e32 v72, vcc, v51, v62
	v_addc_co_u32_e32 v73, vcc, 0, v71, vcc
	v_add_co_u32_e32 v74, vcc, v60, v34
	v_addc_co_u32_e32 v75, vcc, v61, v35, vcc
	;; [unrolled: 2-line block ×3, first 2 shown]
	v_cndmask_b32_e64 v73, v75, v73, s[0:1]
	v_cndmask_b32_e64 v72, v74, v72, s[0:1]
	global_load_dwordx4 v[72:75], v[72:73], off
	v_add_co_u32_e32 v76, vcc, v50, v0
	v_addc_co_u32_e32 v77, vcc, 0, v17, vcc
	v_lshlrev_b64 v[78:79], 2, v[76:77]
	v_mov_b32_e32 v80, s5
	v_add_co_u32_e32 v78, vcc, s4, v78
	v_addc_co_u32_e32 v79, vcc, v80, v79, vcc
	v_lshlrev_b64 v[76:77], 4, v[76:77]
	global_store_dword v[78:79], v63, off
	v_mov_b32_e32 v78, s47
	v_add_co_u32_e32 v76, vcc, s46, v76
	v_addc_co_u32_e32 v77, vcc, v78, v77, vcc
	s_waitcnt vmcnt(1)
	global_store_dwordx4 v[76:77], v[72:75], off
	s_or_b64 exec, exec, s[50:51]
	s_and_saveexec_b64 s[50:51], s[84:85]
	s_cbranch_execz .LBB285_119
.LBB285_135:                            ;   in Loop: Header=BB285_21 Depth=1
	v_add_co_u32_e32 v72, vcc, v51, v62
	v_addc_co_u32_e32 v73, vcc, 0, v71, vcc
	v_add_co_u32_e32 v72, vcc, s72, v72
	v_addc_co_u32_e32 v73, vcc, 0, v73, vcc
	;; [unrolled: 2-line block ×4, first 2 shown]
	v_cndmask_b32_e64 v73, v75, v73, s[0:1]
	v_cndmask_b32_e64 v72, v74, v72, s[0:1]
	global_load_dwordx4 v[72:75], v[72:73], off
	v_add_co_u32_e32 v76, vcc, v50, v0
	v_addc_co_u32_e32 v77, vcc, 0, v17, vcc
	v_lshlrev_b64 v[78:79], 2, v[76:77]
	v_mov_b32_e32 v80, s33
	v_add_co_u32_e32 v78, vcc, s39, v78
	v_addc_co_u32_e32 v79, vcc, v80, v79, vcc
	v_lshlrev_b64 v[76:77], 4, v[76:77]
	global_store_dword v[78:79], v69, off
	v_mov_b32_e32 v78, s53
	v_add_co_u32_e32 v76, vcc, s52, v76
	v_addc_co_u32_e32 v77, vcc, v78, v77, vcc
	s_waitcnt vmcnt(1)
	global_store_dwordx4 v[76:77], v[72:75], off
	s_or_b64 exec, exec, s[50:51]
	s_and_saveexec_b64 s[50:51], s[86:87]
	s_cbranch_execz .LBB285_120
.LBB285_136:                            ;   in Loop: Header=BB285_21 Depth=1
	v_add_co_u32_e32 v72, vcc, v51, v62
	v_addc_co_u32_e32 v73, vcc, 0, v71, vcc
	v_add_co_u32_e32 v72, vcc, s73, v72
	v_addc_co_u32_e32 v73, vcc, 0, v73, vcc
	;; [unrolled: 2-line block ×4, first 2 shown]
	v_cndmask_b32_e64 v73, v75, v73, s[0:1]
	v_cndmask_b32_e64 v72, v74, v72, s[0:1]
	global_load_dwordx4 v[72:75], v[72:73], off
	v_add_co_u32_e32 v76, vcc, v50, v0
	v_addc_co_u32_e32 v77, vcc, 0, v17, vcc
	v_lshlrev_b64 v[78:79], 2, v[76:77]
	v_mov_b32_e32 v80, s55
	v_add_co_u32_e32 v78, vcc, s54, v78
	v_addc_co_u32_e32 v79, vcc, v80, v79, vcc
	v_lshlrev_b64 v[76:77], 4, v[76:77]
	global_store_dword v[78:79], v68, off
	v_mov_b32_e32 v78, s57
	v_add_co_u32_e32 v76, vcc, s56, v76
	v_addc_co_u32_e32 v77, vcc, v78, v77, vcc
	s_waitcnt vmcnt(1)
	global_store_dwordx4 v[76:77], v[72:75], off
	s_or_b64 exec, exec, s[50:51]
	s_and_saveexec_b64 s[50:51], s[88:89]
	s_cbranch_execz .LBB285_121
.LBB285_137:                            ;   in Loop: Header=BB285_21 Depth=1
	v_add_co_u32_e32 v72, vcc, v51, v62
	v_addc_co_u32_e32 v73, vcc, 0, v71, vcc
	v_add_co_u32_e32 v72, vcc, s74, v72
	v_addc_co_u32_e32 v73, vcc, 0, v73, vcc
	v_add_co_u32_e32 v74, vcc, v60, v40
	v_addc_co_u32_e32 v75, vcc, v61, v41, vcc
	v_add_co_u32_e32 v74, vcc, 0xc00, v74
	v_addc_co_u32_e32 v75, vcc, 0, v75, vcc
	v_cndmask_b32_e64 v73, v75, v73, s[0:1]
	v_cndmask_b32_e64 v72, v74, v72, s[0:1]
	global_load_dwordx4 v[72:75], v[72:73], off
	v_add_co_u32_e32 v76, vcc, v50, v0
	v_addc_co_u32_e32 v77, vcc, 0, v17, vcc
	v_lshlrev_b64 v[78:79], 2, v[76:77]
	v_mov_b32_e32 v80, s11
	v_add_co_u32_e32 v78, vcc, s10, v78
	v_addc_co_u32_e32 v79, vcc, v80, v79, vcc
	v_lshlrev_b64 v[76:77], 4, v[76:77]
	global_store_dword v[78:79], v67, off
	v_mov_b32_e32 v78, s59
	v_add_co_u32_e32 v76, vcc, s58, v76
	v_addc_co_u32_e32 v77, vcc, v78, v77, vcc
	s_waitcnt vmcnt(1)
	global_store_dwordx4 v[76:77], v[72:75], off
	s_or_b64 exec, exec, s[50:51]
	s_and_saveexec_b64 s[50:51], s[90:91]
	s_cbranch_execz .LBB285_122
.LBB285_138:                            ;   in Loop: Header=BB285_21 Depth=1
	v_add_co_u32_e32 v72, vcc, v51, v62
	v_addc_co_u32_e32 v73, vcc, 0, v71, vcc
	v_add_co_u32_e32 v72, vcc, s75, v72
	v_addc_co_u32_e32 v73, vcc, 0, v73, vcc
	;; [unrolled: 2-line block ×4, first 2 shown]
	v_cndmask_b32_e64 v73, v75, v73, s[0:1]
	v_cndmask_b32_e64 v72, v74, v72, s[0:1]
	global_load_dwordx4 v[72:75], v[72:73], off
	v_add_co_u32_e32 v76, vcc, v50, v0
	v_addc_co_u32_e32 v77, vcc, 0, v17, vcc
	v_lshlrev_b64 v[78:79], 2, v[76:77]
	v_mov_b32_e32 v80, s61
	v_add_co_u32_e32 v78, vcc, s60, v78
	v_addc_co_u32_e32 v79, vcc, v80, v79, vcc
	v_lshlrev_b64 v[76:77], 4, v[76:77]
	global_store_dword v[78:79], v66, off
	v_mov_b32_e32 v78, s63
	v_add_co_u32_e32 v76, vcc, s62, v76
	v_addc_co_u32_e32 v77, vcc, v78, v77, vcc
	s_waitcnt vmcnt(1)
	global_store_dwordx4 v[76:77], v[72:75], off
	s_or_b64 exec, exec, s[50:51]
	s_and_saveexec_b64 s[50:51], s[8:9]
	s_cbranch_execz .LBB285_123
.LBB285_139:                            ;   in Loop: Header=BB285_21 Depth=1
	v_add_co_u32_e32 v72, vcc, v51, v62
	v_addc_co_u32_e32 v73, vcc, 0, v71, vcc
	v_add_co_u32_e32 v72, vcc, s76, v72
	v_addc_co_u32_e32 v73, vcc, 0, v73, vcc
	;; [unrolled: 2-line block ×4, first 2 shown]
	v_cndmask_b32_e64 v73, v75, v73, s[0:1]
	v_cndmask_b32_e64 v72, v74, v72, s[0:1]
	global_load_dwordx4 v[72:75], v[72:73], off
	v_add_co_u32_e32 v76, vcc, v50, v0
	v_addc_co_u32_e32 v77, vcc, 0, v17, vcc
	v_lshlrev_b64 v[78:79], 2, v[76:77]
	v_mov_b32_e32 v80, s3
	v_add_co_u32_e32 v78, vcc, s2, v78
	v_addc_co_u32_e32 v79, vcc, v80, v79, vcc
	v_lshlrev_b64 v[76:77], 4, v[76:77]
	global_store_dword v[78:79], v65, off
	v_mov_b32_e32 v78, s65
	v_add_co_u32_e32 v76, vcc, s64, v76
	v_addc_co_u32_e32 v77, vcc, v78, v77, vcc
	s_waitcnt vmcnt(1)
	global_store_dwordx4 v[76:77], v[72:75], off
	s_or_b64 exec, exec, s[50:51]
	s_and_saveexec_b64 s[50:51], s[92:93]
	s_cbranch_execz .LBB285_124
.LBB285_140:                            ;   in Loop: Header=BB285_21 Depth=1
	v_add_co_u32_e32 v72, vcc, v51, v62
	v_addc_co_u32_e32 v73, vcc, 0, v71, vcc
	v_add_co_u32_e32 v74, vcc, v60, v46
	v_addc_co_u32_e32 v75, vcc, v61, v47, vcc
	v_cndmask_b32_e64 v73, v75, v73, s[0:1]
	v_cndmask_b32_e64 v72, v74, v72, s[0:1]
	global_load_dwordx4 v[72:75], v[72:73], off offset:3072
	v_add_co_u32_e32 v76, vcc, v50, v0
	v_addc_co_u32_e32 v77, vcc, 0, v17, vcc
	v_lshlrev_b64 v[78:79], 2, v[76:77]
	v_mov_b32_e32 v80, s67
	v_add_co_u32_e32 v78, vcc, s66, v78
	v_addc_co_u32_e32 v79, vcc, v80, v79, vcc
	v_lshlrev_b64 v[76:77], 4, v[76:77]
	global_store_dword v[78:79], v64, off
	v_mov_b32_e32 v78, s69
	v_add_co_u32_e32 v76, vcc, s68, v76
	v_addc_co_u32_e32 v77, vcc, v78, v77, vcc
	s_waitcnt vmcnt(1)
	global_store_dwordx4 v[76:77], v[72:75], off
	s_or_b64 exec, exec, s[50:51]
	s_and_saveexec_b64 s[50:51], s[16:17]
	s_cbranch_execnz .LBB285_125
	s_branch .LBB285_126
.LBB285_141:                            ;   in Loop: Header=BB285_21 Depth=1
	v_add_co_u32_e32 v72, vcc, v51, v62
	v_addc_co_u32_e32 v73, vcc, 0, v71, vcc
	v_add_co_u32_e32 v74, vcc, v60, v34
	v_addc_co_u32_e32 v75, vcc, v61, v35, vcc
	;; [unrolled: 2-line block ×3, first 2 shown]
	v_cndmask_b32_e64 v73, v75, v73, s[0:1]
	v_cndmask_b32_e64 v72, v74, v72, s[0:1]
	global_load_dwordx4 v[72:75], v[72:73], off
	v_add_co_u32_e32 v76, vcc, v50, v0
	v_addc_co_u32_e32 v77, vcc, 0, v17, vcc
	v_lshlrev_b64 v[78:79], 2, v[76:77]
	v_mov_b32_e32 v80, s5
	v_add_co_u32_e32 v78, vcc, s4, v78
	v_addc_co_u32_e32 v79, vcc, v80, v79, vcc
	v_lshlrev_b64 v[76:77], 4, v[76:77]
	global_store_dword v[78:79], v63, off
	v_mov_b32_e32 v63, s47
	v_add_co_u32_e32 v76, vcc, s46, v76
	v_addc_co_u32_e32 v77, vcc, v63, v77, vcc
	s_waitcnt vmcnt(1)
	global_store_dwordx4 v[76:77], v[72:75], off
	s_or_b64 exec, exec, s[50:51]
	s_and_saveexec_b64 s[50:51], s[20:21]
	s_cbranch_execz .LBB285_128
.LBB285_142:                            ;   in Loop: Header=BB285_21 Depth=1
	v_add_co_u32_e32 v63, vcc, v51, v62
	v_addc_co_u32_e32 v72, vcc, 0, v71, vcc
	v_add_co_u32_e32 v63, vcc, s72, v63
	v_addc_co_u32_e32 v72, vcc, 0, v72, vcc
	;; [unrolled: 2-line block ×4, first 2 shown]
	v_cndmask_b32_e64 v73, v73, v72, s[0:1]
	v_cndmask_b32_e64 v72, v75, v63, s[0:1]
	global_load_dwordx4 v[72:75], v[72:73], off
	v_add_co_u32_e32 v76, vcc, v50, v0
	v_addc_co_u32_e32 v77, vcc, 0, v17, vcc
	v_lshlrev_b64 v[78:79], 2, v[76:77]
	v_mov_b32_e32 v63, s33
	v_add_co_u32_e32 v78, vcc, s39, v78
	v_addc_co_u32_e32 v79, vcc, v63, v79, vcc
	v_lshlrev_b64 v[76:77], 4, v[76:77]
	v_mov_b32_e32 v63, s53
	v_add_co_u32_e32 v76, vcc, s52, v76
	v_addc_co_u32_e32 v77, vcc, v63, v77, vcc
	global_store_dword v[78:79], v69, off
	s_waitcnt vmcnt(1)
	global_store_dwordx4 v[76:77], v[72:75], off
	s_or_b64 exec, exec, s[50:51]
	s_and_saveexec_b64 s[50:51], s[22:23]
	s_cbranch_execz .LBB285_129
.LBB285_143:                            ;   in Loop: Header=BB285_21 Depth=1
	v_add_co_u32_e32 v63, vcc, v51, v62
	v_addc_co_u32_e32 v69, vcc, 0, v71, vcc
	v_add_co_u32_e32 v63, vcc, s73, v63
	v_addc_co_u32_e32 v69, vcc, 0, v69, vcc
	;; [unrolled: 2-line block ×4, first 2 shown]
	v_cndmask_b32_e64 v73, v73, v69, s[0:1]
	v_cndmask_b32_e64 v72, v72, v63, s[0:1]
	global_load_dwordx4 v[72:75], v[72:73], off
	v_add_co_u32_e32 v76, vcc, v50, v0
	v_addc_co_u32_e32 v77, vcc, 0, v17, vcc
	v_lshlrev_b64 v[78:79], 2, v[76:77]
	v_mov_b32_e32 v63, s55
	v_add_co_u32_e32 v78, vcc, s54, v78
	v_addc_co_u32_e32 v79, vcc, v63, v79, vcc
	global_store_dword v[78:79], v68, off
	v_lshlrev_b64 v[68:69], 4, v[76:77]
	v_mov_b32_e32 v63, s57
	v_add_co_u32_e32 v68, vcc, s56, v68
	v_addc_co_u32_e32 v69, vcc, v63, v69, vcc
	s_waitcnt vmcnt(1)
	global_store_dwordx4 v[68:69], v[72:75], off
	s_or_b64 exec, exec, s[50:51]
	s_and_saveexec_b64 s[50:51], s[24:25]
	s_cbranch_execz .LBB285_130
.LBB285_144:                            ;   in Loop: Header=BB285_21 Depth=1
	v_add_co_u32_e32 v63, vcc, v51, v62
	v_addc_co_u32_e32 v68, vcc, 0, v71, vcc
	v_add_co_u32_e32 v63, vcc, s74, v63
	v_addc_co_u32_e32 v68, vcc, 0, v68, vcc
	v_add_co_u32_e32 v69, vcc, v60, v40
	v_addc_co_u32_e32 v72, vcc, v61, v41, vcc
	v_add_co_u32_e32 v73, vcc, 0xe00, v69
	v_addc_co_u32_e32 v69, vcc, 0, v72, vcc
	v_cndmask_b32_e64 v69, v69, v68, s[0:1]
	v_cndmask_b32_e64 v68, v73, v63, s[0:1]
	global_load_dwordx4 v[72:75], v[68:69], off
	v_add_co_u32_e32 v68, vcc, v50, v0
	v_addc_co_u32_e32 v69, vcc, 0, v17, vcc
	v_lshlrev_b64 v[76:77], 2, v[68:69]
	v_mov_b32_e32 v63, s11
	v_add_co_u32_e32 v76, vcc, s10, v76
	v_addc_co_u32_e32 v77, vcc, v63, v77, vcc
	v_lshlrev_b64 v[68:69], 4, v[68:69]
	v_mov_b32_e32 v63, s59
	v_add_co_u32_e32 v68, vcc, s58, v68
	v_addc_co_u32_e32 v69, vcc, v63, v69, vcc
	global_store_dword v[76:77], v67, off
	s_waitcnt vmcnt(1)
	global_store_dwordx4 v[68:69], v[72:75], off
	s_or_b64 exec, exec, s[50:51]
	s_and_saveexec_b64 s[50:51], s[26:27]
	s_cbranch_execz .LBB285_131
.LBB285_145:                            ;   in Loop: Header=BB285_21 Depth=1
	v_add_co_u32_e32 v63, vcc, v51, v62
	v_addc_co_u32_e32 v67, vcc, 0, v71, vcc
	v_add_co_u32_e32 v63, vcc, s75, v63
	v_addc_co_u32_e32 v67, vcc, 0, v67, vcc
	;; [unrolled: 2-line block ×4, first 2 shown]
	v_cndmask_b32_e64 v69, v69, v67, s[0:1]
	v_cndmask_b32_e64 v68, v68, v63, s[0:1]
	global_load_dwordx4 v[72:75], v[68:69], off
	v_add_co_u32_e32 v68, vcc, v50, v0
	v_addc_co_u32_e32 v69, vcc, 0, v17, vcc
	v_lshlrev_b64 v[76:77], 2, v[68:69]
	v_mov_b32_e32 v63, s61
	v_add_co_u32_e32 v76, vcc, s60, v76
	v_addc_co_u32_e32 v77, vcc, v63, v77, vcc
	global_store_dword v[76:77], v66, off
	v_lshlrev_b64 v[66:67], 4, v[68:69]
	v_mov_b32_e32 v63, s63
	v_add_co_u32_e32 v66, vcc, s62, v66
	v_addc_co_u32_e32 v67, vcc, v63, v67, vcc
	s_waitcnt vmcnt(1)
	global_store_dwordx4 v[66:67], v[72:75], off
	s_or_b64 exec, exec, s[50:51]
	s_and_saveexec_b64 s[50:51], s[28:29]
	s_cbranch_execz .LBB285_132
.LBB285_146:                            ;   in Loop: Header=BB285_21 Depth=1
	v_add_co_u32_e32 v63, vcc, v51, v62
	v_addc_co_u32_e32 v66, vcc, 0, v71, vcc
	v_add_co_u32_e32 v63, vcc, s76, v63
	v_addc_co_u32_e32 v66, vcc, 0, v66, vcc
	;; [unrolled: 2-line block ×4, first 2 shown]
	v_cndmask_b32_e64 v67, v67, v66, s[0:1]
	v_cndmask_b32_e64 v66, v69, v63, s[0:1]
	global_load_dwordx4 v[66:69], v[66:67], off
	v_add_co_u32_e32 v72, vcc, v50, v0
	v_addc_co_u32_e32 v73, vcc, 0, v17, vcc
	v_lshlrev_b64 v[74:75], 2, v[72:73]
	v_mov_b32_e32 v63, s3
	v_add_co_u32_e32 v74, vcc, s2, v74
	v_addc_co_u32_e32 v75, vcc, v63, v75, vcc
	v_lshlrev_b64 v[72:73], 4, v[72:73]
	v_mov_b32_e32 v63, s65
	v_add_co_u32_e32 v72, vcc, s64, v72
	v_addc_co_u32_e32 v73, vcc, v63, v73, vcc
	global_store_dword v[74:75], v65, off
	s_waitcnt vmcnt(1)
	global_store_dwordx4 v[72:73], v[66:69], off
	s_or_b64 exec, exec, s[50:51]
	s_and_saveexec_b64 s[50:51], s[30:31]
	s_cbranch_execz .LBB285_133
.LBB285_147:                            ;   in Loop: Header=BB285_21 Depth=1
	v_add_co_u32_e32 v63, vcc, v51, v62
	v_addc_co_u32_e32 v65, vcc, 0, v71, vcc
	v_add_co_u32_e32 v63, vcc, s77, v63
	v_addc_co_u32_e32 v65, vcc, 0, v65, vcc
	;; [unrolled: 2-line block ×4, first 2 shown]
	v_cndmask_b32_e64 v67, v67, v65, s[0:1]
	v_cndmask_b32_e64 v66, v66, v63, s[0:1]
	global_load_dwordx4 v[66:69], v[66:67], off
	v_add_co_u32_e32 v72, vcc, v50, v0
	v_addc_co_u32_e32 v73, vcc, 0, v17, vcc
	v_lshlrev_b64 v[74:75], 2, v[72:73]
	v_mov_b32_e32 v63, s67
	v_add_co_u32_e32 v74, vcc, s66, v74
	v_addc_co_u32_e32 v75, vcc, v63, v75, vcc
	global_store_dword v[74:75], v64, off
	v_lshlrev_b64 v[64:65], 4, v[72:73]
	v_mov_b32_e32 v63, s69
	v_add_co_u32_e32 v64, vcc, s68, v64
	v_addc_co_u32_e32 v65, vcc, v63, v65, vcc
	s_waitcnt vmcnt(1)
	global_store_dwordx4 v[64:65], v[66:69], off
	s_or_b64 exec, exec, s[50:51]
	s_and_saveexec_b64 s[50:51], s[18:19]
	s_cbranch_execz .LBB285_20
.LBB285_148:                            ;   in Loop: Header=BB285_21 Depth=1
	v_add_co_u32_e32 v51, vcc, v51, v62
	v_addc_co_u32_e32 v62, vcc, 0, v71, vcc
	v_add_co_u32_e32 v60, vcc, v60, v48
	v_addc_co_u32_e32 v61, vcc, v61, v49, vcc
	v_cndmask_b32_e64 v61, v61, v62, s[0:1]
	v_cndmask_b32_e64 v60, v60, v51, s[0:1]
	global_load_dwordx4 v[60:63], v[60:61], off offset:3584
	v_add_co_u32_e32 v50, vcc, v50, v0
	v_addc_co_u32_e32 v51, vcc, 0, v17, vcc
	v_lshlrev_b64 v[64:65], 2, v[50:51]
	v_mov_b32_e32 v17, s13
	v_add_co_u32_e32 v64, vcc, s12, v64
	v_addc_co_u32_e32 v65, vcc, v17, v65, vcc
	v_lshlrev_b64 v[50:51], 4, v[50:51]
	v_mov_b32_e32 v17, s71
	v_add_co_u32_e32 v50, vcc, s70, v50
	v_addc_co_u32_e32 v51, vcc, v17, v51, vcc
	global_store_dword v[64:65], v70, off
	s_waitcnt vmcnt(1)
	global_store_dwordx4 v[50:51], v[60:63], off
	s_branch .LBB285_20
.LBB285_149:
	s_endpgm
	.section	.rodata,"a",@progbits
	.p2align	6, 0x0
	.amdhsa_kernel _ZN9rocsparseL35bsr2csr_block_per_row_33_256_kernelILj1024ELj256ELj32E21rocsparse_complex_numIdEliEEv20rocsparse_direction_T4_S4_21rocsparse_index_base_PKT2_PKT3_PKS4_S4_S5_PS6_PS9_PS4_
		.amdhsa_group_segment_fixed_size 0
		.amdhsa_private_segment_fixed_size 0
		.amdhsa_kernarg_size 72
		.amdhsa_user_sgpr_count 6
		.amdhsa_user_sgpr_private_segment_buffer 1
		.amdhsa_user_sgpr_dispatch_ptr 0
		.amdhsa_user_sgpr_queue_ptr 0
		.amdhsa_user_sgpr_kernarg_segment_ptr 1
		.amdhsa_user_sgpr_dispatch_id 0
		.amdhsa_user_sgpr_flat_scratch_init 0
		.amdhsa_user_sgpr_kernarg_preload_length 0
		.amdhsa_user_sgpr_kernarg_preload_offset 0
		.amdhsa_user_sgpr_private_segment_size 0
		.amdhsa_uses_dynamic_stack 0
		.amdhsa_system_sgpr_private_segment_wavefront_offset 0
		.amdhsa_system_sgpr_workgroup_id_x 1
		.amdhsa_system_sgpr_workgroup_id_y 0
		.amdhsa_system_sgpr_workgroup_id_z 0
		.amdhsa_system_sgpr_workgroup_info 0
		.amdhsa_system_vgpr_workitem_id 0
		.amdhsa_next_free_vgpr 83
		.amdhsa_next_free_sgpr 96
		.amdhsa_accum_offset 84
		.amdhsa_reserve_vcc 1
		.amdhsa_reserve_flat_scratch 0
		.amdhsa_float_round_mode_32 0
		.amdhsa_float_round_mode_16_64 0
		.amdhsa_float_denorm_mode_32 3
		.amdhsa_float_denorm_mode_16_64 3
		.amdhsa_dx10_clamp 1
		.amdhsa_ieee_mode 1
		.amdhsa_fp16_overflow 0
		.amdhsa_tg_split 0
		.amdhsa_exception_fp_ieee_invalid_op 0
		.amdhsa_exception_fp_denorm_src 0
		.amdhsa_exception_fp_ieee_div_zero 0
		.amdhsa_exception_fp_ieee_overflow 0
		.amdhsa_exception_fp_ieee_underflow 0
		.amdhsa_exception_fp_ieee_inexact 0
		.amdhsa_exception_int_div_zero 0
	.end_amdhsa_kernel
	.section	.text._ZN9rocsparseL35bsr2csr_block_per_row_33_256_kernelILj1024ELj256ELj32E21rocsparse_complex_numIdEliEEv20rocsparse_direction_T4_S4_21rocsparse_index_base_PKT2_PKT3_PKS4_S4_S5_PS6_PS9_PS4_,"axG",@progbits,_ZN9rocsparseL35bsr2csr_block_per_row_33_256_kernelILj1024ELj256ELj32E21rocsparse_complex_numIdEliEEv20rocsparse_direction_T4_S4_21rocsparse_index_base_PKT2_PKT3_PKS4_S4_S5_PS6_PS9_PS4_,comdat
.Lfunc_end285:
	.size	_ZN9rocsparseL35bsr2csr_block_per_row_33_256_kernelILj1024ELj256ELj32E21rocsparse_complex_numIdEliEEv20rocsparse_direction_T4_S4_21rocsparse_index_base_PKT2_PKT3_PKS4_S4_S5_PS6_PS9_PS4_, .Lfunc_end285-_ZN9rocsparseL35bsr2csr_block_per_row_33_256_kernelILj1024ELj256ELj32E21rocsparse_complex_numIdEliEEv20rocsparse_direction_T4_S4_21rocsparse_index_base_PKT2_PKT3_PKS4_S4_S5_PS6_PS9_PS4_
                                        ; -- End function
	.section	.AMDGPU.csdata,"",@progbits
; Kernel info:
; codeLenInByte = 13488
; NumSgprs: 100
; NumVgprs: 83
; NumAgprs: 0
; TotalNumVgprs: 83
; ScratchSize: 0
; MemoryBound: 0
; FloatMode: 240
; IeeeMode: 1
; LDSByteSize: 0 bytes/workgroup (compile time only)
; SGPRBlocks: 12
; VGPRBlocks: 10
; NumSGPRsForWavesPerEU: 100
; NumVGPRsForWavesPerEU: 83
; AccumOffset: 84
; Occupancy: 5
; WaveLimiterHint : 1
; COMPUTE_PGM_RSRC2:SCRATCH_EN: 0
; COMPUTE_PGM_RSRC2:USER_SGPR: 6
; COMPUTE_PGM_RSRC2:TRAP_HANDLER: 0
; COMPUTE_PGM_RSRC2:TGID_X_EN: 1
; COMPUTE_PGM_RSRC2:TGID_Y_EN: 0
; COMPUTE_PGM_RSRC2:TGID_Z_EN: 0
; COMPUTE_PGM_RSRC2:TIDIG_COMP_CNT: 0
; COMPUTE_PGM_RSRC3_GFX90A:ACCUM_OFFSET: 20
; COMPUTE_PGM_RSRC3_GFX90A:TG_SPLIT: 0
	.section	.text._ZN9rocsparseL35bsr2csr_block_dim_equals_one_kernelILj1024E21rocsparse_complex_numIdEilEEvT2_S3_21rocsparse_index_base_PKT0_PKT1_PKS3_S4_PS5_PS8_PS3_,"axG",@progbits,_ZN9rocsparseL35bsr2csr_block_dim_equals_one_kernelILj1024E21rocsparse_complex_numIdEilEEvT2_S3_21rocsparse_index_base_PKT0_PKT1_PKS3_S4_PS5_PS8_PS3_,comdat
	.globl	_ZN9rocsparseL35bsr2csr_block_dim_equals_one_kernelILj1024E21rocsparse_complex_numIdEilEEvT2_S3_21rocsparse_index_base_PKT0_PKT1_PKS3_S4_PS5_PS8_PS3_ ; -- Begin function _ZN9rocsparseL35bsr2csr_block_dim_equals_one_kernelILj1024E21rocsparse_complex_numIdEilEEvT2_S3_21rocsparse_index_base_PKT0_PKT1_PKS3_S4_PS5_PS8_PS3_
	.p2align	8
	.type	_ZN9rocsparseL35bsr2csr_block_dim_equals_one_kernelILj1024E21rocsparse_complex_numIdEilEEvT2_S3_21rocsparse_index_base_PKT0_PKT1_PKS3_S4_PS5_PS8_PS3_,@function
_ZN9rocsparseL35bsr2csr_block_dim_equals_one_kernelILj1024E21rocsparse_complex_numIdEilEEvT2_S3_21rocsparse_index_base_PKT0_PKT1_PKS3_S4_PS5_PS8_PS3_: ; @_ZN9rocsparseL35bsr2csr_block_dim_equals_one_kernelILj1024E21rocsparse_complex_numIdEilEEvT2_S3_21rocsparse_index_base_PKT0_PKT1_PKS3_S4_PS5_PS8_PS3_
; %bb.0:
	v_lshl_or_b32 v0, s6, 10, v0
	v_mov_b32_e32 v1, 0
	s_load_dwordx2 s[14:15], s[4:5], 0x0
	s_load_dword s20, s[4:5], 0x10
	s_load_dwordx4 s[0:3], s[4:5], 0x18
	s_load_dwordx2 s[8:9], s[4:5], 0x28
	s_load_dword s21, s[4:5], 0x30
	s_load_dwordx2 s[10:11], s[4:5], 0x48
	s_load_dwordx2 s[12:13], s[4:5], 0x38
	s_waitcnt lgkmcnt(0)
	v_cmp_gt_i64_e32 vcc, s[14:15], v[0:1]
	s_and_saveexec_b64 s[6:7], vcc
	s_cbranch_execz .LBB286_6
; %bb.1:
	s_load_dwordx2 s[16:17], s[4:5], 0x40
	v_cmp_ne_u32_e32 vcc, 0, v0
                                        ; implicit-def: $sgpr22
	s_and_saveexec_b64 s[18:19], vcc
	s_xor_b64 s[18:19], exec, s[18:19]
; %bb.2:
	s_sub_i32 s22, s21, s20
; %bb.3:
	s_or_saveexec_b64 s[18:19], s[18:19]
	v_mov_b32_e32 v2, s22
	s_xor_b64 exec, exec, s[18:19]
	s_cbranch_execz .LBB286_5
; %bb.4:
	s_load_dword s22, s[2:3], 0x0
	s_sub_i32 s23, s21, s20
	v_mov_b32_e32 v2, 0
	s_waitcnt lgkmcnt(0)
	s_add_i32 s22, s23, s22
	v_mov_b32_e32 v3, s22
	global_store_dword v2, v3, s[16:17]
	v_mov_b32_e32 v2, s23
.LBB286_5:
	s_or_b64 exec, exec, s[18:19]
	v_lshlrev_b64 v[4:5], 2, v[0:1]
	v_mov_b32_e32 v3, s3
	v_add_co_u32_e32 v6, vcc, s2, v4
	v_addc_co_u32_e32 v7, vcc, v3, v5, vcc
	global_load_dword v3, v[6:7], off offset:4
	s_waitcnt lgkmcnt(0)
	v_mov_b32_e32 v6, s17
	s_waitcnt vmcnt(0)
	v_add_u32_e32 v7, v2, v3
	v_add_co_u32_e32 v2, vcc, s16, v4
	v_addc_co_u32_e32 v3, vcc, v6, v5, vcc
	global_store_dword v[2:3], v7, off offset:4
.LBB286_6:
	s_or_b64 exec, exec, s[6:7]
	s_lshl_b64 s[6:7], s[14:15], 2
	s_add_u32 s6, s2, s6
	s_addc_u32 s7, s3, s7
	s_load_dword s14, s[6:7], 0x0
	s_load_dword s15, s[2:3], 0x0
	s_waitcnt lgkmcnt(0)
	s_sub_i32 s2, s14, s15
	s_ashr_i32 s3, s2, 31
	v_cmp_gt_i64_e32 vcc, s[2:3], v[0:1]
	s_and_saveexec_b64 s[6:7], vcc
	s_cbranch_execz .LBB286_9
; %bb.7:
	s_load_dword s4, s[4:5], 0x50
	s_sub_u32 s18, s21, s20
	s_mov_b32 s5, 0
	s_subb_u32 s19, 0, 0
	v_lshlrev_b64 v[2:3], 4, v[0:1]
	s_waitcnt lgkmcnt(0)
	s_lshl_b32 s4, s4, 10
	s_lshl_b64 s[6:7], s[4:5], 4
	s_lshl_b64 s[14:15], s[4:5], 3
	v_lshlrev_b64 v[4:5], 3, v[0:1]
	s_mov_b64 s[16:17], 0
	v_mov_b32_e32 v6, s9
	v_mov_b32_e32 v7, s19
	;; [unrolled: 1-line block ×8, first 2 shown]
.LBB286_8:                              ; =>This Inner Loop Header: Depth=1
	v_add_co_u32_e32 v18, vcc, s8, v4
	v_addc_co_u32_e32 v19, vcc, v6, v5, vcc
	v_add_co_u32_e32 v20, vcc, s0, v2
	v_addc_co_u32_e32 v21, vcc, v9, v3, vcc
	global_load_dwordx2 v[22:23], v[18:19], off
	global_load_dwordx4 v[14:17], v[20:21], off
	v_add_co_u32_e32 v18, vcc, s10, v4
	v_addc_co_u32_e32 v19, vcc, v8, v5, vcc
	v_add_co_u32_e32 v20, vcc, s12, v2
	v_addc_co_u32_e32 v21, vcc, v10, v3, vcc
	;; [unrolled: 2-line block ×5, first 2 shown]
	v_cmp_le_i64_e32 vcc, s[2:3], v[0:1]
	s_or_b64 s[16:17], vcc, s[16:17]
	s_waitcnt vmcnt(1)
	v_add_co_u32_e32 v22, vcc, s18, v22
	v_addc_co_u32_e32 v23, vcc, v7, v23, vcc
	s_waitcnt vmcnt(0)
	global_store_dwordx4 v[20:21], v[14:17], off
	global_store_dwordx2 v[18:19], v[22:23], off
	s_andn2_b64 exec, exec, s[16:17]
	s_cbranch_execnz .LBB286_8
.LBB286_9:
	s_endpgm
	.section	.rodata,"a",@progbits
	.p2align	6, 0x0
	.amdhsa_kernel _ZN9rocsparseL35bsr2csr_block_dim_equals_one_kernelILj1024E21rocsparse_complex_numIdEilEEvT2_S3_21rocsparse_index_base_PKT0_PKT1_PKS3_S4_PS5_PS8_PS3_
		.amdhsa_group_segment_fixed_size 0
		.amdhsa_private_segment_fixed_size 0
		.amdhsa_kernarg_size 336
		.amdhsa_user_sgpr_count 6
		.amdhsa_user_sgpr_private_segment_buffer 1
		.amdhsa_user_sgpr_dispatch_ptr 0
		.amdhsa_user_sgpr_queue_ptr 0
		.amdhsa_user_sgpr_kernarg_segment_ptr 1
		.amdhsa_user_sgpr_dispatch_id 0
		.amdhsa_user_sgpr_flat_scratch_init 0
		.amdhsa_user_sgpr_kernarg_preload_length 0
		.amdhsa_user_sgpr_kernarg_preload_offset 0
		.amdhsa_user_sgpr_private_segment_size 0
		.amdhsa_uses_dynamic_stack 0
		.amdhsa_system_sgpr_private_segment_wavefront_offset 0
		.amdhsa_system_sgpr_workgroup_id_x 1
		.amdhsa_system_sgpr_workgroup_id_y 0
		.amdhsa_system_sgpr_workgroup_id_z 0
		.amdhsa_system_sgpr_workgroup_info 0
		.amdhsa_system_vgpr_workitem_id 0
		.amdhsa_next_free_vgpr 24
		.amdhsa_next_free_sgpr 24
		.amdhsa_accum_offset 24
		.amdhsa_reserve_vcc 1
		.amdhsa_reserve_flat_scratch 0
		.amdhsa_float_round_mode_32 0
		.amdhsa_float_round_mode_16_64 0
		.amdhsa_float_denorm_mode_32 3
		.amdhsa_float_denorm_mode_16_64 3
		.amdhsa_dx10_clamp 1
		.amdhsa_ieee_mode 1
		.amdhsa_fp16_overflow 0
		.amdhsa_tg_split 0
		.amdhsa_exception_fp_ieee_invalid_op 0
		.amdhsa_exception_fp_denorm_src 0
		.amdhsa_exception_fp_ieee_div_zero 0
		.amdhsa_exception_fp_ieee_overflow 0
		.amdhsa_exception_fp_ieee_underflow 0
		.amdhsa_exception_fp_ieee_inexact 0
		.amdhsa_exception_int_div_zero 0
	.end_amdhsa_kernel
	.section	.text._ZN9rocsparseL35bsr2csr_block_dim_equals_one_kernelILj1024E21rocsparse_complex_numIdEilEEvT2_S3_21rocsparse_index_base_PKT0_PKT1_PKS3_S4_PS5_PS8_PS3_,"axG",@progbits,_ZN9rocsparseL35bsr2csr_block_dim_equals_one_kernelILj1024E21rocsparse_complex_numIdEilEEvT2_S3_21rocsparse_index_base_PKT0_PKT1_PKS3_S4_PS5_PS8_PS3_,comdat
.Lfunc_end286:
	.size	_ZN9rocsparseL35bsr2csr_block_dim_equals_one_kernelILj1024E21rocsparse_complex_numIdEilEEvT2_S3_21rocsparse_index_base_PKT0_PKT1_PKS3_S4_PS5_PS8_PS3_, .Lfunc_end286-_ZN9rocsparseL35bsr2csr_block_dim_equals_one_kernelILj1024E21rocsparse_complex_numIdEilEEvT2_S3_21rocsparse_index_base_PKT0_PKT1_PKS3_S4_PS5_PS8_PS3_
                                        ; -- End function
	.section	.AMDGPU.csdata,"",@progbits
; Kernel info:
; codeLenInByte = 496
; NumSgprs: 28
; NumVgprs: 24
; NumAgprs: 0
; TotalNumVgprs: 24
; ScratchSize: 0
; MemoryBound: 0
; FloatMode: 240
; IeeeMode: 1
; LDSByteSize: 0 bytes/workgroup (compile time only)
; SGPRBlocks: 3
; VGPRBlocks: 2
; NumSGPRsForWavesPerEU: 28
; NumVGPRsForWavesPerEU: 24
; AccumOffset: 24
; Occupancy: 8
; WaveLimiterHint : 0
; COMPUTE_PGM_RSRC2:SCRATCH_EN: 0
; COMPUTE_PGM_RSRC2:USER_SGPR: 6
; COMPUTE_PGM_RSRC2:TRAP_HANDLER: 0
; COMPUTE_PGM_RSRC2:TGID_X_EN: 1
; COMPUTE_PGM_RSRC2:TGID_Y_EN: 0
; COMPUTE_PGM_RSRC2:TGID_Z_EN: 0
; COMPUTE_PGM_RSRC2:TIDIG_COMP_CNT: 0
; COMPUTE_PGM_RSRC3_GFX90A:ACCUM_OFFSET: 5
; COMPUTE_PGM_RSRC3_GFX90A:TG_SPLIT: 0
	.section	.text._ZN9rocsparseL32bsr2csr_block_per_row_2_7_kernelILj256ELj2E21rocsparse_complex_numIdEilEEv20rocsparse_direction_T3_S4_21rocsparse_index_base_PKT1_PKT2_PKS4_S4_S5_PS6_PS9_PS4_,"axG",@progbits,_ZN9rocsparseL32bsr2csr_block_per_row_2_7_kernelILj256ELj2E21rocsparse_complex_numIdEilEEv20rocsparse_direction_T3_S4_21rocsparse_index_base_PKT1_PKT2_PKS4_S4_S5_PS6_PS9_PS4_,comdat
	.globl	_ZN9rocsparseL32bsr2csr_block_per_row_2_7_kernelILj256ELj2E21rocsparse_complex_numIdEilEEv20rocsparse_direction_T3_S4_21rocsparse_index_base_PKT1_PKT2_PKS4_S4_S5_PS6_PS9_PS4_ ; -- Begin function _ZN9rocsparseL32bsr2csr_block_per_row_2_7_kernelILj256ELj2E21rocsparse_complex_numIdEilEEv20rocsparse_direction_T3_S4_21rocsparse_index_base_PKT1_PKT2_PKS4_S4_S5_PS6_PS9_PS4_
	.p2align	8
	.type	_ZN9rocsparseL32bsr2csr_block_per_row_2_7_kernelILj256ELj2E21rocsparse_complex_numIdEilEEv20rocsparse_direction_T3_S4_21rocsparse_index_base_PKT1_PKT2_PKS4_S4_S5_PS6_PS9_PS4_,@function
_ZN9rocsparseL32bsr2csr_block_per_row_2_7_kernelILj256ELj2E21rocsparse_complex_numIdEilEEv20rocsparse_direction_T3_S4_21rocsparse_index_base_PKT1_PKT2_PKS4_S4_S5_PS6_PS9_PS4_: ; @_ZN9rocsparseL32bsr2csr_block_per_row_2_7_kernelILj256ELj2E21rocsparse_complex_numIdEilEEv20rocsparse_direction_T3_S4_21rocsparse_index_base_PKT1_PKT2_PKS4_S4_S5_PS6_PS9_PS4_
; %bb.0:
	s_load_dwordx2 s[0:1], s[4:5], 0x28
	s_load_dword s12, s[4:5], 0x40
	s_load_dwordx2 s[2:3], s[4:5], 0x50
	s_mov_b32 s7, 0
	s_lshl_b64 s[8:9], s[6:7], 2
	s_waitcnt lgkmcnt(0)
	s_add_u32 s0, s0, s8
	s_addc_u32 s1, s1, s9
	s_load_dwordx2 s[0:1], s[0:1], 0x0
	v_or_b32_e32 v1, s6, v0
	v_cmp_eq_u32_e32 vcc, 0, v1
	s_and_saveexec_b64 s[8:9], vcc
	s_cbranch_execz .LBB287_2
; %bb.1:
	v_mov_b32_e32 v1, 0
	v_mov_b32_e32 v2, s12
	global_store_dword v1, v2, s[2:3]
.LBB287_2:
	s_or_b64 exec, exec, s[8:9]
	s_load_dword s13, s[4:5], 0x18
	v_and_b32_e32 v10, 1, v0
	s_lshl_b64 s[6:7], s[6:7], 3
	v_lshl_or_b32 v3, v10, 2, s6
	v_mov_b32_e32 v5, s7
	s_waitcnt lgkmcnt(0)
	s_sub_i32 s8, s0, s13
	s_sub_i32 s14, s1, s13
	;; [unrolled: 1-line block ×3, first 2 shown]
	s_lshl_b32 s9, s9, 1
	s_lshl_b32 s1, s8, 2
	v_mul_lo_u32 v2, s9, v10
	s_add_i32 s9, s9, s12
	s_add_i32 s9, s9, s1
	v_mov_b32_e32 v6, s3
	v_add_co_u32_e32 v4, vcc, s2, v3
	v_lshrrev_b32_e32 v1, 1, v0
	v_add_u32_e32 v0, s9, v2
	v_addc_co_u32_e32 v5, vcc, v6, v5, vcc
	global_store_dword v[4:5], v0, off offset:4
	v_add_u32_e32 v0, s8, v1
	v_cmp_gt_i32_e32 vcc, s14, v0
	s_and_saveexec_b64 s[2:3], vcc
	s_cbranch_execz .LBB287_5
; %bb.3:
	s_load_dwordx2 s[2:3], s[4:5], 0x30
	s_load_dwordx2 s[6:7], s[4:5], 0x48
	;; [unrolled: 1-line block ×3, first 2 shown]
	s_load_dword s1, s[4:5], 0x0
	s_load_dwordx2 s[10:11], s[4:5], 0x58
	v_lshlrev_b32_e32 v1, 1, v1
	v_mov_b32_e32 v3, 0
	s_mov_b32 s17, 0
	s_waitcnt lgkmcnt(0)
	s_cmp_eq_u32 s1, 0
	s_cselect_b64 vcc, -1, 0
	s_add_u32 s15, s8, 16
	s_addc_u32 s1, s9, 0
	s_add_u32 s16, s8, 32
	s_addc_u32 s19, s9, 0
	s_lshl_b32 s0, s0, 2
	v_add3_u32 v1, v2, s0, v1
	s_lshl_b32 s0, s13, 2
	v_lshlrev_b32_e32 v4, 1, v10
	v_mov_b32_e32 v5, v3
	v_subrev_u32_e32 v6, s0, v1
	v_lshlrev_b32_e32 v11, 2, v0
	s_mov_b64 s[4:5], 0
	v_mov_b32_e32 v12, s3
	v_mov_b32_e32 v13, s17
	;; [unrolled: 1-line block ×9, first 2 shown]
.LBB287_4:                              ; =>This Inner Loop Header: Depth=1
	v_ashrrev_i32_e32 v1, 31, v0
	v_lshlrev_b64 v[22:23], 3, v[0:1]
	v_add_u32_e32 v2, v10, v11
	v_or_b32_e32 v20, v4, v11
	v_mov_b32_e32 v21, v5
	v_add_co_u32_e64 v22, s[0:1], s2, v22
	v_cndmask_b32_e32 v8, v2, v20, vcc
	v_lshlrev_b64 v[20:21], 4, v[20:21]
	v_addc_co_u32_e64 v23, s[0:1], v12, v23, s[0:1]
	v_add_co_u32_e64 v1, s[0:1], s15, v20
	v_lshlrev_b64 v[24:25], 4, v[2:3]
	v_addc_co_u32_e64 v2, s[0:1], v18, v21, s[0:1]
	v_add_co_u32_e64 v7, s[0:1], s16, v24
	v_lshlrev_b64 v[26:27], 4, v[8:9]
	v_addc_co_u32_e64 v8, s[0:1], v19, v25, s[0:1]
	global_load_dwordx2 v[28:29], v[22:23], off
	v_add_co_u32_e64 v30, s[0:1], s8, v26
	v_addc_co_u32_e64 v31, s[0:1], v17, v27, s[0:1]
	v_cndmask_b32_e32 v33, v8, v2, vcc
	v_cndmask_b32_e32 v32, v7, v1, vcc
	global_load_dwordx4 v[20:23], v[30:31], off
	global_load_dwordx4 v[24:27], v[32:33], off
	v_ashrrev_i32_e32 v7, 31, v6
	v_lshlrev_b64 v[30:31], 3, v[6:7]
	v_add_co_u32_e64 v30, s[0:1], s10, v30
	v_lshlrev_b64 v[32:33], 4, v[6:7]
	v_addc_co_u32_e64 v31, s[0:1], v15, v31, s[0:1]
	v_add_co_u32_e64 v32, s[0:1], s6, v32
	v_add_u32_e32 v0, 0x80, v0
	v_addc_co_u32_e64 v33, s[0:1], v16, v33, s[0:1]
	v_cmp_le_i32_e64 s[0:1], s14, v0
	s_or_b64 s[4:5], s[0:1], s[4:5]
	v_add_u32_e32 v11, 0x200, v11
	v_add_u32_e32 v6, 0x100, v6
	s_waitcnt vmcnt(1)
	global_store_dwordx4 v[32:33], v[20:23], off
	s_waitcnt vmcnt(1)
	global_store_dwordx4 v[32:33], v[24:27], off offset:16
	v_subrev_co_u32_e64 v28, s[0:1], s13, v28
	v_subb_co_u32_e64 v29, s[0:1], v29, v13, s[0:1]
	v_lshlrev_b64 v[28:29], 1, v[28:29]
	v_add_co_u32_e64 v20, s[0:1], s12, v28
	v_addc_co_u32_e64 v21, s[0:1], v29, v14, s[0:1]
	v_add_co_u32_e64 v22, s[0:1], 1, v20
	v_addc_co_u32_e64 v23, s[0:1], 0, v21, s[0:1]
	global_store_dwordx4 v[30:31], v[20:23], off
	s_andn2_b64 exec, exec, s[4:5]
	s_cbranch_execnz .LBB287_4
.LBB287_5:
	s_endpgm
	.section	.rodata,"a",@progbits
	.p2align	6, 0x0
	.amdhsa_kernel _ZN9rocsparseL32bsr2csr_block_per_row_2_7_kernelILj256ELj2E21rocsparse_complex_numIdEilEEv20rocsparse_direction_T3_S4_21rocsparse_index_base_PKT1_PKT2_PKS4_S4_S5_PS6_PS9_PS4_
		.amdhsa_group_segment_fixed_size 0
		.amdhsa_private_segment_fixed_size 0
		.amdhsa_kernarg_size 96
		.amdhsa_user_sgpr_count 6
		.amdhsa_user_sgpr_private_segment_buffer 1
		.amdhsa_user_sgpr_dispatch_ptr 0
		.amdhsa_user_sgpr_queue_ptr 0
		.amdhsa_user_sgpr_kernarg_segment_ptr 1
		.amdhsa_user_sgpr_dispatch_id 0
		.amdhsa_user_sgpr_flat_scratch_init 0
		.amdhsa_user_sgpr_kernarg_preload_length 0
		.amdhsa_user_sgpr_kernarg_preload_offset 0
		.amdhsa_user_sgpr_private_segment_size 0
		.amdhsa_uses_dynamic_stack 0
		.amdhsa_system_sgpr_private_segment_wavefront_offset 0
		.amdhsa_system_sgpr_workgroup_id_x 1
		.amdhsa_system_sgpr_workgroup_id_y 0
		.amdhsa_system_sgpr_workgroup_id_z 0
		.amdhsa_system_sgpr_workgroup_info 0
		.amdhsa_system_vgpr_workitem_id 0
		.amdhsa_next_free_vgpr 34
		.amdhsa_next_free_sgpr 20
		.amdhsa_accum_offset 36
		.amdhsa_reserve_vcc 1
		.amdhsa_reserve_flat_scratch 0
		.amdhsa_float_round_mode_32 0
		.amdhsa_float_round_mode_16_64 0
		.amdhsa_float_denorm_mode_32 3
		.amdhsa_float_denorm_mode_16_64 3
		.amdhsa_dx10_clamp 1
		.amdhsa_ieee_mode 1
		.amdhsa_fp16_overflow 0
		.amdhsa_tg_split 0
		.amdhsa_exception_fp_ieee_invalid_op 0
		.amdhsa_exception_fp_denorm_src 0
		.amdhsa_exception_fp_ieee_div_zero 0
		.amdhsa_exception_fp_ieee_overflow 0
		.amdhsa_exception_fp_ieee_underflow 0
		.amdhsa_exception_fp_ieee_inexact 0
		.amdhsa_exception_int_div_zero 0
	.end_amdhsa_kernel
	.section	.text._ZN9rocsparseL32bsr2csr_block_per_row_2_7_kernelILj256ELj2E21rocsparse_complex_numIdEilEEv20rocsparse_direction_T3_S4_21rocsparse_index_base_PKT1_PKT2_PKS4_S4_S5_PS6_PS9_PS4_,"axG",@progbits,_ZN9rocsparseL32bsr2csr_block_per_row_2_7_kernelILj256ELj2E21rocsparse_complex_numIdEilEEv20rocsparse_direction_T3_S4_21rocsparse_index_base_PKT1_PKT2_PKS4_S4_S5_PS6_PS9_PS4_,comdat
.Lfunc_end287:
	.size	_ZN9rocsparseL32bsr2csr_block_per_row_2_7_kernelILj256ELj2E21rocsparse_complex_numIdEilEEv20rocsparse_direction_T3_S4_21rocsparse_index_base_PKT1_PKT2_PKS4_S4_S5_PS6_PS9_PS4_, .Lfunc_end287-_ZN9rocsparseL32bsr2csr_block_per_row_2_7_kernelILj256ELj2E21rocsparse_complex_numIdEilEEv20rocsparse_direction_T3_S4_21rocsparse_index_base_PKT1_PKT2_PKS4_S4_S5_PS6_PS9_PS4_
                                        ; -- End function
	.section	.AMDGPU.csdata,"",@progbits
; Kernel info:
; codeLenInByte = 688
; NumSgprs: 24
; NumVgprs: 34
; NumAgprs: 0
; TotalNumVgprs: 34
; ScratchSize: 0
; MemoryBound: 0
; FloatMode: 240
; IeeeMode: 1
; LDSByteSize: 0 bytes/workgroup (compile time only)
; SGPRBlocks: 2
; VGPRBlocks: 4
; NumSGPRsForWavesPerEU: 24
; NumVGPRsForWavesPerEU: 34
; AccumOffset: 36
; Occupancy: 8
; WaveLimiterHint : 0
; COMPUTE_PGM_RSRC2:SCRATCH_EN: 0
; COMPUTE_PGM_RSRC2:USER_SGPR: 6
; COMPUTE_PGM_RSRC2:TRAP_HANDLER: 0
; COMPUTE_PGM_RSRC2:TGID_X_EN: 1
; COMPUTE_PGM_RSRC2:TGID_Y_EN: 0
; COMPUTE_PGM_RSRC2:TGID_Z_EN: 0
; COMPUTE_PGM_RSRC2:TIDIG_COMP_CNT: 0
; COMPUTE_PGM_RSRC3_GFX90A:ACCUM_OFFSET: 8
; COMPUTE_PGM_RSRC3_GFX90A:TG_SPLIT: 0
	.section	.text._ZN9rocsparseL32bsr2csr_block_per_row_2_7_kernelILj256ELj3E21rocsparse_complex_numIdEilEEv20rocsparse_direction_T3_S4_21rocsparse_index_base_PKT1_PKT2_PKS4_S4_S5_PS6_PS9_PS4_,"axG",@progbits,_ZN9rocsparseL32bsr2csr_block_per_row_2_7_kernelILj256ELj3E21rocsparse_complex_numIdEilEEv20rocsparse_direction_T3_S4_21rocsparse_index_base_PKT1_PKT2_PKS4_S4_S5_PS6_PS9_PS4_,comdat
	.globl	_ZN9rocsparseL32bsr2csr_block_per_row_2_7_kernelILj256ELj3E21rocsparse_complex_numIdEilEEv20rocsparse_direction_T3_S4_21rocsparse_index_base_PKT1_PKT2_PKS4_S4_S5_PS6_PS9_PS4_ ; -- Begin function _ZN9rocsparseL32bsr2csr_block_per_row_2_7_kernelILj256ELj3E21rocsparse_complex_numIdEilEEv20rocsparse_direction_T3_S4_21rocsparse_index_base_PKT1_PKT2_PKS4_S4_S5_PS6_PS9_PS4_
	.p2align	8
	.type	_ZN9rocsparseL32bsr2csr_block_per_row_2_7_kernelILj256ELj3E21rocsparse_complex_numIdEilEEv20rocsparse_direction_T3_S4_21rocsparse_index_base_PKT1_PKT2_PKS4_S4_S5_PS6_PS9_PS4_,@function
_ZN9rocsparseL32bsr2csr_block_per_row_2_7_kernelILj256ELj3E21rocsparse_complex_numIdEilEEv20rocsparse_direction_T3_S4_21rocsparse_index_base_PKT1_PKT2_PKS4_S4_S5_PS6_PS9_PS4_: ; @_ZN9rocsparseL32bsr2csr_block_per_row_2_7_kernelILj256ELj3E21rocsparse_complex_numIdEilEEv20rocsparse_direction_T3_S4_21rocsparse_index_base_PKT1_PKT2_PKS4_S4_S5_PS6_PS9_PS4_
; %bb.0:
	s_load_dwordx2 s[2:3], s[4:5], 0x28
	s_load_dword s8, s[4:5], 0x40
	s_load_dwordx2 s[0:1], s[4:5], 0x50
	s_mov_b32 s7, 0
	s_lshl_b64 s[10:11], s[6:7], 2
	s_waitcnt lgkmcnt(0)
	s_add_u32 s10, s2, s10
	v_or_b32_e32 v1, s6, v0
	s_addc_u32 s11, s3, s11
	v_cmp_eq_u32_e32 vcc, 0, v1
	s_and_saveexec_b64 s[2:3], vcc
	s_cbranch_execz .LBB288_2
; %bb.1:
	v_mov_b32_e32 v1, 0
	v_mov_b32_e32 v2, s8
	global_store_dword v1, v2, s[0:1]
.LBB288_2:
	s_or_b64 exec, exec, s[2:3]
	v_and_b32_e32 v1, 3, v0
	v_cmp_ne_u32_e32 vcc, 3, v1
	s_and_saveexec_b64 s[2:3], vcc
	s_cbranch_execz .LBB288_6
; %bb.3:
	s_load_dwordx2 s[2:3], s[10:11], 0x0
	s_load_dword s14, s[4:5], 0x18
	v_lshrrev_b32_e32 v4, 2, v0
	v_lshlrev_b32_e32 v2, 2, v1
	s_waitcnt lgkmcnt(0)
	s_sub_i32 s7, s2, s14
	s_sub_i32 s15, s3, s14
	;; [unrolled: 1-line block ×3, first 2 shown]
	s_mul_i32 s9, s9, 3
	s_mul_i32 s3, s7, 9
	v_mul_lo_u32 v5, s9, v1
	s_add_i32 s9, s9, s8
	s_add_i32 s9, s9, s3
	s_mul_hi_u32 s3, s6, 12
	s_mul_i32 s6, s6, 12
	s_add_u32 s0, s0, s6
	v_add_u32_e32 v0, s9, v5
	s_addc_u32 s1, s1, s3
	global_store_dword v2, v0, s[0:1] offset:4
	v_add_u32_e32 v0, s7, v4
	v_cmp_gt_i32_e32 vcc, s15, v0
	s_and_b64 exec, exec, vcc
	s_cbranch_execz .LBB288_6
; %bb.4:
	s_load_dwordx2 s[6:7], s[4:5], 0x30
	s_load_dwordx2 s[10:11], s[4:5], 0x48
	;; [unrolled: 1-line block ×3, first 2 shown]
	s_load_dword s0, s[4:5], 0x0
	s_load_dwordx2 s[12:13], s[4:5], 0x58
	v_lshlrev_b32_e32 v2, 4, v1
	v_lshlrev_b32_e32 v1, 5, v1
	s_waitcnt lgkmcnt(0)
	v_mov_b32_e32 v7, s17
	v_add_co_u32_e32 v6, vcc, s16, v2
	v_addc_co_u32_e32 v7, vcc, 0, v7, vcc
	v_add_co_u32_e32 v8, vcc, v6, v1
	s_mul_i32 s2, s2, 9
	v_mul_u32_u24_e32 v1, 3, v4
	s_mov_b32 s3, 0
	s_cmp_eq_u32 s0, 0
	v_add3_u32 v1, v5, s2, v1
	s_mul_i32 s2, s14, 9
	v_mov_b32_e32 v3, 0
	s_mov_b32 s9, s3
	s_cselect_b64 s[0:1], -1, 0
	v_addc_co_u32_e32 v9, vcc, 0, v7, vcc
	v_lshl_add_u32 v2, v0, 3, v0
	v_subrev_u32_e32 v4, s2, v1
	s_mov_b64 s[4:5], 0
	v_mov_b32_e32 v10, s7
	v_mov_b32_e32 v11, s3
	;; [unrolled: 1-line block ×4, first 2 shown]
	s_movk_i32 s7, 0x60
.LBB288_5:                              ; =>This Inner Loop Header: Depth=1
	v_ashrrev_i32_e32 v1, 31, v0
	v_lshlrev_b64 v[14:15], 4, v[2:3]
	v_lshlrev_b64 v[16:17], 3, v[0:1]
	v_add_co_u32_e32 v1, vcc, v6, v14
	v_addc_co_u32_e32 v5, vcc, v7, v15, vcc
	v_add_co_u32_e32 v14, vcc, v8, v14
	v_addc_co_u32_e32 v15, vcc, v9, v15, vcc
	v_add_co_u32_e32 v18, vcc, s6, v16
	v_addc_co_u32_e32 v19, vcc, v10, v17, vcc
	v_add_co_u32_e32 v22, vcc, 16, v14
	v_addc_co_u32_e32 v23, vcc, 0, v15, vcc
	v_add_co_u32_e32 v24, vcc, 48, v1
	v_addc_co_u32_e32 v25, vcc, 0, v5, vcc
	v_add_co_u32_e32 v28, vcc, 32, v14
	v_cndmask_b32_e64 v21, v5, v15, s[0:1]
	v_cndmask_b32_e64 v20, v1, v14, s[0:1]
	v_addc_co_u32_e32 v29, vcc, 0, v15, vcc
	global_load_dwordx2 v[26:27], v[18:19], off
	global_load_dwordx4 v[14:17], v[20:21], off
	v_cndmask_b32_e64 v19, v25, v23, s[0:1]
	v_cndmask_b32_e64 v18, v24, v22, s[0:1]
	global_load_dwordx4 v[18:21], v[18:19], off
	v_add_co_u32_e32 v1, vcc, s7, v1
	v_addc_co_u32_e32 v5, vcc, 0, v5, vcc
	v_cndmask_b32_e64 v22, v1, v28, s[0:1]
	v_cndmask_b32_e64 v23, v5, v29, s[0:1]
	global_load_dwordx4 v[22:25], v[22:23], off
	v_ashrrev_i32_e32 v5, 31, v4
	v_lshlrev_b64 v[28:29], 3, v[4:5]
	v_add_co_u32_e32 v28, vcc, s12, v28
	v_lshlrev_b64 v[30:31], 4, v[4:5]
	v_addc_co_u32_e32 v29, vcc, v12, v29, vcc
	v_add_co_u32_e32 v30, vcc, s10, v30
	v_add_u32_e32 v0, 64, v0
	v_addc_co_u32_e32 v31, vcc, v13, v31, vcc
	v_cmp_le_i32_e32 vcc, s15, v0
	s_or_b64 s[4:5], vcc, s[4:5]
	v_add_u32_e32 v2, 0x240, v2
	v_add_u32_e32 v4, 0xc0, v4
	s_waitcnt vmcnt(3)
	v_subrev_co_u32_e32 v1, vcc, s14, v26
	s_waitcnt vmcnt(2)
	global_store_dwordx4 v[30:31], v[14:17], off
	v_subb_co_u32_e32 v5, vcc, v27, v11, vcc
	v_mad_u64_u32 v[16:17], s[2:3], v1, 3, s[8:9]
	s_waitcnt vmcnt(2)
	global_store_dwordx4 v[30:31], v[18:21], off offset:16
	v_mov_b32_e32 v14, v16
	v_mov_b32_e32 v18, v17
	v_mad_u64_u32 v[18:19], s[2:3], v5, 3, v[18:19]
	v_mov_b32_e32 v1, v18
	v_mov_b32_e32 v15, v18
	v_add_co_u32_e32 v18, vcc, 2, v16
	v_add_co_u32_e64 v16, s[2:3], 1, v16
	v_addc_co_u32_e64 v17, s[2:3], 0, v1, s[2:3]
	s_waitcnt vmcnt(2)
	global_store_dwordx4 v[30:31], v[22:25], off offset:32
	v_addc_co_u32_e32 v19, vcc, 0, v1, vcc
	global_store_dwordx4 v[28:29], v[14:17], off
	global_store_dwordx2 v[28:29], v[18:19], off offset:16
	s_andn2_b64 exec, exec, s[4:5]
	s_cbranch_execnz .LBB288_5
.LBB288_6:
	s_endpgm
	.section	.rodata,"a",@progbits
	.p2align	6, 0x0
	.amdhsa_kernel _ZN9rocsparseL32bsr2csr_block_per_row_2_7_kernelILj256ELj3E21rocsparse_complex_numIdEilEEv20rocsparse_direction_T3_S4_21rocsparse_index_base_PKT1_PKT2_PKS4_S4_S5_PS6_PS9_PS4_
		.amdhsa_group_segment_fixed_size 0
		.amdhsa_private_segment_fixed_size 0
		.amdhsa_kernarg_size 96
		.amdhsa_user_sgpr_count 6
		.amdhsa_user_sgpr_private_segment_buffer 1
		.amdhsa_user_sgpr_dispatch_ptr 0
		.amdhsa_user_sgpr_queue_ptr 0
		.amdhsa_user_sgpr_kernarg_segment_ptr 1
		.amdhsa_user_sgpr_dispatch_id 0
		.amdhsa_user_sgpr_flat_scratch_init 0
		.amdhsa_user_sgpr_kernarg_preload_length 0
		.amdhsa_user_sgpr_kernarg_preload_offset 0
		.amdhsa_user_sgpr_private_segment_size 0
		.amdhsa_uses_dynamic_stack 0
		.amdhsa_system_sgpr_private_segment_wavefront_offset 0
		.amdhsa_system_sgpr_workgroup_id_x 1
		.amdhsa_system_sgpr_workgroup_id_y 0
		.amdhsa_system_sgpr_workgroup_id_z 0
		.amdhsa_system_sgpr_workgroup_info 0
		.amdhsa_system_vgpr_workitem_id 0
		.amdhsa_next_free_vgpr 32
		.amdhsa_next_free_sgpr 18
		.amdhsa_accum_offset 32
		.amdhsa_reserve_vcc 1
		.amdhsa_reserve_flat_scratch 0
		.amdhsa_float_round_mode_32 0
		.amdhsa_float_round_mode_16_64 0
		.amdhsa_float_denorm_mode_32 3
		.amdhsa_float_denorm_mode_16_64 3
		.amdhsa_dx10_clamp 1
		.amdhsa_ieee_mode 1
		.amdhsa_fp16_overflow 0
		.amdhsa_tg_split 0
		.amdhsa_exception_fp_ieee_invalid_op 0
		.amdhsa_exception_fp_denorm_src 0
		.amdhsa_exception_fp_ieee_div_zero 0
		.amdhsa_exception_fp_ieee_overflow 0
		.amdhsa_exception_fp_ieee_underflow 0
		.amdhsa_exception_fp_ieee_inexact 0
		.amdhsa_exception_int_div_zero 0
	.end_amdhsa_kernel
	.section	.text._ZN9rocsparseL32bsr2csr_block_per_row_2_7_kernelILj256ELj3E21rocsparse_complex_numIdEilEEv20rocsparse_direction_T3_S4_21rocsparse_index_base_PKT1_PKT2_PKS4_S4_S5_PS6_PS9_PS4_,"axG",@progbits,_ZN9rocsparseL32bsr2csr_block_per_row_2_7_kernelILj256ELj3E21rocsparse_complex_numIdEilEEv20rocsparse_direction_T3_S4_21rocsparse_index_base_PKT1_PKT2_PKS4_S4_S5_PS6_PS9_PS4_,comdat
.Lfunc_end288:
	.size	_ZN9rocsparseL32bsr2csr_block_per_row_2_7_kernelILj256ELj3E21rocsparse_complex_numIdEilEEv20rocsparse_direction_T3_S4_21rocsparse_index_base_PKT1_PKT2_PKS4_S4_S5_PS6_PS9_PS4_, .Lfunc_end288-_ZN9rocsparseL32bsr2csr_block_per_row_2_7_kernelILj256ELj3E21rocsparse_complex_numIdEilEEv20rocsparse_direction_T3_S4_21rocsparse_index_base_PKT1_PKT2_PKS4_S4_S5_PS6_PS9_PS4_
                                        ; -- End function
	.section	.AMDGPU.csdata,"",@progbits
; Kernel info:
; codeLenInByte = 704
; NumSgprs: 22
; NumVgprs: 32
; NumAgprs: 0
; TotalNumVgprs: 32
; ScratchSize: 0
; MemoryBound: 0
; FloatMode: 240
; IeeeMode: 1
; LDSByteSize: 0 bytes/workgroup (compile time only)
; SGPRBlocks: 2
; VGPRBlocks: 3
; NumSGPRsForWavesPerEU: 22
; NumVGPRsForWavesPerEU: 32
; AccumOffset: 32
; Occupancy: 8
; WaveLimiterHint : 0
; COMPUTE_PGM_RSRC2:SCRATCH_EN: 0
; COMPUTE_PGM_RSRC2:USER_SGPR: 6
; COMPUTE_PGM_RSRC2:TRAP_HANDLER: 0
; COMPUTE_PGM_RSRC2:TGID_X_EN: 1
; COMPUTE_PGM_RSRC2:TGID_Y_EN: 0
; COMPUTE_PGM_RSRC2:TGID_Z_EN: 0
; COMPUTE_PGM_RSRC2:TIDIG_COMP_CNT: 0
; COMPUTE_PGM_RSRC3_GFX90A:ACCUM_OFFSET: 7
; COMPUTE_PGM_RSRC3_GFX90A:TG_SPLIT: 0
	.section	.text._ZN9rocsparseL32bsr2csr_block_per_row_2_7_kernelILj256ELj4E21rocsparse_complex_numIdEilEEv20rocsparse_direction_T3_S4_21rocsparse_index_base_PKT1_PKT2_PKS4_S4_S5_PS6_PS9_PS4_,"axG",@progbits,_ZN9rocsparseL32bsr2csr_block_per_row_2_7_kernelILj256ELj4E21rocsparse_complex_numIdEilEEv20rocsparse_direction_T3_S4_21rocsparse_index_base_PKT1_PKT2_PKS4_S4_S5_PS6_PS9_PS4_,comdat
	.globl	_ZN9rocsparseL32bsr2csr_block_per_row_2_7_kernelILj256ELj4E21rocsparse_complex_numIdEilEEv20rocsparse_direction_T3_S4_21rocsparse_index_base_PKT1_PKT2_PKS4_S4_S5_PS6_PS9_PS4_ ; -- Begin function _ZN9rocsparseL32bsr2csr_block_per_row_2_7_kernelILj256ELj4E21rocsparse_complex_numIdEilEEv20rocsparse_direction_T3_S4_21rocsparse_index_base_PKT1_PKT2_PKS4_S4_S5_PS6_PS9_PS4_
	.p2align	8
	.type	_ZN9rocsparseL32bsr2csr_block_per_row_2_7_kernelILj256ELj4E21rocsparse_complex_numIdEilEEv20rocsparse_direction_T3_S4_21rocsparse_index_base_PKT1_PKT2_PKS4_S4_S5_PS6_PS9_PS4_,@function
_ZN9rocsparseL32bsr2csr_block_per_row_2_7_kernelILj256ELj4E21rocsparse_complex_numIdEilEEv20rocsparse_direction_T3_S4_21rocsparse_index_base_PKT1_PKT2_PKS4_S4_S5_PS6_PS9_PS4_: ; @_ZN9rocsparseL32bsr2csr_block_per_row_2_7_kernelILj256ELj4E21rocsparse_complex_numIdEilEEv20rocsparse_direction_T3_S4_21rocsparse_index_base_PKT1_PKT2_PKS4_S4_S5_PS6_PS9_PS4_
; %bb.0:
	s_load_dwordx2 s[2:3], s[4:5], 0x28
	s_load_dword s14, s[4:5], 0x40
	s_load_dwordx2 s[0:1], s[4:5], 0x50
	s_mov_b32 s7, 0
	s_lshl_b64 s[8:9], s[6:7], 2
	s_waitcnt lgkmcnt(0)
	s_add_u32 s2, s2, s8
	s_addc_u32 s3, s3, s9
	s_load_dwordx2 s[12:13], s[2:3], 0x0
	v_or_b32_e32 v1, s6, v0
	v_cmp_eq_u32_e32 vcc, 0, v1
	s_and_saveexec_b64 s[2:3], vcc
	s_cbranch_execz .LBB289_2
; %bb.1:
	v_mov_b32_e32 v1, 0
	v_mov_b32_e32 v2, s14
	global_store_dword v1, v2, s[0:1]
.LBB289_2:
	s_or_b64 exec, exec, s[2:3]
	s_load_dword s15, s[4:5], 0x18
	v_and_b32_e32 v10, 3, v0
	v_lshrrev_b32_e32 v1, 2, v0
	v_mov_b32_e32 v6, s1
	s_waitcnt lgkmcnt(0)
	s_sub_i32 s8, s12, s15
	s_sub_i32 s13, s13, s15
	;; [unrolled: 1-line block ×3, first 2 shown]
	s_lshl_b32 s3, s3, 2
	s_lshl_b32 s2, s8, 4
	v_mul_lo_u32 v2, s3, v10
	s_add_i32 s3, s3, s14
	s_add_i32 s3, s3, s2
	v_add_u32_e32 v0, s3, v2
	s_lshl_b64 s[2:3], s[6:7], 4
	v_lshl_or_b32 v3, v10, 2, s2
	v_mov_b32_e32 v5, s3
	v_add_co_u32_e32 v4, vcc, s0, v3
	v_addc_co_u32_e32 v5, vcc, v6, v5, vcc
	global_store_dword v[4:5], v0, off offset:4
	v_add_u32_e32 v0, s8, v1
	v_cmp_gt_i32_e32 vcc, s13, v0
	s_and_saveexec_b64 s[0:1], vcc
	s_cbranch_execz .LBB289_5
; %bb.3:
	s_load_dwordx2 s[2:3], s[4:5], 0x30
	s_load_dwordx2 s[6:7], s[4:5], 0x48
	;; [unrolled: 1-line block ×3, first 2 shown]
	s_load_dword s0, s[4:5], 0x0
	s_load_dwordx2 s[10:11], s[4:5], 0x58
	v_lshlrev_b32_e32 v1, 2, v1
	v_mov_b32_e32 v3, 0
	s_mov_b32 s16, 0
	s_waitcnt lgkmcnt(0)
	s_cmp_eq_u32 s0, 0
	s_cselect_b64 s[0:1], -1, 0
	s_lshl_b32 s4, s12, 4
	v_add3_u32 v1, v2, s4, v1
	s_lshl_b32 s4, s15, 4
	v_lshlrev_b32_e32 v4, 2, v10
	v_mov_b32_e32 v5, v3
	v_subrev_u32_e32 v6, s4, v1
	v_lshlrev_b32_e32 v11, 4, v0
	s_mov_b64 s[4:5], 0
	v_mov_b32_e32 v12, s3
	v_mov_b32_e32 v13, s16
	;; [unrolled: 1-line block ×6, first 2 shown]
	s_movk_i32 s3, 0x80
	s_movk_i32 s7, 0xc0
	v_mov_b32_e32 v9, 0
.LBB289_4:                              ; =>This Inner Loop Header: Depth=1
	v_ashrrev_i32_e32 v1, 31, v0
	v_lshlrev_b64 v[20:21], 3, v[0:1]
	v_add_u32_e32 v2, v10, v11
	v_or_b32_e32 v18, v4, v11
	v_mov_b32_e32 v19, v5
	v_add_co_u32_e32 v20, vcc, s2, v20
	v_cndmask_b32_e64 v8, v2, v18, s[0:1]
	v_lshlrev_b64 v[18:19], 4, v[18:19]
	v_addc_co_u32_e32 v21, vcc, v12, v21, vcc
	v_add_co_u32_e32 v1, vcc, s8, v18
	v_lshlrev_b64 v[22:23], 4, v[2:3]
	v_addc_co_u32_e32 v2, vcc, v17, v19, vcc
	v_add_co_u32_e32 v7, vcc, s8, v22
	;; [unrolled: 3-line block ×3, first 2 shown]
	v_addc_co_u32_e32 v19, vcc, v17, v25, vcc
	v_add_co_u32_e32 v22, vcc, 16, v1
	v_addc_co_u32_e32 v23, vcc, 0, v2, vcc
	v_add_co_u32_e32 v24, vcc, 64, v7
	global_load_dwordx2 v[34:35], v[20:21], off
	v_addc_co_u32_e32 v25, vcc, 0, v8, vcc
	v_add_co_u32_e32 v26, vcc, 32, v1
	v_addc_co_u32_e32 v27, vcc, 0, v2, vcc
	v_add_co_u32_e32 v28, vcc, s3, v7
	global_load_dwordx4 v[18:21], v[18:19], off
	v_addc_co_u32_e32 v29, vcc, 0, v8, vcc
	v_add_co_u32_e32 v1, vcc, 48, v1
	v_addc_co_u32_e32 v2, vcc, 0, v2, vcc
	v_cndmask_b32_e64 v31, v25, v23, s[0:1]
	v_cndmask_b32_e64 v30, v24, v22, s[0:1]
	v_add_co_u32_e32 v7, vcc, s7, v7
	v_cndmask_b32_e64 v33, v29, v27, s[0:1]
	v_cndmask_b32_e64 v32, v28, v26, s[0:1]
	global_load_dwordx4 v[22:25], v[30:31], off
	global_load_dwordx4 v[26:29], v[32:33], off
	v_addc_co_u32_e32 v8, vcc, 0, v8, vcc
	v_cndmask_b32_e64 v36, v7, v1, s[0:1]
	v_cndmask_b32_e64 v37, v8, v2, s[0:1]
	global_load_dwordx4 v[30:33], v[36:37], off
	v_ashrrev_i32_e32 v7, 31, v6
	v_lshlrev_b64 v[36:37], 3, v[6:7]
	v_add_co_u32_e32 v36, vcc, s10, v36
	v_lshlrev_b64 v[38:39], 4, v[6:7]
	v_addc_co_u32_e32 v37, vcc, v15, v37, vcc
	v_add_co_u32_e32 v38, vcc, s6, v38
	v_add_u32_e32 v0, 64, v0
	v_addc_co_u32_e32 v39, vcc, v16, v39, vcc
	v_cmp_le_i32_e32 vcc, s13, v0
	s_or_b64 s[4:5], vcc, s[4:5]
	v_add_u32_e32 v11, 0x400, v11
	v_add_u32_e32 v6, 0x100, v6
	s_waitcnt vmcnt(4)
	v_subrev_co_u32_e32 v34, vcc, s15, v34
	v_subb_co_u32_e32 v35, vcc, v35, v13, vcc
	v_lshlrev_b64 v[34:35], 2, v[34:35]
	s_waitcnt vmcnt(3)
	global_store_dwordx4 v[38:39], v[18:21], off
	s_nop 0
	v_add_co_u32_e32 v18, vcc, s14, v34
	v_addc_co_u32_e32 v19, vcc, v35, v14, vcc
	v_add_co_u32_e32 v20, vcc, 1, v18
	v_addc_co_u32_e32 v21, vcc, 0, v19, vcc
	s_waitcnt vmcnt(3)
	global_store_dwordx4 v[38:39], v[22:25], off offset:16
	s_waitcnt vmcnt(3)
	global_store_dwordx4 v[38:39], v[26:29], off offset:32
	v_add_co_u32_e32 v22, vcc, 2, v18
	v_addc_co_u32_e32 v23, vcc, 0, v19, vcc
	v_add_co_u32_e32 v24, vcc, 3, v18
	v_addc_co_u32_e32 v25, vcc, 0, v19, vcc
	s_waitcnt vmcnt(3)
	global_store_dwordx4 v[38:39], v[30:33], off offset:48
	global_store_dwordx4 v[36:37], v[18:21], off
	global_store_dwordx4 v[36:37], v[22:25], off offset:16
	s_andn2_b64 exec, exec, s[4:5]
	s_cbranch_execnz .LBB289_4
.LBB289_5:
	s_endpgm
	.section	.rodata,"a",@progbits
	.p2align	6, 0x0
	.amdhsa_kernel _ZN9rocsparseL32bsr2csr_block_per_row_2_7_kernelILj256ELj4E21rocsparse_complex_numIdEilEEv20rocsparse_direction_T3_S4_21rocsparse_index_base_PKT1_PKT2_PKS4_S4_S5_PS6_PS9_PS4_
		.amdhsa_group_segment_fixed_size 0
		.amdhsa_private_segment_fixed_size 0
		.amdhsa_kernarg_size 96
		.amdhsa_user_sgpr_count 6
		.amdhsa_user_sgpr_private_segment_buffer 1
		.amdhsa_user_sgpr_dispatch_ptr 0
		.amdhsa_user_sgpr_queue_ptr 0
		.amdhsa_user_sgpr_kernarg_segment_ptr 1
		.amdhsa_user_sgpr_dispatch_id 0
		.amdhsa_user_sgpr_flat_scratch_init 0
		.amdhsa_user_sgpr_kernarg_preload_length 0
		.amdhsa_user_sgpr_kernarg_preload_offset 0
		.amdhsa_user_sgpr_private_segment_size 0
		.amdhsa_uses_dynamic_stack 0
		.amdhsa_system_sgpr_private_segment_wavefront_offset 0
		.amdhsa_system_sgpr_workgroup_id_x 1
		.amdhsa_system_sgpr_workgroup_id_y 0
		.amdhsa_system_sgpr_workgroup_id_z 0
		.amdhsa_system_sgpr_workgroup_info 0
		.amdhsa_system_vgpr_workitem_id 0
		.amdhsa_next_free_vgpr 40
		.amdhsa_next_free_sgpr 17
		.amdhsa_accum_offset 40
		.amdhsa_reserve_vcc 1
		.amdhsa_reserve_flat_scratch 0
		.amdhsa_float_round_mode_32 0
		.amdhsa_float_round_mode_16_64 0
		.amdhsa_float_denorm_mode_32 3
		.amdhsa_float_denorm_mode_16_64 3
		.amdhsa_dx10_clamp 1
		.amdhsa_ieee_mode 1
		.amdhsa_fp16_overflow 0
		.amdhsa_tg_split 0
		.amdhsa_exception_fp_ieee_invalid_op 0
		.amdhsa_exception_fp_denorm_src 0
		.amdhsa_exception_fp_ieee_div_zero 0
		.amdhsa_exception_fp_ieee_overflow 0
		.amdhsa_exception_fp_ieee_underflow 0
		.amdhsa_exception_fp_ieee_inexact 0
		.amdhsa_exception_int_div_zero 0
	.end_amdhsa_kernel
	.section	.text._ZN9rocsparseL32bsr2csr_block_per_row_2_7_kernelILj256ELj4E21rocsparse_complex_numIdEilEEv20rocsparse_direction_T3_S4_21rocsparse_index_base_PKT1_PKT2_PKS4_S4_S5_PS6_PS9_PS4_,"axG",@progbits,_ZN9rocsparseL32bsr2csr_block_per_row_2_7_kernelILj256ELj4E21rocsparse_complex_numIdEilEEv20rocsparse_direction_T3_S4_21rocsparse_index_base_PKT1_PKT2_PKS4_S4_S5_PS6_PS9_PS4_,comdat
.Lfunc_end289:
	.size	_ZN9rocsparseL32bsr2csr_block_per_row_2_7_kernelILj256ELj4E21rocsparse_complex_numIdEilEEv20rocsparse_direction_T3_S4_21rocsparse_index_base_PKT1_PKT2_PKS4_S4_S5_PS6_PS9_PS4_, .Lfunc_end289-_ZN9rocsparseL32bsr2csr_block_per_row_2_7_kernelILj256ELj4E21rocsparse_complex_numIdEilEEv20rocsparse_direction_T3_S4_21rocsparse_index_base_PKT1_PKT2_PKS4_S4_S5_PS6_PS9_PS4_
                                        ; -- End function
	.section	.AMDGPU.csdata,"",@progbits
; Kernel info:
; codeLenInByte = 756
; NumSgprs: 21
; NumVgprs: 40
; NumAgprs: 0
; TotalNumVgprs: 40
; ScratchSize: 0
; MemoryBound: 0
; FloatMode: 240
; IeeeMode: 1
; LDSByteSize: 0 bytes/workgroup (compile time only)
; SGPRBlocks: 2
; VGPRBlocks: 4
; NumSGPRsForWavesPerEU: 21
; NumVGPRsForWavesPerEU: 40
; AccumOffset: 40
; Occupancy: 8
; WaveLimiterHint : 0
; COMPUTE_PGM_RSRC2:SCRATCH_EN: 0
; COMPUTE_PGM_RSRC2:USER_SGPR: 6
; COMPUTE_PGM_RSRC2:TRAP_HANDLER: 0
; COMPUTE_PGM_RSRC2:TGID_X_EN: 1
; COMPUTE_PGM_RSRC2:TGID_Y_EN: 0
; COMPUTE_PGM_RSRC2:TGID_Z_EN: 0
; COMPUTE_PGM_RSRC2:TIDIG_COMP_CNT: 0
; COMPUTE_PGM_RSRC3_GFX90A:ACCUM_OFFSET: 9
; COMPUTE_PGM_RSRC3_GFX90A:TG_SPLIT: 0
	.section	.text._ZN9rocsparseL32bsr2csr_block_per_row_2_7_kernelILj256ELj5E21rocsparse_complex_numIdEilEEv20rocsparse_direction_T3_S4_21rocsparse_index_base_PKT1_PKT2_PKS4_S4_S5_PS6_PS9_PS4_,"axG",@progbits,_ZN9rocsparseL32bsr2csr_block_per_row_2_7_kernelILj256ELj5E21rocsparse_complex_numIdEilEEv20rocsparse_direction_T3_S4_21rocsparse_index_base_PKT1_PKT2_PKS4_S4_S5_PS6_PS9_PS4_,comdat
	.globl	_ZN9rocsparseL32bsr2csr_block_per_row_2_7_kernelILj256ELj5E21rocsparse_complex_numIdEilEEv20rocsparse_direction_T3_S4_21rocsparse_index_base_PKT1_PKT2_PKS4_S4_S5_PS6_PS9_PS4_ ; -- Begin function _ZN9rocsparseL32bsr2csr_block_per_row_2_7_kernelILj256ELj5E21rocsparse_complex_numIdEilEEv20rocsparse_direction_T3_S4_21rocsparse_index_base_PKT1_PKT2_PKS4_S4_S5_PS6_PS9_PS4_
	.p2align	8
	.type	_ZN9rocsparseL32bsr2csr_block_per_row_2_7_kernelILj256ELj5E21rocsparse_complex_numIdEilEEv20rocsparse_direction_T3_S4_21rocsparse_index_base_PKT1_PKT2_PKS4_S4_S5_PS6_PS9_PS4_,@function
_ZN9rocsparseL32bsr2csr_block_per_row_2_7_kernelILj256ELj5E21rocsparse_complex_numIdEilEEv20rocsparse_direction_T3_S4_21rocsparse_index_base_PKT1_PKT2_PKS4_S4_S5_PS6_PS9_PS4_: ; @_ZN9rocsparseL32bsr2csr_block_per_row_2_7_kernelILj256ELj5E21rocsparse_complex_numIdEilEEv20rocsparse_direction_T3_S4_21rocsparse_index_base_PKT1_PKT2_PKS4_S4_S5_PS6_PS9_PS4_
; %bb.0:
	s_load_dwordx2 s[2:3], s[4:5], 0x28
	s_load_dword s8, s[4:5], 0x40
	s_load_dwordx2 s[0:1], s[4:5], 0x50
	s_mov_b32 s7, 0
	s_lshl_b64 s[10:11], s[6:7], 2
	s_waitcnt lgkmcnt(0)
	s_add_u32 s10, s2, s10
	v_or_b32_e32 v1, s6, v0
	s_addc_u32 s11, s3, s11
	v_cmp_eq_u32_e32 vcc, 0, v1
	s_and_saveexec_b64 s[2:3], vcc
	s_cbranch_execz .LBB290_2
; %bb.1:
	v_mov_b32_e32 v1, 0
	v_mov_b32_e32 v2, s8
	global_store_dword v1, v2, s[0:1]
.LBB290_2:
	s_or_b64 exec, exec, s[2:3]
	v_and_b32_e32 v1, 7, v0
	v_cmp_gt_u32_e32 vcc, 5, v1
	s_and_saveexec_b64 s[2:3], vcc
	s_cbranch_execz .LBB290_6
; %bb.3:
	s_load_dwordx2 s[2:3], s[10:11], 0x0
	s_load_dword s18, s[4:5], 0x18
	v_lshrrev_b32_e32 v4, 3, v0
	v_lshlrev_b32_e32 v2, 2, v1
	s_waitcnt lgkmcnt(0)
	s_sub_i32 s7, s2, s18
	s_sub_i32 s19, s3, s18
	;; [unrolled: 1-line block ×3, first 2 shown]
	s_mul_i32 s9, s9, 5
	s_mul_i32 s3, s7, 25
	v_mul_lo_u32 v5, s9, v1
	s_add_i32 s9, s9, s8
	s_add_i32 s9, s9, s3
	s_mul_hi_u32 s3, s6, 20
	s_mul_i32 s6, s6, 20
	s_add_u32 s0, s0, s6
	v_add_u32_e32 v0, s9, v5
	s_addc_u32 s1, s1, s3
	global_store_dword v2, v0, s[0:1] offset:4
	v_add_u32_e32 v0, s7, v4
	v_cmp_gt_i32_e32 vcc, s19, v0
	s_and_b64 exec, exec, vcc
	s_cbranch_execz .LBB290_6
; %bb.4:
	s_load_dwordx2 s[10:11], s[4:5], 0x30
	s_load_dwordx2 s[12:13], s[4:5], 0x48
	;; [unrolled: 1-line block ×3, first 2 shown]
	s_load_dword s0, s[4:5], 0x0
	s_load_dwordx2 s[14:15], s[4:5], 0x58
	v_lshlrev_b32_e32 v2, 4, v1
	v_lshlrev_b32_e32 v1, 6, v1
	s_waitcnt lgkmcnt(0)
	v_mov_b32_e32 v7, s7
	v_add_co_u32_e32 v6, vcc, s6, v2
	v_addc_co_u32_e32 v7, vcc, 0, v7, vcc
	v_add_co_u32_e32 v8, vcc, v6, v1
	s_mul_i32 s2, s2, 25
	v_mul_u32_u24_e32 v1, 5, v4
	s_mov_b32 s3, 0
	s_cmp_eq_u32 s0, 0
	v_add3_u32 v1, v5, s2, v1
	s_mul_i32 s2, s18, 25
	v_mov_b32_e32 v3, 0
	s_mov_b32 s9, s3
	s_cselect_b64 s[0:1], -1, 0
	v_addc_co_u32_e32 v9, vcc, 0, v7, vcc
	v_mul_lo_u32 v2, v0, 25
	v_subrev_u32_e32 v4, s2, v1
	s_mov_b64 s[16:17], 0
	v_mov_b32_e32 v10, s11
	v_mov_b32_e32 v11, s3
	v_mov_b32_e32 v12, s15
	v_mov_b32_e32 v13, s13
	s_movk_i32 s11, 0x50
	s_movk_i32 s13, 0xa0
	;; [unrolled: 1-line block ×4, first 2 shown]
.LBB290_5:                              ; =>This Inner Loop Header: Depth=1
	v_ashrrev_i32_e32 v1, 31, v0
	v_lshlrev_b64 v[14:15], 4, v[2:3]
	v_lshlrev_b64 v[16:17], 3, v[0:1]
	v_add_co_u32_e32 v1, vcc, v6, v14
	v_addc_co_u32_e32 v5, vcc, v7, v15, vcc
	v_add_co_u32_e32 v14, vcc, v8, v14
	v_addc_co_u32_e32 v15, vcc, v9, v15, vcc
	v_add_co_u32_e32 v18, vcc, s10, v16
	v_addc_co_u32_e32 v19, vcc, v10, v17, vcc
	v_add_co_u32_e32 v22, vcc, 16, v14
	v_addc_co_u32_e32 v23, vcc, 0, v15, vcc
	v_add_co_u32_e32 v24, vcc, s11, v1
	v_addc_co_u32_e32 v25, vcc, 0, v5, vcc
	v_add_co_u32_e32 v26, vcc, 32, v14
	v_addc_co_u32_e32 v27, vcc, 0, v15, vcc
	v_add_co_u32_e32 v28, vcc, s13, v1
	v_addc_co_u32_e32 v29, vcc, 0, v5, vcc
	v_add_co_u32_e32 v36, vcc, 48, v14
	v_addc_co_u32_e32 v37, vcc, 0, v15, vcc
	v_add_co_u32_e32 v38, vcc, s15, v1
	v_addc_co_u32_e32 v39, vcc, 0, v5, vcc
	v_add_co_u32_e32 v40, vcc, 64, v14
	v_cndmask_b32_e64 v21, v5, v15, s[0:1]
	v_cndmask_b32_e64 v20, v1, v14, s[0:1]
	v_addc_co_u32_e32 v41, vcc, 0, v15, vcc
	global_load_dwordx2 v[34:35], v[18:19], off
	global_load_dwordx4 v[14:17], v[20:21], off
	v_cndmask_b32_e64 v31, v25, v23, s[0:1]
	v_cndmask_b32_e64 v30, v24, v22, s[0:1]
	v_cndmask_b32_e64 v33, v29, v27, s[0:1]
	v_cndmask_b32_e64 v32, v28, v26, s[0:1]
	v_cndmask_b32_e64 v37, v39, v37, s[0:1]
	v_cndmask_b32_e64 v36, v38, v36, s[0:1]
	global_load_dwordx4 v[18:21], v[30:31], off
	global_load_dwordx4 v[22:25], v[32:33], off
	;; [unrolled: 1-line block ×3, first 2 shown]
	v_add_co_u32_e32 v1, vcc, s20, v1
	v_addc_co_u32_e32 v5, vcc, 0, v5, vcc
	v_cndmask_b32_e64 v38, v1, v40, s[0:1]
	v_cndmask_b32_e64 v39, v5, v41, s[0:1]
	global_load_dwordx4 v[30:33], v[38:39], off
	v_ashrrev_i32_e32 v5, 31, v4
	v_lshlrev_b64 v[36:37], 3, v[4:5]
	v_add_co_u32_e32 v36, vcc, s14, v36
	v_lshlrev_b64 v[38:39], 4, v[4:5]
	v_addc_co_u32_e32 v37, vcc, v12, v37, vcc
	v_add_co_u32_e32 v38, vcc, s12, v38
	v_add_u32_e32 v0, 32, v0
	v_addc_co_u32_e32 v39, vcc, v13, v39, vcc
	v_cmp_le_i32_e32 vcc, s19, v0
	s_or_b64 s[16:17], vcc, s[16:17]
	v_add_u32_e32 v2, 0x320, v2
	v_add_u32_e32 v4, 0xa0, v4
	s_waitcnt vmcnt(5)
	v_subrev_co_u32_e32 v1, vcc, s18, v34
	s_waitcnt vmcnt(4)
	global_store_dwordx4 v[38:39], v[14:17], off
	v_subb_co_u32_e32 v5, vcc, v35, v11, vcc
	v_mad_u64_u32 v[16:17], s[2:3], v1, 5, s[8:9]
	s_waitcnt vmcnt(4)
	global_store_dwordx4 v[38:39], v[18:21], off offset:16
	s_waitcnt vmcnt(4)
	global_store_dwordx4 v[38:39], v[22:25], off offset:32
	;; [unrolled: 2-line block ×3, first 2 shown]
	v_mov_b32_e32 v18, v17
	v_mad_u64_u32 v[18:19], s[2:3], v5, 5, v[18:19]
	v_mov_b32_e32 v14, v16
	v_mov_b32_e32 v1, v18
	;; [unrolled: 1-line block ×3, first 2 shown]
	v_add_co_u32_e32 v18, vcc, 2, v16
	v_add_co_u32_e64 v20, s[2:3], 3, v16
	v_add_co_u32_e64 v22, s[4:5], 4, v16
	;; [unrolled: 1-line block ×3, first 2 shown]
	v_addc_co_u32_e64 v17, s[6:7], 0, v1, s[6:7]
	s_waitcnt vmcnt(4)
	global_store_dwordx4 v[38:39], v[30:33], off offset:64
	v_addc_co_u32_e32 v19, vcc, 0, v1, vcc
	v_addc_co_u32_e64 v21, vcc, 0, v1, s[2:3]
	v_addc_co_u32_e64 v23, vcc, 0, v1, s[4:5]
	global_store_dwordx4 v[36:37], v[14:17], off
	global_store_dwordx4 v[36:37], v[18:21], off offset:16
	global_store_dwordx2 v[36:37], v[22:23], off offset:32
	s_andn2_b64 exec, exec, s[16:17]
	s_cbranch_execnz .LBB290_5
.LBB290_6:
	s_endpgm
	.section	.rodata,"a",@progbits
	.p2align	6, 0x0
	.amdhsa_kernel _ZN9rocsparseL32bsr2csr_block_per_row_2_7_kernelILj256ELj5E21rocsparse_complex_numIdEilEEv20rocsparse_direction_T3_S4_21rocsparse_index_base_PKT1_PKT2_PKS4_S4_S5_PS6_PS9_PS4_
		.amdhsa_group_segment_fixed_size 0
		.amdhsa_private_segment_fixed_size 0
		.amdhsa_kernarg_size 96
		.amdhsa_user_sgpr_count 6
		.amdhsa_user_sgpr_private_segment_buffer 1
		.amdhsa_user_sgpr_dispatch_ptr 0
		.amdhsa_user_sgpr_queue_ptr 0
		.amdhsa_user_sgpr_kernarg_segment_ptr 1
		.amdhsa_user_sgpr_dispatch_id 0
		.amdhsa_user_sgpr_flat_scratch_init 0
		.amdhsa_user_sgpr_kernarg_preload_length 0
		.amdhsa_user_sgpr_kernarg_preload_offset 0
		.amdhsa_user_sgpr_private_segment_size 0
		.amdhsa_uses_dynamic_stack 0
		.amdhsa_system_sgpr_private_segment_wavefront_offset 0
		.amdhsa_system_sgpr_workgroup_id_x 1
		.amdhsa_system_sgpr_workgroup_id_y 0
		.amdhsa_system_sgpr_workgroup_id_z 0
		.amdhsa_system_sgpr_workgroup_info 0
		.amdhsa_system_vgpr_workitem_id 0
		.amdhsa_next_free_vgpr 42
		.amdhsa_next_free_sgpr 21
		.amdhsa_accum_offset 44
		.amdhsa_reserve_vcc 1
		.amdhsa_reserve_flat_scratch 0
		.amdhsa_float_round_mode_32 0
		.amdhsa_float_round_mode_16_64 0
		.amdhsa_float_denorm_mode_32 3
		.amdhsa_float_denorm_mode_16_64 3
		.amdhsa_dx10_clamp 1
		.amdhsa_ieee_mode 1
		.amdhsa_fp16_overflow 0
		.amdhsa_tg_split 0
		.amdhsa_exception_fp_ieee_invalid_op 0
		.amdhsa_exception_fp_denorm_src 0
		.amdhsa_exception_fp_ieee_div_zero 0
		.amdhsa_exception_fp_ieee_overflow 0
		.amdhsa_exception_fp_ieee_underflow 0
		.amdhsa_exception_fp_ieee_inexact 0
		.amdhsa_exception_int_div_zero 0
	.end_amdhsa_kernel
	.section	.text._ZN9rocsparseL32bsr2csr_block_per_row_2_7_kernelILj256ELj5E21rocsparse_complex_numIdEilEEv20rocsparse_direction_T3_S4_21rocsparse_index_base_PKT1_PKT2_PKS4_S4_S5_PS6_PS9_PS4_,"axG",@progbits,_ZN9rocsparseL32bsr2csr_block_per_row_2_7_kernelILj256ELj5E21rocsparse_complex_numIdEilEEv20rocsparse_direction_T3_S4_21rocsparse_index_base_PKT1_PKT2_PKS4_S4_S5_PS6_PS9_PS4_,comdat
.Lfunc_end290:
	.size	_ZN9rocsparseL32bsr2csr_block_per_row_2_7_kernelILj256ELj5E21rocsparse_complex_numIdEilEEv20rocsparse_direction_T3_S4_21rocsparse_index_base_PKT1_PKT2_PKS4_S4_S5_PS6_PS9_PS4_, .Lfunc_end290-_ZN9rocsparseL32bsr2csr_block_per_row_2_7_kernelILj256ELj5E21rocsparse_complex_numIdEilEEv20rocsparse_direction_T3_S4_21rocsparse_index_base_PKT1_PKT2_PKS4_S4_S5_PS6_PS9_PS4_
                                        ; -- End function
	.section	.AMDGPU.csdata,"",@progbits
; Kernel info:
; codeLenInByte = 860
; NumSgprs: 25
; NumVgprs: 42
; NumAgprs: 0
; TotalNumVgprs: 42
; ScratchSize: 0
; MemoryBound: 0
; FloatMode: 240
; IeeeMode: 1
; LDSByteSize: 0 bytes/workgroup (compile time only)
; SGPRBlocks: 3
; VGPRBlocks: 5
; NumSGPRsForWavesPerEU: 25
; NumVGPRsForWavesPerEU: 42
; AccumOffset: 44
; Occupancy: 8
; WaveLimiterHint : 0
; COMPUTE_PGM_RSRC2:SCRATCH_EN: 0
; COMPUTE_PGM_RSRC2:USER_SGPR: 6
; COMPUTE_PGM_RSRC2:TRAP_HANDLER: 0
; COMPUTE_PGM_RSRC2:TGID_X_EN: 1
; COMPUTE_PGM_RSRC2:TGID_Y_EN: 0
; COMPUTE_PGM_RSRC2:TGID_Z_EN: 0
; COMPUTE_PGM_RSRC2:TIDIG_COMP_CNT: 0
; COMPUTE_PGM_RSRC3_GFX90A:ACCUM_OFFSET: 10
; COMPUTE_PGM_RSRC3_GFX90A:TG_SPLIT: 0
	.section	.text._ZN9rocsparseL32bsr2csr_block_per_row_2_7_kernelILj256ELj6E21rocsparse_complex_numIdEilEEv20rocsparse_direction_T3_S4_21rocsparse_index_base_PKT1_PKT2_PKS4_S4_S5_PS6_PS9_PS4_,"axG",@progbits,_ZN9rocsparseL32bsr2csr_block_per_row_2_7_kernelILj256ELj6E21rocsparse_complex_numIdEilEEv20rocsparse_direction_T3_S4_21rocsparse_index_base_PKT1_PKT2_PKS4_S4_S5_PS6_PS9_PS4_,comdat
	.globl	_ZN9rocsparseL32bsr2csr_block_per_row_2_7_kernelILj256ELj6E21rocsparse_complex_numIdEilEEv20rocsparse_direction_T3_S4_21rocsparse_index_base_PKT1_PKT2_PKS4_S4_S5_PS6_PS9_PS4_ ; -- Begin function _ZN9rocsparseL32bsr2csr_block_per_row_2_7_kernelILj256ELj6E21rocsparse_complex_numIdEilEEv20rocsparse_direction_T3_S4_21rocsparse_index_base_PKT1_PKT2_PKS4_S4_S5_PS6_PS9_PS4_
	.p2align	8
	.type	_ZN9rocsparseL32bsr2csr_block_per_row_2_7_kernelILj256ELj6E21rocsparse_complex_numIdEilEEv20rocsparse_direction_T3_S4_21rocsparse_index_base_PKT1_PKT2_PKS4_S4_S5_PS6_PS9_PS4_,@function
_ZN9rocsparseL32bsr2csr_block_per_row_2_7_kernelILj256ELj6E21rocsparse_complex_numIdEilEEv20rocsparse_direction_T3_S4_21rocsparse_index_base_PKT1_PKT2_PKS4_S4_S5_PS6_PS9_PS4_: ; @_ZN9rocsparseL32bsr2csr_block_per_row_2_7_kernelILj256ELj6E21rocsparse_complex_numIdEilEEv20rocsparse_direction_T3_S4_21rocsparse_index_base_PKT1_PKT2_PKS4_S4_S5_PS6_PS9_PS4_
; %bb.0:
	s_load_dwordx2 s[2:3], s[4:5], 0x28
	s_load_dword s10, s[4:5], 0x40
	s_load_dwordx2 s[0:1], s[4:5], 0x50
	s_mov_b32 s7, 0
	s_lshl_b64 s[8:9], s[6:7], 2
	s_waitcnt lgkmcnt(0)
	s_add_u32 s8, s2, s8
	v_or_b32_e32 v1, s6, v0
	s_addc_u32 s9, s3, s9
	v_cmp_eq_u32_e32 vcc, 0, v1
	s_and_saveexec_b64 s[2:3], vcc
	s_cbranch_execz .LBB291_2
; %bb.1:
	v_mov_b32_e32 v1, 0
	v_mov_b32_e32 v2, s10
	global_store_dword v1, v2, s[0:1]
.LBB291_2:
	s_or_b64 exec, exec, s[2:3]
	v_and_b32_e32 v1, 7, v0
	v_cmp_gt_u32_e32 vcc, 6, v1
	s_and_saveexec_b64 s[2:3], vcc
	s_cbranch_execz .LBB291_6
; %bb.3:
	s_load_dwordx2 s[2:3], s[8:9], 0x0
	s_load_dword s20, s[4:5], 0x18
	v_lshrrev_b32_e32 v8, 3, v0
	v_lshlrev_b32_e32 v2, 2, v1
	s_waitcnt lgkmcnt(0)
	s_sub_i32 s7, s2, s20
	s_sub_i32 s21, s3, s20
	;; [unrolled: 1-line block ×3, first 2 shown]
	s_mul_i32 s8, s8, 6
	s_mul_i32 s3, s7, 36
	v_mul_lo_u32 v9, s8, v1
	s_add_i32 s8, s8, s10
	s_add_i32 s8, s8, s3
	s_mul_hi_u32 s3, s6, 24
	s_mul_i32 s6, s6, 24
	s_add_u32 s0, s0, s6
	v_add_u32_e32 v0, s8, v9
	s_addc_u32 s1, s1, s3
	global_store_dword v2, v0, s[0:1] offset:4
	v_add_u32_e32 v0, s7, v8
	v_cmp_gt_i32_e32 vcc, s21, v0
	s_and_b64 exec, exec, vcc
	s_cbranch_execz .LBB291_6
; %bb.4:
	s_load_dwordx2 s[12:13], s[4:5], 0x30
	s_load_dwordx2 s[14:15], s[4:5], 0x48
	;; [unrolled: 1-line block ×3, first 2 shown]
	s_load_dword s0, s[4:5], 0x0
	s_load_dwordx2 s[16:17], s[4:5], 0x58
	v_lshlrev_b32_e32 v2, 4, v1
	s_movk_i32 s22, 0x50
	s_waitcnt lgkmcnt(0)
	v_mov_b32_e32 v5, s7
	v_add_co_u32_e32 v4, vcc, s6, v2
	v_addc_co_u32_e32 v5, vcc, 0, v5, vcc
	v_mad_u64_u32 v[6:7], s[4:5], v1, s22, v[4:5]
	s_mul_i32 s2, s2, 36
	v_mul_u32_u24_e32 v1, 6, v8
	s_mov_b32 s3, 0
	s_cmp_eq_u32 s0, 0
	v_add3_u32 v1, v9, s2, v1
	s_mul_i32 s2, s20, 36
	v_mov_b32_e32 v3, 0
	s_mov_b32 s11, s3
	s_cselect_b64 s[0:1], -1, 0
	v_mul_lo_u32 v2, v0, 36
	v_subrev_u32_e32 v8, s2, v1
	s_mov_b64 s[18:19], 0
	v_mov_b32_e32 v10, s13
	v_mov_b32_e32 v11, s3
	;; [unrolled: 1-line block ×4, first 2 shown]
	s_movk_i32 s13, 0x60
	s_movk_i32 s15, 0xc0
	;; [unrolled: 1-line block ×5, first 2 shown]
.LBB291_5:                              ; =>This Inner Loop Header: Depth=1
	v_ashrrev_i32_e32 v1, 31, v0
	v_lshlrev_b64 v[14:15], 4, v[2:3]
	v_lshlrev_b64 v[16:17], 3, v[0:1]
	v_add_co_u32_e32 v1, vcc, v4, v14
	v_addc_co_u32_e32 v9, vcc, v5, v15, vcc
	v_add_co_u32_e32 v22, vcc, v6, v14
	v_addc_co_u32_e32 v40, vcc, v7, v15, vcc
	;; [unrolled: 2-line block ×10, first 2 shown]
	v_add_co_u32_e32 v43, vcc, s23, v1
	v_cndmask_b32_e64 v35, v37, v35, s[0:1]
	v_addc_co_u32_e32 v37, vcc, 0, v9, vcc
	v_cndmask_b32_e64 v21, v9, v40, s[0:1]
	v_cndmask_b32_e64 v20, v1, v22, s[0:1]
	global_load_dwordx2 v[38:39], v[18:19], off
	global_load_dwordx4 v[14:17], v[20:21], off
	v_cndmask_b32_e64 v31, v26, v24, s[0:1]
	v_cndmask_b32_e64 v30, v25, v23, s[0:1]
	;; [unrolled: 1-line block ×4, first 2 shown]
	v_add_co_u32_e32 v41, vcc, s22, v22
	v_cndmask_b32_e64 v33, v32, v28, s[0:1]
	v_cndmask_b32_e64 v32, v29, v27, s[0:1]
	global_load_dwordx4 v[18:21], v[30:31], off
	global_load_dwordx4 v[22:25], v[32:33], off
	;; [unrolled: 1-line block ×3, first 2 shown]
	v_addc_co_u32_e32 v35, vcc, 0, v40, vcc
	v_add_co_u32_e32 v1, vcc, s24, v1
	v_addc_co_u32_e32 v9, vcc, 0, v9, vcc
	v_cndmask_b32_e64 v37, v37, v42, s[0:1]
	v_cndmask_b32_e64 v34, v1, v41, s[0:1]
	;; [unrolled: 1-line block ×3, first 2 shown]
	global_load_dwordx4 v[30:33], v[36:37], off
	v_ashrrev_i32_e32 v9, 31, v8
	global_load_dwordx4 v[34:37], v[34:35], off
	v_lshlrev_b64 v[40:41], 3, v[8:9]
	v_add_co_u32_e32 v40, vcc, s16, v40
	v_lshlrev_b64 v[42:43], 4, v[8:9]
	v_addc_co_u32_e32 v41, vcc, v12, v41, vcc
	v_add_co_u32_e32 v42, vcc, s14, v42
	v_add_u32_e32 v0, 32, v0
	v_addc_co_u32_e32 v43, vcc, v13, v43, vcc
	v_cmp_le_i32_e32 vcc, s21, v0
	s_or_b64 s[18:19], vcc, s[18:19]
	v_add_u32_e32 v2, 0x480, v2
	v_add_u32_e32 v8, 0xc0, v8
	s_waitcnt vmcnt(6)
	v_subrev_co_u32_e32 v1, vcc, s20, v38
	s_waitcnt vmcnt(5)
	global_store_dwordx4 v[42:43], v[14:17], off
	v_subb_co_u32_e32 v9, vcc, v39, v11, vcc
	v_mad_u64_u32 v[16:17], s[2:3], v1, 6, s[10:11]
	s_waitcnt vmcnt(5)
	global_store_dwordx4 v[42:43], v[18:21], off offset:16
	s_waitcnt vmcnt(5)
	global_store_dwordx4 v[42:43], v[22:25], off offset:32
	;; [unrolled: 2-line block ×3, first 2 shown]
	v_mov_b32_e32 v18, v17
	v_mad_u64_u32 v[18:19], s[2:3], v9, 6, v[18:19]
	v_mov_b32_e32 v14, v16
	v_mov_b32_e32 v1, v18
	;; [unrolled: 1-line block ×3, first 2 shown]
	v_add_co_u32_e32 v18, vcc, 2, v16
	v_add_co_u32_e64 v20, s[2:3], 3, v16
	v_add_co_u32_e64 v22, s[4:5], 4, v16
	v_add_co_u32_e64 v24, s[6:7], 5, v16
	v_add_co_u32_e64 v16, s[8:9], 1, v16
	v_addc_co_u32_e64 v17, s[8:9], 0, v1, s[8:9]
	s_waitcnt vmcnt(5)
	global_store_dwordx4 v[42:43], v[30:33], off offset:64
	s_waitcnt vmcnt(5)
	global_store_dwordx4 v[42:43], v[34:37], off offset:80
	v_addc_co_u32_e32 v19, vcc, 0, v1, vcc
	v_addc_co_u32_e64 v21, vcc, 0, v1, s[2:3]
	v_addc_co_u32_e64 v23, vcc, 0, v1, s[4:5]
	;; [unrolled: 1-line block ×3, first 2 shown]
	global_store_dwordx4 v[40:41], v[14:17], off
	global_store_dwordx4 v[40:41], v[18:21], off offset:16
	global_store_dwordx4 v[40:41], v[22:25], off offset:32
	s_andn2_b64 exec, exec, s[18:19]
	s_cbranch_execnz .LBB291_5
.LBB291_6:
	s_endpgm
	.section	.rodata,"a",@progbits
	.p2align	6, 0x0
	.amdhsa_kernel _ZN9rocsparseL32bsr2csr_block_per_row_2_7_kernelILj256ELj6E21rocsparse_complex_numIdEilEEv20rocsparse_direction_T3_S4_21rocsparse_index_base_PKT1_PKT2_PKS4_S4_S5_PS6_PS9_PS4_
		.amdhsa_group_segment_fixed_size 0
		.amdhsa_private_segment_fixed_size 0
		.amdhsa_kernarg_size 96
		.amdhsa_user_sgpr_count 6
		.amdhsa_user_sgpr_private_segment_buffer 1
		.amdhsa_user_sgpr_dispatch_ptr 0
		.amdhsa_user_sgpr_queue_ptr 0
		.amdhsa_user_sgpr_kernarg_segment_ptr 1
		.amdhsa_user_sgpr_dispatch_id 0
		.amdhsa_user_sgpr_flat_scratch_init 0
		.amdhsa_user_sgpr_kernarg_preload_length 0
		.amdhsa_user_sgpr_kernarg_preload_offset 0
		.amdhsa_user_sgpr_private_segment_size 0
		.amdhsa_uses_dynamic_stack 0
		.amdhsa_system_sgpr_private_segment_wavefront_offset 0
		.amdhsa_system_sgpr_workgroup_id_x 1
		.amdhsa_system_sgpr_workgroup_id_y 0
		.amdhsa_system_sgpr_workgroup_id_z 0
		.amdhsa_system_sgpr_workgroup_info 0
		.amdhsa_system_vgpr_workitem_id 0
		.amdhsa_next_free_vgpr 44
		.amdhsa_next_free_sgpr 25
		.amdhsa_accum_offset 44
		.amdhsa_reserve_vcc 1
		.amdhsa_reserve_flat_scratch 0
		.amdhsa_float_round_mode_32 0
		.amdhsa_float_round_mode_16_64 0
		.amdhsa_float_denorm_mode_32 3
		.amdhsa_float_denorm_mode_16_64 3
		.amdhsa_dx10_clamp 1
		.amdhsa_ieee_mode 1
		.amdhsa_fp16_overflow 0
		.amdhsa_tg_split 0
		.amdhsa_exception_fp_ieee_invalid_op 0
		.amdhsa_exception_fp_denorm_src 0
		.amdhsa_exception_fp_ieee_div_zero 0
		.amdhsa_exception_fp_ieee_overflow 0
		.amdhsa_exception_fp_ieee_underflow 0
		.amdhsa_exception_fp_ieee_inexact 0
		.amdhsa_exception_int_div_zero 0
	.end_amdhsa_kernel
	.section	.text._ZN9rocsparseL32bsr2csr_block_per_row_2_7_kernelILj256ELj6E21rocsparse_complex_numIdEilEEv20rocsparse_direction_T3_S4_21rocsparse_index_base_PKT1_PKT2_PKS4_S4_S5_PS6_PS9_PS4_,"axG",@progbits,_ZN9rocsparseL32bsr2csr_block_per_row_2_7_kernelILj256ELj6E21rocsparse_complex_numIdEilEEv20rocsparse_direction_T3_S4_21rocsparse_index_base_PKT1_PKT2_PKS4_S4_S5_PS6_PS9_PS4_,comdat
.Lfunc_end291:
	.size	_ZN9rocsparseL32bsr2csr_block_per_row_2_7_kernelILj256ELj6E21rocsparse_complex_numIdEilEEv20rocsparse_direction_T3_S4_21rocsparse_index_base_PKT1_PKT2_PKS4_S4_S5_PS6_PS9_PS4_, .Lfunc_end291-_ZN9rocsparseL32bsr2csr_block_per_row_2_7_kernelILj256ELj6E21rocsparse_complex_numIdEilEEv20rocsparse_direction_T3_S4_21rocsparse_index_base_PKT1_PKT2_PKS4_S4_S5_PS6_PS9_PS4_
                                        ; -- End function
	.section	.AMDGPU.csdata,"",@progbits
; Kernel info:
; codeLenInByte = 932
; NumSgprs: 29
; NumVgprs: 44
; NumAgprs: 0
; TotalNumVgprs: 44
; ScratchSize: 0
; MemoryBound: 0
; FloatMode: 240
; IeeeMode: 1
; LDSByteSize: 0 bytes/workgroup (compile time only)
; SGPRBlocks: 3
; VGPRBlocks: 5
; NumSGPRsForWavesPerEU: 29
; NumVGPRsForWavesPerEU: 44
; AccumOffset: 44
; Occupancy: 8
; WaveLimiterHint : 0
; COMPUTE_PGM_RSRC2:SCRATCH_EN: 0
; COMPUTE_PGM_RSRC2:USER_SGPR: 6
; COMPUTE_PGM_RSRC2:TRAP_HANDLER: 0
; COMPUTE_PGM_RSRC2:TGID_X_EN: 1
; COMPUTE_PGM_RSRC2:TGID_Y_EN: 0
; COMPUTE_PGM_RSRC2:TGID_Z_EN: 0
; COMPUTE_PGM_RSRC2:TIDIG_COMP_CNT: 0
; COMPUTE_PGM_RSRC3_GFX90A:ACCUM_OFFSET: 10
; COMPUTE_PGM_RSRC3_GFX90A:TG_SPLIT: 0
	.section	.text._ZN9rocsparseL32bsr2csr_block_per_row_2_7_kernelILj256ELj7E21rocsparse_complex_numIdEilEEv20rocsparse_direction_T3_S4_21rocsparse_index_base_PKT1_PKT2_PKS4_S4_S5_PS6_PS9_PS4_,"axG",@progbits,_ZN9rocsparseL32bsr2csr_block_per_row_2_7_kernelILj256ELj7E21rocsparse_complex_numIdEilEEv20rocsparse_direction_T3_S4_21rocsparse_index_base_PKT1_PKT2_PKS4_S4_S5_PS6_PS9_PS4_,comdat
	.globl	_ZN9rocsparseL32bsr2csr_block_per_row_2_7_kernelILj256ELj7E21rocsparse_complex_numIdEilEEv20rocsparse_direction_T3_S4_21rocsparse_index_base_PKT1_PKT2_PKS4_S4_S5_PS6_PS9_PS4_ ; -- Begin function _ZN9rocsparseL32bsr2csr_block_per_row_2_7_kernelILj256ELj7E21rocsparse_complex_numIdEilEEv20rocsparse_direction_T3_S4_21rocsparse_index_base_PKT1_PKT2_PKS4_S4_S5_PS6_PS9_PS4_
	.p2align	8
	.type	_ZN9rocsparseL32bsr2csr_block_per_row_2_7_kernelILj256ELj7E21rocsparse_complex_numIdEilEEv20rocsparse_direction_T3_S4_21rocsparse_index_base_PKT1_PKT2_PKS4_S4_S5_PS6_PS9_PS4_,@function
_ZN9rocsparseL32bsr2csr_block_per_row_2_7_kernelILj256ELj7E21rocsparse_complex_numIdEilEEv20rocsparse_direction_T3_S4_21rocsparse_index_base_PKT1_PKT2_PKS4_S4_S5_PS6_PS9_PS4_: ; @_ZN9rocsparseL32bsr2csr_block_per_row_2_7_kernelILj256ELj7E21rocsparse_complex_numIdEilEEv20rocsparse_direction_T3_S4_21rocsparse_index_base_PKT1_PKT2_PKS4_S4_S5_PS6_PS9_PS4_
; %bb.0:
	s_load_dwordx2 s[2:3], s[4:5], 0x28
	s_load_dword s12, s[4:5], 0x40
	s_load_dwordx2 s[0:1], s[4:5], 0x50
	s_mov_b32 s7, 0
	s_lshl_b64 s[8:9], s[6:7], 2
	s_waitcnt lgkmcnt(0)
	s_add_u32 s8, s2, s8
	v_or_b32_e32 v1, s6, v0
	s_addc_u32 s9, s3, s9
	v_cmp_eq_u32_e32 vcc, 0, v1
	s_and_saveexec_b64 s[2:3], vcc
	s_cbranch_execz .LBB292_2
; %bb.1:
	v_mov_b32_e32 v1, 0
	v_mov_b32_e32 v2, s12
	global_store_dword v1, v2, s[0:1]
.LBB292_2:
	s_or_b64 exec, exec, s[2:3]
	v_and_b32_e32 v1, 7, v0
	v_cmp_ne_u32_e32 vcc, 7, v1
	s_and_saveexec_b64 s[2:3], vcc
	s_cbranch_execz .LBB292_6
; %bb.3:
	s_load_dwordx2 s[2:3], s[8:9], 0x0
	s_load_dword s22, s[4:5], 0x18
	v_lshrrev_b32_e32 v8, 3, v0
	v_lshlrev_b32_e32 v2, 2, v1
	s_waitcnt lgkmcnt(0)
	s_sub_i32 s7, s2, s22
	s_sub_i32 s23, s3, s22
	;; [unrolled: 1-line block ×3, first 2 shown]
	s_mul_i32 s8, s8, 7
	s_mul_i32 s3, s7, 49
	v_mul_lo_u32 v9, s8, v1
	s_add_i32 s8, s8, s12
	s_add_i32 s8, s8, s3
	s_mul_hi_u32 s3, s6, 28
	s_mul_i32 s6, s6, 28
	s_add_u32 s0, s0, s6
	v_add_u32_e32 v0, s8, v9
	s_addc_u32 s1, s1, s3
	global_store_dword v2, v0, s[0:1] offset:4
	v_add_u32_e32 v0, s7, v8
	v_cmp_gt_i32_e32 vcc, s23, v0
	s_and_b64 exec, exec, vcc
	s_cbranch_execz .LBB292_6
; %bb.4:
	s_load_dwordx2 s[14:15], s[4:5], 0x30
	s_load_dwordx2 s[16:17], s[4:5], 0x48
	;; [unrolled: 1-line block ×3, first 2 shown]
	s_load_dword s0, s[4:5], 0x0
	s_load_dwordx2 s[18:19], s[4:5], 0x58
	v_lshlrev_b32_e32 v2, 4, v1
	s_movk_i32 s24, 0x60
	s_waitcnt lgkmcnt(0)
	v_mov_b32_e32 v5, s7
	v_add_co_u32_e32 v4, vcc, s6, v2
	v_addc_co_u32_e32 v5, vcc, 0, v5, vcc
	v_mad_u64_u32 v[6:7], s[4:5], v1, s24, v[4:5]
	s_mul_i32 s2, s2, 49
	v_mul_u32_u24_e32 v1, 7, v8
	s_mov_b32 s3, 0
	s_cmp_eq_u32 s0, 0
	v_add3_u32 v1, v9, s2, v1
	s_mul_i32 s2, s22, 49
	v_mov_b32_e32 v3, 0
	s_mov_b32 s13, s3
	s_cselect_b64 s[0:1], -1, 0
	v_mul_lo_u32 v2, v0, 49
	v_subrev_u32_e32 v8, s2, v1
	s_mov_b64 s[20:21], 0
	v_mov_b32_e32 v10, s15
	v_mov_b32_e32 v11, s3
	;; [unrolled: 1-line block ×4, first 2 shown]
	s_movk_i32 s15, 0x70
	s_movk_i32 s17, 0xe0
	;; [unrolled: 1-line block ×7, first 2 shown]
.LBB292_5:                              ; =>This Inner Loop Header: Depth=1
	v_ashrrev_i32_e32 v1, 31, v0
	v_lshlrev_b64 v[14:15], 4, v[2:3]
	v_lshlrev_b64 v[16:17], 3, v[0:1]
	v_add_co_u32_e32 v1, vcc, v4, v14
	v_addc_co_u32_e32 v9, vcc, v5, v15, vcc
	v_add_co_u32_e32 v44, vcc, v6, v14
	v_addc_co_u32_e32 v45, vcc, v7, v15, vcc
	;; [unrolled: 2-line block ×11, first 2 shown]
	v_add_co_u32_e32 v48, vcc, s26, v44
	v_cndmask_b32_e64 v40, v46, v40, s[0:1]
	v_addc_co_u32_e32 v46, vcc, 0, v45, vcc
	v_cndmask_b32_e64 v21, v9, v45, s[0:1]
	v_cndmask_b32_e64 v20, v1, v44, s[0:1]
	v_cndmask_b32_e64 v35, v25, v23, s[0:1]
	v_cndmask_b32_e64 v34, v24, v22, s[0:1]
	v_cndmask_b32_e64 v41, v47, v41, s[0:1]
	v_add_co_u32_e32 v47, vcc, s27, v1
	global_load_dwordx2 v[42:43], v[18:19], off
	global_load_dwordx4 v[14:17], v[20:21], off
	v_cndmask_b32_e64 v37, v29, v27, s[0:1]
	v_cndmask_b32_e64 v36, v28, v26, s[0:1]
	;; [unrolled: 1-line block ×4, first 2 shown]
	global_load_dwordx4 v[18:21], v[34:35], off
	global_load_dwordx4 v[22:25], v[36:37], off
	;; [unrolled: 1-line block ×4, first 2 shown]
	v_addc_co_u32_e32 v35, vcc, 0, v9, vcc
	v_add_co_u32_e32 v38, vcc, s24, v44
	v_addc_co_u32_e32 v39, vcc, 0, v45, vcc
	v_add_co_u32_e32 v1, vcc, s28, v1
	v_addc_co_u32_e32 v9, vcc, 0, v9, vcc
	v_cndmask_b32_e64 v34, v47, v48, s[0:1]
	v_cndmask_b32_e64 v35, v35, v46, s[0:1]
	;; [unrolled: 1-line block ×4, first 2 shown]
	global_load_dwordx4 v[34:37], v[34:35], off
	v_ashrrev_i32_e32 v9, 31, v8
	global_load_dwordx4 v[38:41], v[38:39], off
	v_lshlrev_b64 v[44:45], 3, v[8:9]
	v_add_co_u32_e32 v44, vcc, s18, v44
	v_lshlrev_b64 v[46:47], 4, v[8:9]
	v_addc_co_u32_e32 v45, vcc, v12, v45, vcc
	v_add_co_u32_e32 v46, vcc, s16, v46
	v_add_u32_e32 v0, 32, v0
	v_addc_co_u32_e32 v47, vcc, v13, v47, vcc
	v_cmp_le_i32_e32 vcc, s23, v0
	s_or_b64 s[20:21], vcc, s[20:21]
	v_add_u32_e32 v2, 0x620, v2
	v_add_u32_e32 v8, 0xe0, v8
	s_waitcnt vmcnt(7)
	v_subrev_co_u32_e32 v1, vcc, s22, v42
	s_waitcnt vmcnt(6)
	global_store_dwordx4 v[46:47], v[14:17], off
	v_subb_co_u32_e32 v9, vcc, v43, v11, vcc
	v_mad_u64_u32 v[16:17], s[2:3], v1, 7, s[12:13]
	s_waitcnt vmcnt(6)
	global_store_dwordx4 v[46:47], v[18:21], off offset:16
	s_waitcnt vmcnt(6)
	global_store_dwordx4 v[46:47], v[22:25], off offset:32
	;; [unrolled: 2-line block ×4, first 2 shown]
	v_mov_b32_e32 v18, v17
	v_mad_u64_u32 v[18:19], s[2:3], v9, 7, v[18:19]
	v_mov_b32_e32 v14, v16
	v_mov_b32_e32 v1, v18
	;; [unrolled: 1-line block ×3, first 2 shown]
	v_add_co_u32_e32 v18, vcc, 2, v16
	v_add_co_u32_e64 v20, s[2:3], 3, v16
	v_add_co_u32_e64 v22, s[4:5], 4, v16
	;; [unrolled: 1-line block ×5, first 2 shown]
	s_waitcnt vmcnt(6)
	global_store_dwordx4 v[46:47], v[34:37], off offset:80
	v_addc_co_u32_e64 v17, s[10:11], 0, v1, s[10:11]
	v_addc_co_u32_e32 v19, vcc, 0, v1, vcc
	v_addc_co_u32_e64 v21, vcc, 0, v1, s[2:3]
	v_addc_co_u32_e64 v23, vcc, 0, v1, s[4:5]
	v_addc_co_u32_e64 v25, vcc, 0, v1, s[6:7]
	v_addc_co_u32_e64 v27, vcc, 0, v1, s[8:9]
	s_waitcnt vmcnt(6)
	global_store_dwordx4 v[46:47], v[38:41], off offset:96
	global_store_dwordx4 v[44:45], v[14:17], off
	global_store_dwordx4 v[44:45], v[18:21], off offset:16
	global_store_dwordx4 v[44:45], v[22:25], off offset:32
	global_store_dwordx2 v[44:45], v[26:27], off offset:48
	s_andn2_b64 exec, exec, s[20:21]
	s_cbranch_execnz .LBB292_5
.LBB292_6:
	s_endpgm
	.section	.rodata,"a",@progbits
	.p2align	6, 0x0
	.amdhsa_kernel _ZN9rocsparseL32bsr2csr_block_per_row_2_7_kernelILj256ELj7E21rocsparse_complex_numIdEilEEv20rocsparse_direction_T3_S4_21rocsparse_index_base_PKT1_PKT2_PKS4_S4_S5_PS6_PS9_PS4_
		.amdhsa_group_segment_fixed_size 0
		.amdhsa_private_segment_fixed_size 0
		.amdhsa_kernarg_size 96
		.amdhsa_user_sgpr_count 6
		.amdhsa_user_sgpr_private_segment_buffer 1
		.amdhsa_user_sgpr_dispatch_ptr 0
		.amdhsa_user_sgpr_queue_ptr 0
		.amdhsa_user_sgpr_kernarg_segment_ptr 1
		.amdhsa_user_sgpr_dispatch_id 0
		.amdhsa_user_sgpr_flat_scratch_init 0
		.amdhsa_user_sgpr_kernarg_preload_length 0
		.amdhsa_user_sgpr_kernarg_preload_offset 0
		.amdhsa_user_sgpr_private_segment_size 0
		.amdhsa_uses_dynamic_stack 0
		.amdhsa_system_sgpr_private_segment_wavefront_offset 0
		.amdhsa_system_sgpr_workgroup_id_x 1
		.amdhsa_system_sgpr_workgroup_id_y 0
		.amdhsa_system_sgpr_workgroup_id_z 0
		.amdhsa_system_sgpr_workgroup_info 0
		.amdhsa_system_vgpr_workitem_id 0
		.amdhsa_next_free_vgpr 49
		.amdhsa_next_free_sgpr 29
		.amdhsa_accum_offset 52
		.amdhsa_reserve_vcc 1
		.amdhsa_reserve_flat_scratch 0
		.amdhsa_float_round_mode_32 0
		.amdhsa_float_round_mode_16_64 0
		.amdhsa_float_denorm_mode_32 3
		.amdhsa_float_denorm_mode_16_64 3
		.amdhsa_dx10_clamp 1
		.amdhsa_ieee_mode 1
		.amdhsa_fp16_overflow 0
		.amdhsa_tg_split 0
		.amdhsa_exception_fp_ieee_invalid_op 0
		.amdhsa_exception_fp_denorm_src 0
		.amdhsa_exception_fp_ieee_div_zero 0
		.amdhsa_exception_fp_ieee_overflow 0
		.amdhsa_exception_fp_ieee_underflow 0
		.amdhsa_exception_fp_ieee_inexact 0
		.amdhsa_exception_int_div_zero 0
	.end_amdhsa_kernel
	.section	.text._ZN9rocsparseL32bsr2csr_block_per_row_2_7_kernelILj256ELj7E21rocsparse_complex_numIdEilEEv20rocsparse_direction_T3_S4_21rocsparse_index_base_PKT1_PKT2_PKS4_S4_S5_PS6_PS9_PS4_,"axG",@progbits,_ZN9rocsparseL32bsr2csr_block_per_row_2_7_kernelILj256ELj7E21rocsparse_complex_numIdEilEEv20rocsparse_direction_T3_S4_21rocsparse_index_base_PKT1_PKT2_PKS4_S4_S5_PS6_PS9_PS4_,comdat
.Lfunc_end292:
	.size	_ZN9rocsparseL32bsr2csr_block_per_row_2_7_kernelILj256ELj7E21rocsparse_complex_numIdEilEEv20rocsparse_direction_T3_S4_21rocsparse_index_base_PKT1_PKT2_PKS4_S4_S5_PS6_PS9_PS4_, .Lfunc_end292-_ZN9rocsparseL32bsr2csr_block_per_row_2_7_kernelILj256ELj7E21rocsparse_complex_numIdEilEEv20rocsparse_direction_T3_S4_21rocsparse_index_base_PKT1_PKT2_PKS4_S4_S5_PS6_PS9_PS4_
                                        ; -- End function
	.section	.AMDGPU.csdata,"",@progbits
; Kernel info:
; codeLenInByte = 1016
; NumSgprs: 33
; NumVgprs: 49
; NumAgprs: 0
; TotalNumVgprs: 49
; ScratchSize: 0
; MemoryBound: 0
; FloatMode: 240
; IeeeMode: 1
; LDSByteSize: 0 bytes/workgroup (compile time only)
; SGPRBlocks: 4
; VGPRBlocks: 6
; NumSGPRsForWavesPerEU: 33
; NumVGPRsForWavesPerEU: 49
; AccumOffset: 52
; Occupancy: 8
; WaveLimiterHint : 0
; COMPUTE_PGM_RSRC2:SCRATCH_EN: 0
; COMPUTE_PGM_RSRC2:USER_SGPR: 6
; COMPUTE_PGM_RSRC2:TRAP_HANDLER: 0
; COMPUTE_PGM_RSRC2:TGID_X_EN: 1
; COMPUTE_PGM_RSRC2:TGID_Y_EN: 0
; COMPUTE_PGM_RSRC2:TGID_Z_EN: 0
; COMPUTE_PGM_RSRC2:TIDIG_COMP_CNT: 0
; COMPUTE_PGM_RSRC3_GFX90A:ACCUM_OFFSET: 12
; COMPUTE_PGM_RSRC3_GFX90A:TG_SPLIT: 0
	.section	.text._ZN9rocsparseL33bsr2csr_block_per_row_8_32_kernelILj1024ELj8E21rocsparse_complex_numIdEilEEv20rocsparse_direction_T3_S4_21rocsparse_index_base_PKT1_PKT2_PKS4_S4_S5_PS6_PS9_PS4_,"axG",@progbits,_ZN9rocsparseL33bsr2csr_block_per_row_8_32_kernelILj1024ELj8E21rocsparse_complex_numIdEilEEv20rocsparse_direction_T3_S4_21rocsparse_index_base_PKT1_PKT2_PKS4_S4_S5_PS6_PS9_PS4_,comdat
	.globl	_ZN9rocsparseL33bsr2csr_block_per_row_8_32_kernelILj1024ELj8E21rocsparse_complex_numIdEilEEv20rocsparse_direction_T3_S4_21rocsparse_index_base_PKT1_PKT2_PKS4_S4_S5_PS6_PS9_PS4_ ; -- Begin function _ZN9rocsparseL33bsr2csr_block_per_row_8_32_kernelILj1024ELj8E21rocsparse_complex_numIdEilEEv20rocsparse_direction_T3_S4_21rocsparse_index_base_PKT1_PKT2_PKS4_S4_S5_PS6_PS9_PS4_
	.p2align	8
	.type	_ZN9rocsparseL33bsr2csr_block_per_row_8_32_kernelILj1024ELj8E21rocsparse_complex_numIdEilEEv20rocsparse_direction_T3_S4_21rocsparse_index_base_PKT1_PKT2_PKS4_S4_S5_PS6_PS9_PS4_,@function
_ZN9rocsparseL33bsr2csr_block_per_row_8_32_kernelILj1024ELj8E21rocsparse_complex_numIdEilEEv20rocsparse_direction_T3_S4_21rocsparse_index_base_PKT1_PKT2_PKS4_S4_S5_PS6_PS9_PS4_: ; @_ZN9rocsparseL33bsr2csr_block_per_row_8_32_kernelILj1024ELj8E21rocsparse_complex_numIdEilEEv20rocsparse_direction_T3_S4_21rocsparse_index_base_PKT1_PKT2_PKS4_S4_S5_PS6_PS9_PS4_
; %bb.0:
	s_load_dwordx2 s[0:1], s[4:5], 0x28
	s_load_dword s17, s[4:5], 0x40
	s_load_dwordx2 s[8:9], s[4:5], 0x50
	s_mov_b32 s7, 0
	s_lshl_b64 s[2:3], s[6:7], 2
	s_waitcnt lgkmcnt(0)
	s_add_u32 s10, s0, s2
	v_or_b32_e32 v1, s6, v0
	s_addc_u32 s11, s1, s3
	v_cmp_eq_u32_e32 vcc, 0, v1
	s_and_saveexec_b64 s[0:1], vcc
	s_cbranch_execz .LBB293_2
; %bb.1:
	v_mov_b32_e32 v1, 0
	v_mov_b32_e32 v2, s17
	global_store_dword v1, v2, s[8:9]
.LBB293_2:
	s_or_b64 exec, exec, s[0:1]
	s_load_dwordx2 s[2:3], s[4:5], 0x38
	v_mov_b32_e32 v5, 0
	v_and_b32_e32 v4, 7, v0
	v_bfe_u32 v6, v0, 3, 3
	v_mov_b32_e32 v7, v5
	s_waitcnt lgkmcnt(0)
	v_cmp_gt_i64_e32 vcc, s[2:3], v[6:7]
	v_cmp_gt_i64_e64 s[0:1], s[2:3], v[4:5]
	s_and_b64 s[0:1], vcc, s[0:1]
	s_and_saveexec_b64 s[12:13], s[0:1]
	s_cbranch_execz .LBB293_6
; %bb.3:
	s_load_dwordx2 s[0:1], s[10:11], 0x0
	s_load_dword s12, s[4:5], 0x18
	s_mul_i32 s7, s2, s3
	s_mul_i32 s16, s2, s2
	v_lshrrev_b32_e32 v5, 6, v0
	v_lshlrev_b32_e32 v2, 2, v6
	s_waitcnt lgkmcnt(0)
	s_sub_i32 s13, s0, s12
	s_mul_hi_u32 s0, s2, s2
	s_add_i32 s15, s0, s7
	s_add_i32 s15, s15, s7
	s_sub_i32 s14, s1, s12
	s_mul_i32 s0, s15, s13
	s_mul_hi_u32 s1, s16, s13
	s_add_i32 s1, s1, s0
	s_mul_i32 s0, s16, s13
	v_mov_b32_e32 v0, s0
	s_sub_i32 s0, s14, s13
	v_mov_b32_e32 v1, s1
	s_mul_i32 s7, s0, s2
	v_mad_u64_u32 v[0:1], s[0:1], s7, v6, v[0:1]
	s_mul_i32 s0, s6, s3
	s_mul_hi_u32 s1, s6, s2
	s_add_i32 s1, s1, s0
	s_mul_i32 s0, s6, s2
	s_add_i32 s7, s7, s17
	s_lshl_b64 s[0:1], s[0:1], 2
	s_add_u32 s0, s8, s0
	v_add_u32_e32 v1, s7, v0
	s_addc_u32 s1, s9, s1
	global_store_dword v2, v1, s[0:1] offset:4
	v_add_u32_e32 v1, s13, v5
	v_cmp_gt_i32_e32 vcc, s14, v1
	s_and_b64 exec, exec, vcc
	s_cbranch_execz .LBB293_6
; %bb.4:
	s_load_dwordx2 s[6:7], s[4:5], 0x30
	s_load_dwordx2 s[8:9], s[4:5], 0x48
	;; [unrolled: 1-line block ×4, first 2 shown]
	s_load_dword s18, s[4:5], 0x0
	v_mad_u64_u32 v[8:9], s[4:5], v4, s2, 0
	v_mov_b32_e32 v10, v9
	v_mad_u64_u32 v[10:11], s[4:5], v4, s3, v[10:11]
	v_add_co_u32_e32 v0, vcc, v0, v4
	v_mov_b32_e32 v9, v10
	v_add_co_u32_e32 v2, vcc, s17, v4
	v_lshlrev_b64 v[8:9], 4, v[8:9]
	v_addc_co_u32_e64 v3, s[4:5], 0, 0, vcc
	s_waitcnt lgkmcnt(0)
	v_mov_b32_e32 v1, s1
	v_add_co_u32_e32 v7, vcc, s0, v8
	v_addc_co_u32_e32 v8, vcc, v1, v9, vcc
	v_lshlrev_b32_e32 v9, 4, v6
	v_add_co_u32_e32 v11, vcc, v7, v9
	v_addc_co_u32_e32 v12, vcc, 0, v8, vcc
	v_mad_u64_u32 v[8:9], s[4:5], v6, s2, 0
	v_mov_b32_e32 v10, v9
	v_mad_u64_u32 v[6:7], s[4:5], v6, s3, v[10:11]
	v_mov_b32_e32 v9, v6
	v_lshlrev_b64 v[6:7], 4, v[8:9]
	v_add_co_u32_e32 v6, vcc, s0, v6
	v_addc_co_u32_e32 v1, vcc, v1, v7, vcc
	v_lshlrev_b32_e32 v4, 4, v4
	v_add_co_u32_e32 v4, vcc, v6, v4
	s_cmp_eq_u32 s18, 0
	v_addc_co_u32_e32 v1, vcc, 0, v1, vcc
	s_mov_b32 s19, 0
	s_cselect_b64 vcc, -1, 0
	v_cndmask_b32_e32 v1, v12, v1, vcc
	v_cndmask_b32_e32 v4, v11, v4, vcc
	s_mov_b64 s[4:5], 0
	v_mov_b32_e32 v6, s7
	v_mov_b32_e32 v7, s19
	;; [unrolled: 1-line block ×4, first 2 shown]
.LBB293_5:                              ; =>This Inner Loop Header: Depth=1
	v_add_u32_e32 v10, s13, v5
	v_ashrrev_i32_e32 v11, 31, v10
	v_lshlrev_b64 v[14:15], 3, v[10:11]
	v_mul_lo_u32 v16, s15, v10
	v_mad_u64_u32 v[12:13], s[0:1], s16, v10, 0
	v_mul_lo_u32 v17, s16, v11
	v_add_co_u32_e32 v10, vcc, s6, v14
	v_addc_co_u32_e32 v11, vcc, v6, v15, vcc
	v_add3_u32 v13, v13, v17, v16
	global_load_dwordx2 v[14:15], v[10:11], off
	v_lshlrev_b64 v[10:11], 4, v[12:13]
	v_add_co_u32_e32 v10, vcc, v4, v10
	v_addc_co_u32_e32 v11, vcc, v1, v11, vcc
	global_load_dwordx4 v[10:13], v[10:11], off
	v_mad_u64_u32 v[16:17], s[0:1], v5, s2, v[0:1]
	v_add_u32_e32 v5, 16, v5
	v_ashrrev_i32_e32 v17, 31, v16
	v_add_u32_e32 v20, s13, v5
	v_lshlrev_b64 v[18:19], 3, v[16:17]
	v_cmp_le_i32_e32 vcc, s14, v20
	v_add_co_u32_e64 v18, s[0:1], s10, v18
	v_lshlrev_b64 v[16:17], 4, v[16:17]
	v_addc_co_u32_e64 v19, s[0:1], v8, v19, s[0:1]
	s_or_b64 s[4:5], vcc, s[4:5]
	v_add_co_u32_e64 v16, s[0:1], s8, v16
	v_addc_co_u32_e64 v17, s[0:1], v9, v17, s[0:1]
	s_waitcnt vmcnt(1)
	v_subrev_co_u32_e32 v14, vcc, s12, v14
	v_subb_co_u32_e32 v15, vcc, v15, v7, vcc
	v_mul_lo_u32 v20, v14, s3
	v_mul_lo_u32 v21, v15, s2
	v_mad_u64_u32 v[14:15], s[0:1], v14, s2, v[2:3]
	v_add3_u32 v15, v21, v15, v20
	s_waitcnt vmcnt(0)
	global_store_dwordx4 v[16:17], v[10:13], off
	global_store_dwordx2 v[18:19], v[14:15], off
	s_andn2_b64 exec, exec, s[4:5]
	s_cbranch_execnz .LBB293_5
.LBB293_6:
	s_endpgm
	.section	.rodata,"a",@progbits
	.p2align	6, 0x0
	.amdhsa_kernel _ZN9rocsparseL33bsr2csr_block_per_row_8_32_kernelILj1024ELj8E21rocsparse_complex_numIdEilEEv20rocsparse_direction_T3_S4_21rocsparse_index_base_PKT1_PKT2_PKS4_S4_S5_PS6_PS9_PS4_
		.amdhsa_group_segment_fixed_size 0
		.amdhsa_private_segment_fixed_size 0
		.amdhsa_kernarg_size 96
		.amdhsa_user_sgpr_count 6
		.amdhsa_user_sgpr_private_segment_buffer 1
		.amdhsa_user_sgpr_dispatch_ptr 0
		.amdhsa_user_sgpr_queue_ptr 0
		.amdhsa_user_sgpr_kernarg_segment_ptr 1
		.amdhsa_user_sgpr_dispatch_id 0
		.amdhsa_user_sgpr_flat_scratch_init 0
		.amdhsa_user_sgpr_kernarg_preload_length 0
		.amdhsa_user_sgpr_kernarg_preload_offset 0
		.amdhsa_user_sgpr_private_segment_size 0
		.amdhsa_uses_dynamic_stack 0
		.amdhsa_system_sgpr_private_segment_wavefront_offset 0
		.amdhsa_system_sgpr_workgroup_id_x 1
		.amdhsa_system_sgpr_workgroup_id_y 0
		.amdhsa_system_sgpr_workgroup_id_z 0
		.amdhsa_system_sgpr_workgroup_info 0
		.amdhsa_system_vgpr_workitem_id 0
		.amdhsa_next_free_vgpr 22
		.amdhsa_next_free_sgpr 20
		.amdhsa_accum_offset 24
		.amdhsa_reserve_vcc 1
		.amdhsa_reserve_flat_scratch 0
		.amdhsa_float_round_mode_32 0
		.amdhsa_float_round_mode_16_64 0
		.amdhsa_float_denorm_mode_32 3
		.amdhsa_float_denorm_mode_16_64 3
		.amdhsa_dx10_clamp 1
		.amdhsa_ieee_mode 1
		.amdhsa_fp16_overflow 0
		.amdhsa_tg_split 0
		.amdhsa_exception_fp_ieee_invalid_op 0
		.amdhsa_exception_fp_denorm_src 0
		.amdhsa_exception_fp_ieee_div_zero 0
		.amdhsa_exception_fp_ieee_overflow 0
		.amdhsa_exception_fp_ieee_underflow 0
		.amdhsa_exception_fp_ieee_inexact 0
		.amdhsa_exception_int_div_zero 0
	.end_amdhsa_kernel
	.section	.text._ZN9rocsparseL33bsr2csr_block_per_row_8_32_kernelILj1024ELj8E21rocsparse_complex_numIdEilEEv20rocsparse_direction_T3_S4_21rocsparse_index_base_PKT1_PKT2_PKS4_S4_S5_PS6_PS9_PS4_,"axG",@progbits,_ZN9rocsparseL33bsr2csr_block_per_row_8_32_kernelILj1024ELj8E21rocsparse_complex_numIdEilEEv20rocsparse_direction_T3_S4_21rocsparse_index_base_PKT1_PKT2_PKS4_S4_S5_PS6_PS9_PS4_,comdat
.Lfunc_end293:
	.size	_ZN9rocsparseL33bsr2csr_block_per_row_8_32_kernelILj1024ELj8E21rocsparse_complex_numIdEilEEv20rocsparse_direction_T3_S4_21rocsparse_index_base_PKT1_PKT2_PKS4_S4_S5_PS6_PS9_PS4_, .Lfunc_end293-_ZN9rocsparseL33bsr2csr_block_per_row_8_32_kernelILj1024ELj8E21rocsparse_complex_numIdEilEEv20rocsparse_direction_T3_S4_21rocsparse_index_base_PKT1_PKT2_PKS4_S4_S5_PS6_PS9_PS4_
                                        ; -- End function
	.section	.AMDGPU.csdata,"",@progbits
; Kernel info:
; codeLenInByte = 740
; NumSgprs: 24
; NumVgprs: 22
; NumAgprs: 0
; TotalNumVgprs: 22
; ScratchSize: 0
; MemoryBound: 0
; FloatMode: 240
; IeeeMode: 1
; LDSByteSize: 0 bytes/workgroup (compile time only)
; SGPRBlocks: 2
; VGPRBlocks: 2
; NumSGPRsForWavesPerEU: 24
; NumVGPRsForWavesPerEU: 22
; AccumOffset: 24
; Occupancy: 8
; WaveLimiterHint : 1
; COMPUTE_PGM_RSRC2:SCRATCH_EN: 0
; COMPUTE_PGM_RSRC2:USER_SGPR: 6
; COMPUTE_PGM_RSRC2:TRAP_HANDLER: 0
; COMPUTE_PGM_RSRC2:TGID_X_EN: 1
; COMPUTE_PGM_RSRC2:TGID_Y_EN: 0
; COMPUTE_PGM_RSRC2:TGID_Z_EN: 0
; COMPUTE_PGM_RSRC2:TIDIG_COMP_CNT: 0
; COMPUTE_PGM_RSRC3_GFX90A:ACCUM_OFFSET: 5
; COMPUTE_PGM_RSRC3_GFX90A:TG_SPLIT: 0
	.section	.text._ZN9rocsparseL33bsr2csr_block_per_row_8_32_kernelILj1024ELj16E21rocsparse_complex_numIdEilEEv20rocsparse_direction_T3_S4_21rocsparse_index_base_PKT1_PKT2_PKS4_S4_S5_PS6_PS9_PS4_,"axG",@progbits,_ZN9rocsparseL33bsr2csr_block_per_row_8_32_kernelILj1024ELj16E21rocsparse_complex_numIdEilEEv20rocsparse_direction_T3_S4_21rocsparse_index_base_PKT1_PKT2_PKS4_S4_S5_PS6_PS9_PS4_,comdat
	.globl	_ZN9rocsparseL33bsr2csr_block_per_row_8_32_kernelILj1024ELj16E21rocsparse_complex_numIdEilEEv20rocsparse_direction_T3_S4_21rocsparse_index_base_PKT1_PKT2_PKS4_S4_S5_PS6_PS9_PS4_ ; -- Begin function _ZN9rocsparseL33bsr2csr_block_per_row_8_32_kernelILj1024ELj16E21rocsparse_complex_numIdEilEEv20rocsparse_direction_T3_S4_21rocsparse_index_base_PKT1_PKT2_PKS4_S4_S5_PS6_PS9_PS4_
	.p2align	8
	.type	_ZN9rocsparseL33bsr2csr_block_per_row_8_32_kernelILj1024ELj16E21rocsparse_complex_numIdEilEEv20rocsparse_direction_T3_S4_21rocsparse_index_base_PKT1_PKT2_PKS4_S4_S5_PS6_PS9_PS4_,@function
_ZN9rocsparseL33bsr2csr_block_per_row_8_32_kernelILj1024ELj16E21rocsparse_complex_numIdEilEEv20rocsparse_direction_T3_S4_21rocsparse_index_base_PKT1_PKT2_PKS4_S4_S5_PS6_PS9_PS4_: ; @_ZN9rocsparseL33bsr2csr_block_per_row_8_32_kernelILj1024ELj16E21rocsparse_complex_numIdEilEEv20rocsparse_direction_T3_S4_21rocsparse_index_base_PKT1_PKT2_PKS4_S4_S5_PS6_PS9_PS4_
; %bb.0:
	s_load_dwordx2 s[0:1], s[4:5], 0x28
	s_load_dword s17, s[4:5], 0x40
	s_load_dwordx2 s[8:9], s[4:5], 0x50
	s_mov_b32 s7, 0
	s_lshl_b64 s[2:3], s[6:7], 2
	s_waitcnt lgkmcnt(0)
	s_add_u32 s10, s0, s2
	v_or_b32_e32 v1, s6, v0
	s_addc_u32 s11, s1, s3
	v_cmp_eq_u32_e32 vcc, 0, v1
	s_and_saveexec_b64 s[0:1], vcc
	s_cbranch_execz .LBB294_2
; %bb.1:
	v_mov_b32_e32 v1, 0
	v_mov_b32_e32 v2, s17
	global_store_dword v1, v2, s[8:9]
.LBB294_2:
	s_or_b64 exec, exec, s[0:1]
	s_load_dwordx2 s[2:3], s[4:5], 0x38
	v_mov_b32_e32 v5, 0
	v_and_b32_e32 v4, 15, v0
	v_bfe_u32 v6, v0, 4, 4
	v_mov_b32_e32 v7, v5
	s_waitcnt lgkmcnt(0)
	v_cmp_gt_i64_e32 vcc, s[2:3], v[6:7]
	v_cmp_gt_i64_e64 s[0:1], s[2:3], v[4:5]
	s_and_b64 s[0:1], vcc, s[0:1]
	s_and_saveexec_b64 s[12:13], s[0:1]
	s_cbranch_execz .LBB294_6
; %bb.3:
	s_load_dwordx2 s[0:1], s[10:11], 0x0
	s_load_dword s12, s[4:5], 0x18
	s_mul_i32 s7, s2, s3
	s_mul_i32 s16, s2, s2
	v_lshrrev_b32_e32 v5, 8, v0
	v_lshlrev_b32_e32 v2, 2, v6
	s_waitcnt lgkmcnt(0)
	s_sub_i32 s13, s0, s12
	s_mul_hi_u32 s0, s2, s2
	s_add_i32 s15, s0, s7
	s_add_i32 s15, s15, s7
	s_sub_i32 s14, s1, s12
	s_mul_i32 s0, s15, s13
	s_mul_hi_u32 s1, s16, s13
	s_add_i32 s1, s1, s0
	s_mul_i32 s0, s16, s13
	v_mov_b32_e32 v0, s0
	s_sub_i32 s0, s14, s13
	v_mov_b32_e32 v1, s1
	s_mul_i32 s7, s0, s2
	v_mad_u64_u32 v[0:1], s[0:1], s7, v6, v[0:1]
	s_mul_i32 s0, s6, s3
	s_mul_hi_u32 s1, s6, s2
	s_add_i32 s1, s1, s0
	s_mul_i32 s0, s6, s2
	s_add_i32 s7, s7, s17
	s_lshl_b64 s[0:1], s[0:1], 2
	s_add_u32 s0, s8, s0
	v_add_u32_e32 v1, s7, v0
	s_addc_u32 s1, s9, s1
	global_store_dword v2, v1, s[0:1] offset:4
	v_add_u32_e32 v1, s13, v5
	v_cmp_gt_i32_e32 vcc, s14, v1
	s_and_b64 exec, exec, vcc
	s_cbranch_execz .LBB294_6
; %bb.4:
	s_load_dwordx2 s[6:7], s[4:5], 0x30
	s_load_dwordx2 s[8:9], s[4:5], 0x48
	;; [unrolled: 1-line block ×4, first 2 shown]
	s_load_dword s18, s[4:5], 0x0
	v_mad_u64_u32 v[8:9], s[4:5], v4, s2, 0
	v_mov_b32_e32 v10, v9
	v_mad_u64_u32 v[10:11], s[4:5], v4, s3, v[10:11]
	v_add_co_u32_e32 v0, vcc, v0, v4
	v_mov_b32_e32 v9, v10
	v_add_co_u32_e32 v2, vcc, s17, v4
	v_lshlrev_b64 v[8:9], 4, v[8:9]
	v_addc_co_u32_e64 v3, s[4:5], 0, 0, vcc
	s_waitcnt lgkmcnt(0)
	v_mov_b32_e32 v1, s1
	v_add_co_u32_e32 v7, vcc, s0, v8
	v_addc_co_u32_e32 v8, vcc, v1, v9, vcc
	v_lshlrev_b32_e32 v9, 4, v6
	v_add_co_u32_e32 v11, vcc, v7, v9
	v_addc_co_u32_e32 v12, vcc, 0, v8, vcc
	v_mad_u64_u32 v[8:9], s[4:5], v6, s2, 0
	v_mov_b32_e32 v10, v9
	v_mad_u64_u32 v[6:7], s[4:5], v6, s3, v[10:11]
	v_mov_b32_e32 v9, v6
	v_lshlrev_b64 v[6:7], 4, v[8:9]
	v_add_co_u32_e32 v6, vcc, s0, v6
	v_addc_co_u32_e32 v1, vcc, v1, v7, vcc
	v_lshlrev_b32_e32 v4, 4, v4
	v_add_co_u32_e32 v4, vcc, v6, v4
	s_cmp_eq_u32 s18, 0
	v_addc_co_u32_e32 v1, vcc, 0, v1, vcc
	s_mov_b32 s19, 0
	s_cselect_b64 vcc, -1, 0
	v_cndmask_b32_e32 v1, v12, v1, vcc
	v_cndmask_b32_e32 v4, v11, v4, vcc
	s_mov_b64 s[4:5], 0
	v_mov_b32_e32 v6, s7
	v_mov_b32_e32 v7, s19
	;; [unrolled: 1-line block ×4, first 2 shown]
.LBB294_5:                              ; =>This Inner Loop Header: Depth=1
	v_add_u32_e32 v10, s13, v5
	v_ashrrev_i32_e32 v11, 31, v10
	v_lshlrev_b64 v[14:15], 3, v[10:11]
	v_mul_lo_u32 v16, s15, v10
	v_mad_u64_u32 v[12:13], s[0:1], s16, v10, 0
	v_mul_lo_u32 v17, s16, v11
	v_add_co_u32_e32 v10, vcc, s6, v14
	v_addc_co_u32_e32 v11, vcc, v6, v15, vcc
	v_add3_u32 v13, v13, v17, v16
	global_load_dwordx2 v[14:15], v[10:11], off
	v_lshlrev_b64 v[10:11], 4, v[12:13]
	v_add_co_u32_e32 v10, vcc, v4, v10
	v_addc_co_u32_e32 v11, vcc, v1, v11, vcc
	global_load_dwordx4 v[10:13], v[10:11], off
	v_mad_u64_u32 v[16:17], s[0:1], v5, s2, v[0:1]
	v_add_u32_e32 v5, 4, v5
	v_ashrrev_i32_e32 v17, 31, v16
	v_add_u32_e32 v20, s13, v5
	v_lshlrev_b64 v[18:19], 3, v[16:17]
	v_cmp_le_i32_e32 vcc, s14, v20
	v_add_co_u32_e64 v18, s[0:1], s10, v18
	v_lshlrev_b64 v[16:17], 4, v[16:17]
	v_addc_co_u32_e64 v19, s[0:1], v8, v19, s[0:1]
	s_or_b64 s[4:5], vcc, s[4:5]
	v_add_co_u32_e64 v16, s[0:1], s8, v16
	v_addc_co_u32_e64 v17, s[0:1], v9, v17, s[0:1]
	s_waitcnt vmcnt(1)
	v_subrev_co_u32_e32 v14, vcc, s12, v14
	v_subb_co_u32_e32 v15, vcc, v15, v7, vcc
	v_mul_lo_u32 v20, v14, s3
	v_mul_lo_u32 v21, v15, s2
	v_mad_u64_u32 v[14:15], s[0:1], v14, s2, v[2:3]
	v_add3_u32 v15, v21, v15, v20
	s_waitcnt vmcnt(0)
	global_store_dwordx4 v[16:17], v[10:13], off
	global_store_dwordx2 v[18:19], v[14:15], off
	s_andn2_b64 exec, exec, s[4:5]
	s_cbranch_execnz .LBB294_5
.LBB294_6:
	s_endpgm
	.section	.rodata,"a",@progbits
	.p2align	6, 0x0
	.amdhsa_kernel _ZN9rocsparseL33bsr2csr_block_per_row_8_32_kernelILj1024ELj16E21rocsparse_complex_numIdEilEEv20rocsparse_direction_T3_S4_21rocsparse_index_base_PKT1_PKT2_PKS4_S4_S5_PS6_PS9_PS4_
		.amdhsa_group_segment_fixed_size 0
		.amdhsa_private_segment_fixed_size 0
		.amdhsa_kernarg_size 96
		.amdhsa_user_sgpr_count 6
		.amdhsa_user_sgpr_private_segment_buffer 1
		.amdhsa_user_sgpr_dispatch_ptr 0
		.amdhsa_user_sgpr_queue_ptr 0
		.amdhsa_user_sgpr_kernarg_segment_ptr 1
		.amdhsa_user_sgpr_dispatch_id 0
		.amdhsa_user_sgpr_flat_scratch_init 0
		.amdhsa_user_sgpr_kernarg_preload_length 0
		.amdhsa_user_sgpr_kernarg_preload_offset 0
		.amdhsa_user_sgpr_private_segment_size 0
		.amdhsa_uses_dynamic_stack 0
		.amdhsa_system_sgpr_private_segment_wavefront_offset 0
		.amdhsa_system_sgpr_workgroup_id_x 1
		.amdhsa_system_sgpr_workgroup_id_y 0
		.amdhsa_system_sgpr_workgroup_id_z 0
		.amdhsa_system_sgpr_workgroup_info 0
		.amdhsa_system_vgpr_workitem_id 0
		.amdhsa_next_free_vgpr 22
		.amdhsa_next_free_sgpr 20
		.amdhsa_accum_offset 24
		.amdhsa_reserve_vcc 1
		.amdhsa_reserve_flat_scratch 0
		.amdhsa_float_round_mode_32 0
		.amdhsa_float_round_mode_16_64 0
		.amdhsa_float_denorm_mode_32 3
		.amdhsa_float_denorm_mode_16_64 3
		.amdhsa_dx10_clamp 1
		.amdhsa_ieee_mode 1
		.amdhsa_fp16_overflow 0
		.amdhsa_tg_split 0
		.amdhsa_exception_fp_ieee_invalid_op 0
		.amdhsa_exception_fp_denorm_src 0
		.amdhsa_exception_fp_ieee_div_zero 0
		.amdhsa_exception_fp_ieee_overflow 0
		.amdhsa_exception_fp_ieee_underflow 0
		.amdhsa_exception_fp_ieee_inexact 0
		.amdhsa_exception_int_div_zero 0
	.end_amdhsa_kernel
	.section	.text._ZN9rocsparseL33bsr2csr_block_per_row_8_32_kernelILj1024ELj16E21rocsparse_complex_numIdEilEEv20rocsparse_direction_T3_S4_21rocsparse_index_base_PKT1_PKT2_PKS4_S4_S5_PS6_PS9_PS4_,"axG",@progbits,_ZN9rocsparseL33bsr2csr_block_per_row_8_32_kernelILj1024ELj16E21rocsparse_complex_numIdEilEEv20rocsparse_direction_T3_S4_21rocsparse_index_base_PKT1_PKT2_PKS4_S4_S5_PS6_PS9_PS4_,comdat
.Lfunc_end294:
	.size	_ZN9rocsparseL33bsr2csr_block_per_row_8_32_kernelILj1024ELj16E21rocsparse_complex_numIdEilEEv20rocsparse_direction_T3_S4_21rocsparse_index_base_PKT1_PKT2_PKS4_S4_S5_PS6_PS9_PS4_, .Lfunc_end294-_ZN9rocsparseL33bsr2csr_block_per_row_8_32_kernelILj1024ELj16E21rocsparse_complex_numIdEilEEv20rocsparse_direction_T3_S4_21rocsparse_index_base_PKT1_PKT2_PKS4_S4_S5_PS6_PS9_PS4_
                                        ; -- End function
	.section	.AMDGPU.csdata,"",@progbits
; Kernel info:
; codeLenInByte = 740
; NumSgprs: 24
; NumVgprs: 22
; NumAgprs: 0
; TotalNumVgprs: 22
; ScratchSize: 0
; MemoryBound: 0
; FloatMode: 240
; IeeeMode: 1
; LDSByteSize: 0 bytes/workgroup (compile time only)
; SGPRBlocks: 2
; VGPRBlocks: 2
; NumSGPRsForWavesPerEU: 24
; NumVGPRsForWavesPerEU: 22
; AccumOffset: 24
; Occupancy: 8
; WaveLimiterHint : 1
; COMPUTE_PGM_RSRC2:SCRATCH_EN: 0
; COMPUTE_PGM_RSRC2:USER_SGPR: 6
; COMPUTE_PGM_RSRC2:TRAP_HANDLER: 0
; COMPUTE_PGM_RSRC2:TGID_X_EN: 1
; COMPUTE_PGM_RSRC2:TGID_Y_EN: 0
; COMPUTE_PGM_RSRC2:TGID_Z_EN: 0
; COMPUTE_PGM_RSRC2:TIDIG_COMP_CNT: 0
; COMPUTE_PGM_RSRC3_GFX90A:ACCUM_OFFSET: 5
; COMPUTE_PGM_RSRC3_GFX90A:TG_SPLIT: 0
	.section	.text._ZN9rocsparseL33bsr2csr_block_per_row_8_32_kernelILj1024ELj32E21rocsparse_complex_numIdEilEEv20rocsparse_direction_T3_S4_21rocsparse_index_base_PKT1_PKT2_PKS4_S4_S5_PS6_PS9_PS4_,"axG",@progbits,_ZN9rocsparseL33bsr2csr_block_per_row_8_32_kernelILj1024ELj32E21rocsparse_complex_numIdEilEEv20rocsparse_direction_T3_S4_21rocsparse_index_base_PKT1_PKT2_PKS4_S4_S5_PS6_PS9_PS4_,comdat
	.globl	_ZN9rocsparseL33bsr2csr_block_per_row_8_32_kernelILj1024ELj32E21rocsparse_complex_numIdEilEEv20rocsparse_direction_T3_S4_21rocsparse_index_base_PKT1_PKT2_PKS4_S4_S5_PS6_PS9_PS4_ ; -- Begin function _ZN9rocsparseL33bsr2csr_block_per_row_8_32_kernelILj1024ELj32E21rocsparse_complex_numIdEilEEv20rocsparse_direction_T3_S4_21rocsparse_index_base_PKT1_PKT2_PKS4_S4_S5_PS6_PS9_PS4_
	.p2align	8
	.type	_ZN9rocsparseL33bsr2csr_block_per_row_8_32_kernelILj1024ELj32E21rocsparse_complex_numIdEilEEv20rocsparse_direction_T3_S4_21rocsparse_index_base_PKT1_PKT2_PKS4_S4_S5_PS6_PS9_PS4_,@function
_ZN9rocsparseL33bsr2csr_block_per_row_8_32_kernelILj1024ELj32E21rocsparse_complex_numIdEilEEv20rocsparse_direction_T3_S4_21rocsparse_index_base_PKT1_PKT2_PKS4_S4_S5_PS6_PS9_PS4_: ; @_ZN9rocsparseL33bsr2csr_block_per_row_8_32_kernelILj1024ELj32E21rocsparse_complex_numIdEilEEv20rocsparse_direction_T3_S4_21rocsparse_index_base_PKT1_PKT2_PKS4_S4_S5_PS6_PS9_PS4_
; %bb.0:
	s_load_dwordx2 s[0:1], s[4:5], 0x28
	s_load_dword s14, s[4:5], 0x40
	s_load_dwordx2 s[8:9], s[4:5], 0x50
	s_mov_b32 s7, 0
	s_lshl_b64 s[2:3], s[6:7], 2
	s_waitcnt lgkmcnt(0)
	s_add_u32 s10, s0, s2
	v_or_b32_e32 v1, s6, v0
	s_addc_u32 s11, s1, s3
	v_cmp_eq_u32_e32 vcc, 0, v1
	s_and_saveexec_b64 s[0:1], vcc
	s_cbranch_execz .LBB295_2
; %bb.1:
	v_mov_b32_e32 v1, 0
	v_mov_b32_e32 v2, s14
	global_store_dword v1, v2, s[8:9]
.LBB295_2:
	s_or_b64 exec, exec, s[0:1]
	s_load_dwordx2 s[2:3], s[4:5], 0x38
	v_mov_b32_e32 v5, 0
	v_and_b32_e32 v4, 31, v0
	v_lshrrev_b32_e32 v6, 5, v0
	v_mov_b32_e32 v7, v5
	s_waitcnt lgkmcnt(0)
	v_cmp_gt_i64_e32 vcc, s[2:3], v[6:7]
	v_cmp_gt_i64_e64 s[0:1], s[2:3], v[4:5]
	s_and_b64 s[0:1], vcc, s[0:1]
	s_and_saveexec_b64 s[12:13], s[0:1]
	s_cbranch_execz .LBB295_6
; %bb.3:
	s_load_dwordx2 s[16:17], s[10:11], 0x0
	s_load_dword s12, s[4:5], 0x18
	s_mul_i32 s10, s2, s2
	v_lshlrev_b32_e32 v1, 2, v6
	s_waitcnt lgkmcnt(0)
	s_sub_i32 s0, s16, s12
	s_sub_i32 s13, s17, s12
	;; [unrolled: 1-line block ×3, first 2 shown]
	s_mul_i32 s11, s1, s2
	s_mul_i32 s7, s10, s0
	v_mul_lo_u32 v0, s11, v6
	s_add_i32 s11, s11, s14
	s_add_i32 s11, s11, s7
	v_add_u32_e32 v0, s11, v0
	s_mul_i32 s7, s6, s3
	s_mul_hi_u32 s11, s6, s2
	s_add_i32 s7, s11, s7
	s_mul_i32 s6, s6, s2
	s_lshl_b64 s[6:7], s[6:7], 2
	s_add_u32 s6, s8, s6
	s_addc_u32 s7, s9, s7
	s_cmp_ge_i32 s16, s17
	global_store_dword v1, v0, s[6:7] offset:4
	s_cbranch_scc1 .LBB295_6
; %bb.4:
	s_mul_i32 s11, s2, s3
	s_mul_hi_u32 s15, s2, s2
	s_add_i32 s15, s15, s11
	s_load_dwordx2 s[16:17], s[4:5], 0x30
	s_load_dwordx2 s[6:7], s[4:5], 0x48
	;; [unrolled: 1-line block ×3, first 2 shown]
	s_add_i32 s11, s15, s11
	s_load_dwordx2 s[18:19], s[4:5], 0x20
	s_load_dword s15, s[4:5], 0x0
	v_mad_u64_u32 v[2:3], s[4:5], v4, s2, 0
	v_mov_b32_e32 v8, v3
	v_mad_u64_u32 v[8:9], s[4:5], v4, s3, v[8:9]
	v_mov_b32_e32 v3, v8
	v_add_co_u32_e32 v0, vcc, s14, v4
	v_lshlrev_b64 v[2:3], 4, v[2:3]
	v_addc_co_u32_e64 v1, s[4:5], 0, 0, vcc
	s_waitcnt lgkmcnt(0)
	v_mov_b32_e32 v5, s19
	v_add_co_u32_e32 v7, vcc, s18, v2
	v_addc_co_u32_e32 v3, vcc, v5, v3, vcc
	v_lshlrev_b32_e32 v8, 4, v6
	v_add_co_u32_e32 v7, vcc, v7, v8
	v_mad_u64_u32 v[8:9], s[4:5], v6, s2, 0
	v_mov_b32_e32 v10, v9
	v_mad_u64_u32 v[10:11], s[4:5], v6, s3, v[10:11]
	v_mov_b32_e32 v9, v10
	v_addc_co_u32_e32 v3, vcc, 0, v3, vcc
	v_lshlrev_b64 v[8:9], 4, v[8:9]
	v_add_co_u32_e32 v8, vcc, s18, v8
	v_addc_co_u32_e32 v5, vcc, v5, v9, vcc
	v_lshlrev_b32_e32 v9, 4, v4
	v_add_co_u32_e32 v8, vcc, v8, v9
	s_cmp_eq_u32 s15, 0
	v_addc_co_u32_e32 v5, vcc, 0, v5, vcc
	s_cselect_b64 vcc, -1, 0
	v_cndmask_b32_e32 v9, v3, v5, vcc
	s_mul_i32 s4, s2, s0
	v_mul_lo_u32 v3, v6, s1
	v_add_u32_e32 v3, s4, v3
	v_mad_u64_u32 v[4:5], s[4:5], s2, v3, v[4:5]
	s_ashr_i32 s1, s0, 31
	s_lshl_b64 s[4:5], s[0:1], 3
	s_add_u32 s4, s16, s4
	s_mul_hi_u32 s14, s10, s0
	s_mul_i32 s1, s10, s1
	s_addc_u32 s5, s17, s5
	s_add_i32 s1, s14, s1
	s_mul_i32 s14, s11, s0
	s_add_i32 s15, s1, s14
	s_mul_i32 s14, s10, s0
	v_cndmask_b32_e32 v7, v7, v8, vcc
	s_lshl_b64 s[14:15], s[14:15], 4
	v_mov_b32_e32 v3, v4
	v_mov_b32_e32 v5, s15
	v_add_co_u32_e32 v4, vcc, s14, v7
	s_lshl_b64 s[10:11], s[10:11], 4
	v_mov_b32_e32 v2, 0
	v_addc_co_u32_e32 v5, vcc, v9, v5, vcc
	v_mov_b32_e32 v6, s2
	v_mov_b32_e32 v7, s9
	;; [unrolled: 1-line block ×5, first 2 shown]
.LBB295_5:                              ; =>This Inner Loop Header: Depth=1
	global_load_dwordx4 v[12:15], v[4:5], off
	s_load_dwordx2 s[14:15], s[4:5], 0x0
	v_ashrrev_i64 v[16:17], 29, v[2:3]
	v_ashrrev_i64 v[18:19], 28, v[2:3]
	v_add_co_u32_e32 v2, vcc, 0, v2
	v_addc_co_u32_e32 v3, vcc, v3, v9, vcc
	s_waitcnt lgkmcnt(0)
	s_sub_u32 s1, s14, s12
	v_add_co_u32_e32 v4, vcc, s10, v4
	s_subb_u32 s7, s15, 0
	v_addc_co_u32_e32 v5, vcc, v5, v10, vcc
	s_mul_i32 s9, s1, s3
	s_mul_i32 s7, s7, s2
	v_add_co_u32_e32 v16, vcc, s8, v16
	s_add_i32 s0, s0, 1
	s_add_i32 s9, s9, s7
	v_addc_co_u32_e32 v17, vcc, v7, v17, vcc
	s_add_u32 s4, s4, 8
	v_add_co_u32_e32 v18, vcc, s6, v18
	v_mad_u64_u32 v[20:21], s[14:15], s1, v6, v[0:1]
	s_addc_u32 s5, s5, 0
	v_addc_co_u32_e32 v19, vcc, v8, v19, vcc
	v_add_u32_e32 v21, s9, v21
	s_cmp_lt_i32 s0, s13
	global_store_dwordx2 v[16:17], v[20:21], off
	s_waitcnt vmcnt(1)
	global_store_dwordx4 v[18:19], v[12:15], off
	s_cbranch_scc1 .LBB295_5
.LBB295_6:
	s_endpgm
	.section	.rodata,"a",@progbits
	.p2align	6, 0x0
	.amdhsa_kernel _ZN9rocsparseL33bsr2csr_block_per_row_8_32_kernelILj1024ELj32E21rocsparse_complex_numIdEilEEv20rocsparse_direction_T3_S4_21rocsparse_index_base_PKT1_PKT2_PKS4_S4_S5_PS6_PS9_PS4_
		.amdhsa_group_segment_fixed_size 0
		.amdhsa_private_segment_fixed_size 0
		.amdhsa_kernarg_size 96
		.amdhsa_user_sgpr_count 6
		.amdhsa_user_sgpr_private_segment_buffer 1
		.amdhsa_user_sgpr_dispatch_ptr 0
		.amdhsa_user_sgpr_queue_ptr 0
		.amdhsa_user_sgpr_kernarg_segment_ptr 1
		.amdhsa_user_sgpr_dispatch_id 0
		.amdhsa_user_sgpr_flat_scratch_init 0
		.amdhsa_user_sgpr_kernarg_preload_length 0
		.amdhsa_user_sgpr_kernarg_preload_offset 0
		.amdhsa_user_sgpr_private_segment_size 0
		.amdhsa_uses_dynamic_stack 0
		.amdhsa_system_sgpr_private_segment_wavefront_offset 0
		.amdhsa_system_sgpr_workgroup_id_x 1
		.amdhsa_system_sgpr_workgroup_id_y 0
		.amdhsa_system_sgpr_workgroup_id_z 0
		.amdhsa_system_sgpr_workgroup_info 0
		.amdhsa_system_vgpr_workitem_id 0
		.amdhsa_next_free_vgpr 22
		.amdhsa_next_free_sgpr 20
		.amdhsa_accum_offset 24
		.amdhsa_reserve_vcc 1
		.amdhsa_reserve_flat_scratch 0
		.amdhsa_float_round_mode_32 0
		.amdhsa_float_round_mode_16_64 0
		.amdhsa_float_denorm_mode_32 3
		.amdhsa_float_denorm_mode_16_64 3
		.amdhsa_dx10_clamp 1
		.amdhsa_ieee_mode 1
		.amdhsa_fp16_overflow 0
		.amdhsa_tg_split 0
		.amdhsa_exception_fp_ieee_invalid_op 0
		.amdhsa_exception_fp_denorm_src 0
		.amdhsa_exception_fp_ieee_div_zero 0
		.amdhsa_exception_fp_ieee_overflow 0
		.amdhsa_exception_fp_ieee_underflow 0
		.amdhsa_exception_fp_ieee_inexact 0
		.amdhsa_exception_int_div_zero 0
	.end_amdhsa_kernel
	.section	.text._ZN9rocsparseL33bsr2csr_block_per_row_8_32_kernelILj1024ELj32E21rocsparse_complex_numIdEilEEv20rocsparse_direction_T3_S4_21rocsparse_index_base_PKT1_PKT2_PKS4_S4_S5_PS6_PS9_PS4_,"axG",@progbits,_ZN9rocsparseL33bsr2csr_block_per_row_8_32_kernelILj1024ELj32E21rocsparse_complex_numIdEilEEv20rocsparse_direction_T3_S4_21rocsparse_index_base_PKT1_PKT2_PKS4_S4_S5_PS6_PS9_PS4_,comdat
.Lfunc_end295:
	.size	_ZN9rocsparseL33bsr2csr_block_per_row_8_32_kernelILj1024ELj32E21rocsparse_complex_numIdEilEEv20rocsparse_direction_T3_S4_21rocsparse_index_base_PKT1_PKT2_PKS4_S4_S5_PS6_PS9_PS4_, .Lfunc_end295-_ZN9rocsparseL33bsr2csr_block_per_row_8_32_kernelILj1024ELj32E21rocsparse_complex_numIdEilEEv20rocsparse_direction_T3_S4_21rocsparse_index_base_PKT1_PKT2_PKS4_S4_S5_PS6_PS9_PS4_
                                        ; -- End function
	.section	.AMDGPU.csdata,"",@progbits
; Kernel info:
; codeLenInByte = 696
; NumSgprs: 24
; NumVgprs: 22
; NumAgprs: 0
; TotalNumVgprs: 22
; ScratchSize: 0
; MemoryBound: 0
; FloatMode: 240
; IeeeMode: 1
; LDSByteSize: 0 bytes/workgroup (compile time only)
; SGPRBlocks: 2
; VGPRBlocks: 2
; NumSGPRsForWavesPerEU: 24
; NumVGPRsForWavesPerEU: 22
; AccumOffset: 24
; Occupancy: 8
; WaveLimiterHint : 0
; COMPUTE_PGM_RSRC2:SCRATCH_EN: 0
; COMPUTE_PGM_RSRC2:USER_SGPR: 6
; COMPUTE_PGM_RSRC2:TRAP_HANDLER: 0
; COMPUTE_PGM_RSRC2:TGID_X_EN: 1
; COMPUTE_PGM_RSRC2:TGID_Y_EN: 0
; COMPUTE_PGM_RSRC2:TGID_Z_EN: 0
; COMPUTE_PGM_RSRC2:TIDIG_COMP_CNT: 0
; COMPUTE_PGM_RSRC3_GFX90A:ACCUM_OFFSET: 5
; COMPUTE_PGM_RSRC3_GFX90A:TG_SPLIT: 0
	.section	.text._ZN9rocsparseL35bsr2csr_block_per_row_33_256_kernelILj1024ELj64ELj32E21rocsparse_complex_numIdEilEEv20rocsparse_direction_T4_S4_21rocsparse_index_base_PKT2_PKT3_PKS4_S4_S5_PS6_PS9_PS4_,"axG",@progbits,_ZN9rocsparseL35bsr2csr_block_per_row_33_256_kernelILj1024ELj64ELj32E21rocsparse_complex_numIdEilEEv20rocsparse_direction_T4_S4_21rocsparse_index_base_PKT2_PKT3_PKS4_S4_S5_PS6_PS9_PS4_,comdat
	.globl	_ZN9rocsparseL35bsr2csr_block_per_row_33_256_kernelILj1024ELj64ELj32E21rocsparse_complex_numIdEilEEv20rocsparse_direction_T4_S4_21rocsparse_index_base_PKT2_PKT3_PKS4_S4_S5_PS6_PS9_PS4_ ; -- Begin function _ZN9rocsparseL35bsr2csr_block_per_row_33_256_kernelILj1024ELj64ELj32E21rocsparse_complex_numIdEilEEv20rocsparse_direction_T4_S4_21rocsparse_index_base_PKT2_PKT3_PKS4_S4_S5_PS6_PS9_PS4_
	.p2align	8
	.type	_ZN9rocsparseL35bsr2csr_block_per_row_33_256_kernelILj1024ELj64ELj32E21rocsparse_complex_numIdEilEEv20rocsparse_direction_T4_S4_21rocsparse_index_base_PKT2_PKT3_PKS4_S4_S5_PS6_PS9_PS4_,@function
_ZN9rocsparseL35bsr2csr_block_per_row_33_256_kernelILj1024ELj64ELj32E21rocsparse_complex_numIdEilEEv20rocsparse_direction_T4_S4_21rocsparse_index_base_PKT2_PKT3_PKS4_S4_S5_PS6_PS9_PS4_: ; @_ZN9rocsparseL35bsr2csr_block_per_row_33_256_kernelILj1024ELj64ELj32E21rocsparse_complex_numIdEilEEv20rocsparse_direction_T4_S4_21rocsparse_index_base_PKT2_PKT3_PKS4_S4_S5_PS6_PS9_PS4_
; %bb.0:
	s_load_dwordx2 s[0:1], s[4:5], 0x28
	s_load_dword s26, s[4:5], 0x40
	s_load_dwordx2 s[2:3], s[4:5], 0x50
	s_mov_b32 s7, 0
	s_lshl_b64 s[8:9], s[6:7], 2
	s_waitcnt lgkmcnt(0)
	s_add_u32 s0, s0, s8
	s_addc_u32 s1, s1, s9
	s_load_dwordx2 s[0:1], s[0:1], 0x0
	v_or_b32_e32 v1, s6, v0
	v_cmp_eq_u32_e32 vcc, 0, v1
	s_and_saveexec_b64 s[8:9], vcc
	s_cbranch_execz .LBB296_2
; %bb.1:
	v_mov_b32_e32 v1, 0
	v_mov_b32_e32 v2, s26
	global_store_dword v1, v2, s[2:3]
.LBB296_2:
	s_or_b64 exec, exec, s[8:9]
	s_load_dword s27, s[4:5], 0x18
	s_load_dwordx2 s[8:9], s[4:5], 0x38
	v_mov_b32_e32 v7, 0
	v_lshrrev_b32_e32 v6, 5, v0
	v_lshlrev_b32_e32 v1, 2, v6
	s_waitcnt lgkmcnt(0)
	s_sub_i32 s10, s0, s27
	s_mul_i32 s7, s8, s9
	s_mul_hi_u32 s11, s8, s8
	s_sub_i32 s28, s1, s27
	s_add_i32 s11, s11, s7
	s_add_i32 s23, s11, s7
	s_sub_i32 s11, s28, s10
	s_mul_i32 s7, s6, s9
	s_mul_hi_u32 s12, s6, s8
	s_mul_i32 s16, s11, s8
	s_add_i32 s7, s12, s7
	s_mul_i32 s6, s6, s8
	s_add_i32 s15, s16, s26
	s_lshl_b64 s[6:7], s[6:7], 2
	s_mul_i32 s22, s8, s8
	s_add_u32 s6, s2, s6
	s_mul_i32 s14, s22, s10
	s_addc_u32 s7, s3, s7
	v_cmp_gt_i64_e32 vcc, s[8:9], v[6:7]
	s_and_saveexec_b64 s[2:3], vcc
	s_cbranch_execz .LBB296_4
; %bb.3:
	v_mul_lo_u32 v2, v6, s16
	s_add_i32 s12, s15, s14
	v_add_u32_e32 v2, s12, v2
	global_store_dword v1, v2, s[6:7] offset:4
.LBB296_4:
	s_or_b64 exec, exec, s[2:3]
	v_or_b32_e32 v4, 32, v6
	v_mov_b32_e32 v5, v7
	v_cmp_gt_i64_e64 s[2:3], s[8:9], v[4:5]
	s_and_saveexec_b64 s[12:13], s[2:3]
	s_cbranch_execz .LBB296_6
; %bb.5:
	s_add_u32 s6, s6, 4
	s_addc_u32 s7, s7, 0
	v_mul_lo_u32 v2, v4, s16
	s_add_i32 s15, s15, s14
	v_add_u32_e32 v2, s15, v2
	global_store_dword v1, v2, s[6:7] offset:128
.LBB296_6:
	s_or_b64 exec, exec, s[12:13]
	s_cmp_lt_i32 s0, s1
	s_cbranch_scc0 .LBB296_17
; %bb.7:
	s_load_dwordx2 s[24:25], s[4:5], 0x30
	s_load_dwordx2 s[12:13], s[4:5], 0x48
	s_load_dword s0, s[4:5], 0x0
	s_load_dwordx2 s[14:15], s[4:5], 0x20
	s_load_dwordx2 s[16:17], s[4:5], 0x58
	v_and_b32_e32 v0, 31, v0
	v_mov_b32_e32 v1, 0
	s_waitcnt lgkmcnt(0)
	s_cmp_eq_u32 s0, 0
	v_or_b32_e32 v2, 32, v0
	v_mov_b32_e32 v3, v1
	s_cselect_b64 s[0:1], -1, 0
	v_mul_lo_u32 v7, v6, s11
	v_cmp_gt_i64_e64 s[4:5], s[8:9], v[0:1]
	v_cmp_gt_i64_e64 s[6:7], s[8:9], v[2:3]
	v_mul_lo_u32 v3, v4, s11
	s_ashr_i32 s11, s10, 31
	s_and_b64 s[18:19], vcc, s[4:5]
	s_and_b64 s[20:21], vcc, s[6:7]
	s_and_b64 s[4:5], s[2:3], s[4:5]
	s_and_b64 s[2:3], s[2:3], s[6:7]
	s_lshl_b64 s[6:7], s[10:11], 3
	s_add_u32 s6, s24, s6
	s_mul_hi_u32 s24, s8, s10
	s_mul_i32 s11, s8, s11
	s_addc_u32 s7, s25, s7
	s_add_i32 s11, s24, s11
	s_mul_i32 s24, s9, s10
	s_mul_i32 s30, s8, s10
	s_add_i32 s31, s11, s24
	s_lshl_b64 s[24:25], s[30:31], 4
	v_lshlrev_b32_e32 v14, 4, v6
	v_mov_b32_e32 v6, s25
	v_add_co_u32_e32 v10, vcc, s24, v14
	v_addc_co_u32_e32 v11, vcc, 0, v6, vcc
	s_movk_i32 s11, 0x200
	v_add_co_u32_e32 v8, vcc, s11, v10
	v_addc_co_u32_e32 v9, vcc, 0, v11, vcc
	v_lshlrev_b32_e32 v12, 4, v0
	v_mov_b32_e32 v13, v1
	v_add_u32_e32 v3, s30, v3
	v_mov_b32_e32 v4, v1
	v_add_u32_e32 v7, s30, v7
	v_mov_b32_e32 v15, v1
	v_mul_lo_u32 v1, s8, v9
	v_mul_lo_u32 v16, s9, v8
	v_mad_u64_u32 v[8:9], s[30:31], s8, v8, v[12:13]
	v_add3_u32 v9, v16, v9, v1
	v_mul_lo_u32 v1, s8, v11
	v_mul_lo_u32 v16, s9, v10
	v_mad_u64_u32 v[10:11], s[30:31], s8, v10, v[12:13]
	v_add3_u32 v11, v16, v11, v1
	v_add_co_u32_e32 v1, vcc, s24, v12
	v_addc_co_u32_e32 v6, vcc, 0, v6, vcc
	v_add_co_u32_e32 v12, vcc, s11, v1
	v_addc_co_u32_e32 v13, vcc, 0, v6, vcc
	v_mul_lo_u32 v16, s8, v13
	v_mul_lo_u32 v17, s9, v12
	v_mad_u64_u32 v[12:13], s[24:25], s8, v12, v[14:15]
	v_add3_u32 v13, v17, v13, v16
	v_mul_lo_u32 v6, s8, v6
	v_mul_lo_u32 v16, s9, v1
	v_mad_u64_u32 v[14:15], s[24:25], s8, v1, v[14:15]
	v_add3_u32 v15, v16, v15, v6
	v_mul_lo_u32 v3, s8, v3
	v_mov_b32_e32 v5, v0
	s_mov_b32 s29, s8
	v_mul_lo_u32 v7, s8, v7
	s_lshl_b64 s[22:23], s[22:23], 4
	v_cndmask_b32_e64 v1, v15, v11, s[0:1]
	v_cndmask_b32_e64 v6, v14, v10, s[0:1]
	s_branch .LBB296_9
.LBB296_8:                              ;   in Loop: Header=BB296_9 Depth=1
	s_or_b64 exec, exec, s[24:25]
	s_add_i32 s10, s10, 1
	s_add_u32 s6, s6, 8
	s_addc_u32 s7, s7, 0
	s_add_u32 s14, s14, s22
	v_mov_b32_e32 v16, s29
	s_addc_u32 s15, s15, s23
	v_add_co_u32_e32 v4, vcc, 0, v4
	s_cmp_ge_i32 s10, s28
	v_addc_co_u32_e32 v5, vcc, v5, v16, vcc
	s_cbranch_scc1 .LBB296_17
.LBB296_9:                              ; =>This Inner Loop Header: Depth=1
	s_load_dwordx2 s[24:25], s[6:7], 0x0
	s_waitcnt lgkmcnt(0)
	s_sub_u32 s24, s24, s27
	s_subb_u32 s25, s25, 0
	s_mul_i32 s30, s24, s9
	s_mul_hi_u32 s31, s24, s8
	s_add_i32 s30, s31, s30
	s_mul_i32 s25, s25, s8
	s_add_i32 s25, s30, s25
	s_mul_i32 s24, s24, s8
	s_add_u32 s30, s24, s26
	s_addc_u32 s31, s25, 0
	s_and_saveexec_b64 s[24:25], s[18:19]
	s_cbranch_execnz .LBB296_13
; %bb.10:                               ;   in Loop: Header=BB296_9 Depth=1
	s_or_b64 exec, exec, s[24:25]
	s_and_saveexec_b64 s[24:25], s[20:21]
	s_cbranch_execnz .LBB296_14
.LBB296_11:                             ;   in Loop: Header=BB296_9 Depth=1
	s_or_b64 exec, exec, s[24:25]
	s_and_saveexec_b64 s[24:25], s[4:5]
	s_cbranch_execnz .LBB296_15
.LBB296_12:                             ;   in Loop: Header=BB296_9 Depth=1
	s_or_b64 exec, exec, s[24:25]
	s_and_saveexec_b64 s[24:25], s[2:3]
	s_cbranch_execz .LBB296_8
	s_branch .LBB296_16
.LBB296_13:                             ;   in Loop: Header=BB296_9 Depth=1
	v_mov_b32_e32 v17, s15
	v_add_co_u32_e32 v16, vcc, s14, v6
	v_addc_co_u32_e32 v17, vcc, v17, v1, vcc
	global_load_dwordx4 v[16:19], v[16:17], off
	v_mov_b32_e32 v21, s31
	v_add_co_u32_e32 v20, vcc, s30, v0
	v_addc_co_u32_e32 v21, vcc, 0, v21, vcc
	v_add_co_u32_e32 v22, vcc, 0, v4
	v_addc_co_u32_e32 v23, vcc, v7, v5, vcc
	v_ashrrev_i64 v[24:25], 29, v[22:23]
	v_mov_b32_e32 v26, s17
	v_add_co_u32_e32 v24, vcc, s16, v24
	v_addc_co_u32_e32 v25, vcc, v26, v25, vcc
	global_store_dwordx2 v[24:25], v[20:21], off
	v_ashrrev_i64 v[20:21], 28, v[22:23]
	v_mov_b32_e32 v22, s13
	v_add_co_u32_e32 v20, vcc, s12, v20
	v_addc_co_u32_e32 v21, vcc, v22, v21, vcc
	s_waitcnt vmcnt(1)
	global_store_dwordx4 v[20:21], v[16:19], off
	s_or_b64 exec, exec, s[24:25]
	s_and_saveexec_b64 s[24:25], s[20:21]
	s_cbranch_execz .LBB296_11
.LBB296_14:                             ;   in Loop: Header=BB296_9 Depth=1
	v_mov_b32_e32 v16, s15
	v_add_co_u32_e32 v17, vcc, s14, v10
	v_addc_co_u32_e32 v18, vcc, v16, v11, vcc
	v_add_co_u32_e32 v19, vcc, s11, v17
	v_addc_co_u32_e32 v17, vcc, 0, v18, vcc
	;; [unrolled: 2-line block ×3, first 2 shown]
	v_cndmask_b32_e64 v17, v16, v17, s[0:1]
	v_cndmask_b32_e64 v16, v18, v19, s[0:1]
	global_load_dwordx4 v[16:19], v[16:17], off
	v_mov_b32_e32 v21, s31
	v_add_co_u32_e32 v20, vcc, s30, v2
	v_addc_co_u32_e32 v21, vcc, 0, v21, vcc
	v_add_co_u32_e32 v22, vcc, 0, v4
	v_addc_co_u32_e32 v23, vcc, v7, v5, vcc
	;; [unrolled: 2-line block ×3, first 2 shown]
	v_ashrrev_i64 v[24:25], 29, v[22:23]
	v_mov_b32_e32 v26, s17
	v_add_co_u32_e32 v24, vcc, s16, v24
	v_addc_co_u32_e32 v25, vcc, v26, v25, vcc
	global_store_dwordx2 v[24:25], v[20:21], off
	v_ashrrev_i64 v[20:21], 28, v[22:23]
	v_mov_b32_e32 v22, s13
	v_add_co_u32_e32 v20, vcc, s12, v20
	v_addc_co_u32_e32 v21, vcc, v22, v21, vcc
	s_waitcnt vmcnt(1)
	global_store_dwordx4 v[20:21], v[16:19], off
	s_or_b64 exec, exec, s[24:25]
	s_and_saveexec_b64 s[24:25], s[4:5]
	s_cbranch_execz .LBB296_12
.LBB296_15:                             ;   in Loop: Header=BB296_9 Depth=1
	v_mov_b32_e32 v16, s15
	v_add_co_u32_e32 v18, vcc, s14, v8
	v_addc_co_u32_e32 v17, vcc, v16, v9, vcc
	v_add_co_u32_e32 v19, vcc, s14, v14
	v_addc_co_u32_e32 v16, vcc, v16, v15, vcc
	;; [unrolled: 2-line block ×3, first 2 shown]
	v_cndmask_b32_e64 v17, v16, v17, s[0:1]
	v_cndmask_b32_e64 v16, v19, v18, s[0:1]
	global_load_dwordx4 v[16:19], v[16:17], off
	v_mov_b32_e32 v21, s31
	v_add_co_u32_e32 v20, vcc, s30, v0
	v_addc_co_u32_e32 v21, vcc, 0, v21, vcc
	v_add_co_u32_e32 v22, vcc, 0, v4
	v_addc_co_u32_e32 v23, vcc, v3, v5, vcc
	v_ashrrev_i64 v[24:25], 29, v[22:23]
	v_mov_b32_e32 v26, s17
	v_add_co_u32_e32 v24, vcc, s16, v24
	v_addc_co_u32_e32 v25, vcc, v26, v25, vcc
	global_store_dwordx2 v[24:25], v[20:21], off
	v_ashrrev_i64 v[20:21], 28, v[22:23]
	v_mov_b32_e32 v22, s13
	v_add_co_u32_e32 v20, vcc, s12, v20
	v_addc_co_u32_e32 v21, vcc, v22, v21, vcc
	s_waitcnt vmcnt(1)
	global_store_dwordx4 v[20:21], v[16:19], off
	s_or_b64 exec, exec, s[24:25]
	s_and_saveexec_b64 s[24:25], s[2:3]
	s_cbranch_execz .LBB296_8
.LBB296_16:                             ;   in Loop: Header=BB296_9 Depth=1
	v_cndmask_b32_e64 v16, v12, v8, s[0:1]
	v_cndmask_b32_e64 v17, v13, v9, s[0:1]
	v_mov_b32_e32 v18, s15
	v_add_co_u32_e32 v16, vcc, s14, v16
	v_addc_co_u32_e32 v17, vcc, v18, v17, vcc
	global_load_dwordx4 v[16:19], v[16:17], off offset:512
	v_mov_b32_e32 v21, s31
	v_add_co_u32_e32 v20, vcc, s30, v2
	v_addc_co_u32_e32 v21, vcc, 0, v21, vcc
	v_add_co_u32_e32 v22, vcc, 0, v4
	v_addc_co_u32_e32 v23, vcc, v3, v5, vcc
	;; [unrolled: 2-line block ×3, first 2 shown]
	v_ashrrev_i64 v[24:25], 29, v[22:23]
	v_mov_b32_e32 v26, s17
	v_add_co_u32_e32 v24, vcc, s16, v24
	v_addc_co_u32_e32 v25, vcc, v26, v25, vcc
	global_store_dwordx2 v[24:25], v[20:21], off
	v_ashrrev_i64 v[20:21], 28, v[22:23]
	v_mov_b32_e32 v22, s13
	v_add_co_u32_e32 v20, vcc, s12, v20
	v_addc_co_u32_e32 v21, vcc, v22, v21, vcc
	s_waitcnt vmcnt(1)
	global_store_dwordx4 v[20:21], v[16:19], off
	s_branch .LBB296_8
.LBB296_17:
	s_endpgm
	.section	.rodata,"a",@progbits
	.p2align	6, 0x0
	.amdhsa_kernel _ZN9rocsparseL35bsr2csr_block_per_row_33_256_kernelILj1024ELj64ELj32E21rocsparse_complex_numIdEilEEv20rocsparse_direction_T4_S4_21rocsparse_index_base_PKT2_PKT3_PKS4_S4_S5_PS6_PS9_PS4_
		.amdhsa_group_segment_fixed_size 0
		.amdhsa_private_segment_fixed_size 0
		.amdhsa_kernarg_size 96
		.amdhsa_user_sgpr_count 6
		.amdhsa_user_sgpr_private_segment_buffer 1
		.amdhsa_user_sgpr_dispatch_ptr 0
		.amdhsa_user_sgpr_queue_ptr 0
		.amdhsa_user_sgpr_kernarg_segment_ptr 1
		.amdhsa_user_sgpr_dispatch_id 0
		.amdhsa_user_sgpr_flat_scratch_init 0
		.amdhsa_user_sgpr_kernarg_preload_length 0
		.amdhsa_user_sgpr_kernarg_preload_offset 0
		.amdhsa_user_sgpr_private_segment_size 0
		.amdhsa_uses_dynamic_stack 0
		.amdhsa_system_sgpr_private_segment_wavefront_offset 0
		.amdhsa_system_sgpr_workgroup_id_x 1
		.amdhsa_system_sgpr_workgroup_id_y 0
		.amdhsa_system_sgpr_workgroup_id_z 0
		.amdhsa_system_sgpr_workgroup_info 0
		.amdhsa_system_vgpr_workitem_id 0
		.amdhsa_next_free_vgpr 27
		.amdhsa_next_free_sgpr 32
		.amdhsa_accum_offset 28
		.amdhsa_reserve_vcc 1
		.amdhsa_reserve_flat_scratch 0
		.amdhsa_float_round_mode_32 0
		.amdhsa_float_round_mode_16_64 0
		.amdhsa_float_denorm_mode_32 3
		.amdhsa_float_denorm_mode_16_64 3
		.amdhsa_dx10_clamp 1
		.amdhsa_ieee_mode 1
		.amdhsa_fp16_overflow 0
		.amdhsa_tg_split 0
		.amdhsa_exception_fp_ieee_invalid_op 0
		.amdhsa_exception_fp_denorm_src 0
		.amdhsa_exception_fp_ieee_div_zero 0
		.amdhsa_exception_fp_ieee_overflow 0
		.amdhsa_exception_fp_ieee_underflow 0
		.amdhsa_exception_fp_ieee_inexact 0
		.amdhsa_exception_int_div_zero 0
	.end_amdhsa_kernel
	.section	.text._ZN9rocsparseL35bsr2csr_block_per_row_33_256_kernelILj1024ELj64ELj32E21rocsparse_complex_numIdEilEEv20rocsparse_direction_T4_S4_21rocsparse_index_base_PKT2_PKT3_PKS4_S4_S5_PS6_PS9_PS4_,"axG",@progbits,_ZN9rocsparseL35bsr2csr_block_per_row_33_256_kernelILj1024ELj64ELj32E21rocsparse_complex_numIdEilEEv20rocsparse_direction_T4_S4_21rocsparse_index_base_PKT2_PKT3_PKS4_S4_S5_PS6_PS9_PS4_,comdat
.Lfunc_end296:
	.size	_ZN9rocsparseL35bsr2csr_block_per_row_33_256_kernelILj1024ELj64ELj32E21rocsparse_complex_numIdEilEEv20rocsparse_direction_T4_S4_21rocsparse_index_base_PKT2_PKT3_PKS4_S4_S5_PS6_PS9_PS4_, .Lfunc_end296-_ZN9rocsparseL35bsr2csr_block_per_row_33_256_kernelILj1024ELj64ELj32E21rocsparse_complex_numIdEilEEv20rocsparse_direction_T4_S4_21rocsparse_index_base_PKT2_PKT3_PKS4_S4_S5_PS6_PS9_PS4_
                                        ; -- End function
	.section	.AMDGPU.csdata,"",@progbits
; Kernel info:
; codeLenInByte = 1392
; NumSgprs: 36
; NumVgprs: 27
; NumAgprs: 0
; TotalNumVgprs: 27
; ScratchSize: 0
; MemoryBound: 0
; FloatMode: 240
; IeeeMode: 1
; LDSByteSize: 0 bytes/workgroup (compile time only)
; SGPRBlocks: 4
; VGPRBlocks: 3
; NumSGPRsForWavesPerEU: 36
; NumVGPRsForWavesPerEU: 27
; AccumOffset: 28
; Occupancy: 8
; WaveLimiterHint : 1
; COMPUTE_PGM_RSRC2:SCRATCH_EN: 0
; COMPUTE_PGM_RSRC2:USER_SGPR: 6
; COMPUTE_PGM_RSRC2:TRAP_HANDLER: 0
; COMPUTE_PGM_RSRC2:TGID_X_EN: 1
; COMPUTE_PGM_RSRC2:TGID_Y_EN: 0
; COMPUTE_PGM_RSRC2:TGID_Z_EN: 0
; COMPUTE_PGM_RSRC2:TIDIG_COMP_CNT: 0
; COMPUTE_PGM_RSRC3_GFX90A:ACCUM_OFFSET: 6
; COMPUTE_PGM_RSRC3_GFX90A:TG_SPLIT: 0
	.section	.text._ZN9rocsparseL35bsr2csr_block_per_row_33_256_kernelILj1024ELj128ELj32E21rocsparse_complex_numIdEilEEv20rocsparse_direction_T4_S4_21rocsparse_index_base_PKT2_PKT3_PKS4_S4_S5_PS6_PS9_PS4_,"axG",@progbits,_ZN9rocsparseL35bsr2csr_block_per_row_33_256_kernelILj1024ELj128ELj32E21rocsparse_complex_numIdEilEEv20rocsparse_direction_T4_S4_21rocsparse_index_base_PKT2_PKT3_PKS4_S4_S5_PS6_PS9_PS4_,comdat
	.globl	_ZN9rocsparseL35bsr2csr_block_per_row_33_256_kernelILj1024ELj128ELj32E21rocsparse_complex_numIdEilEEv20rocsparse_direction_T4_S4_21rocsparse_index_base_PKT2_PKT3_PKS4_S4_S5_PS6_PS9_PS4_ ; -- Begin function _ZN9rocsparseL35bsr2csr_block_per_row_33_256_kernelILj1024ELj128ELj32E21rocsparse_complex_numIdEilEEv20rocsparse_direction_T4_S4_21rocsparse_index_base_PKT2_PKT3_PKS4_S4_S5_PS6_PS9_PS4_
	.p2align	8
	.type	_ZN9rocsparseL35bsr2csr_block_per_row_33_256_kernelILj1024ELj128ELj32E21rocsparse_complex_numIdEilEEv20rocsparse_direction_T4_S4_21rocsparse_index_base_PKT2_PKT3_PKS4_S4_S5_PS6_PS9_PS4_,@function
_ZN9rocsparseL35bsr2csr_block_per_row_33_256_kernelILj1024ELj128ELj32E21rocsparse_complex_numIdEilEEv20rocsparse_direction_T4_S4_21rocsparse_index_base_PKT2_PKT3_PKS4_S4_S5_PS6_PS9_PS4_: ; @_ZN9rocsparseL35bsr2csr_block_per_row_33_256_kernelILj1024ELj128ELj32E21rocsparse_complex_numIdEilEEv20rocsparse_direction_T4_S4_21rocsparse_index_base_PKT2_PKT3_PKS4_S4_S5_PS6_PS9_PS4_
; %bb.0:
	s_load_dwordx2 s[0:1], s[4:5], 0x28
	s_load_dword s33, s[4:5], 0x40
	s_load_dwordx2 s[2:3], s[4:5], 0x50
	s_mov_b32 s7, 0
	s_lshl_b64 s[8:9], s[6:7], 2
	s_waitcnt lgkmcnt(0)
	s_add_u32 s0, s0, s8
	s_addc_u32 s1, s1, s9
	s_load_dwordx2 s[0:1], s[0:1], 0x0
	v_or_b32_e32 v1, s6, v0
	v_cmp_eq_u32_e32 vcc, 0, v1
	s_and_saveexec_b64 s[8:9], vcc
	s_cbranch_execz .LBB297_2
; %bb.1:
	v_mov_b32_e32 v1, 0
	v_mov_b32_e32 v2, s33
	global_store_dword v1, v2, s[2:3]
.LBB297_2:
	s_or_b64 exec, exec, s[8:9]
	s_load_dword s52, s[4:5], 0x18
	s_load_dwordx2 s[16:17], s[4:5], 0x38
	v_mov_b32_e32 v17, 0
	v_lshrrev_b32_e32 v16, 5, v0
	v_lshlrev_b32_e32 v1, 2, v16
	s_waitcnt lgkmcnt(0)
	s_sub_i32 s18, s0, s52
	s_mul_i32 s7, s16, s17
	s_mul_hi_u32 s8, s16, s16
	s_sub_i32 s53, s1, s52
	s_add_i32 s8, s8, s7
	s_add_i32 s49, s8, s7
	s_sub_i32 s19, s53, s18
	s_mul_i32 s7, s6, s17
	s_mul_hi_u32 s8, s6, s16
	s_mul_i32 s20, s19, s16
	s_add_i32 s7, s8, s7
	s_mul_i32 s6, s6, s16
	s_add_i32 s15, s20, s33
	s_lshl_b64 s[6:7], s[6:7], 2
	s_mul_i32 s48, s16, s16
	s_add_u32 s2, s2, s6
	s_mul_i32 s14, s48, s18
	s_addc_u32 s3, s3, s7
	v_cmp_gt_i64_e32 vcc, s[16:17], v[16:17]
	s_and_saveexec_b64 s[6:7], vcc
	s_cbranch_execz .LBB297_4
; %bb.3:
	v_mul_lo_u32 v2, v16, s20
	s_add_i32 s8, s15, s14
	v_add_u32_e32 v2, s8, v2
	global_store_dword v1, v2, s[2:3] offset:4
.LBB297_4:
	s_or_b64 exec, exec, s[6:7]
	s_add_u32 s10, s2, 4
	v_or_b32_e32 v12, 32, v16
	v_mov_b32_e32 v13, v17
	s_addc_u32 s11, s3, 0
	v_cmp_gt_i64_e64 s[2:3], s[16:17], v[12:13]
	s_and_saveexec_b64 s[6:7], s[2:3]
	s_cbranch_execz .LBB297_6
; %bb.5:
	v_mul_lo_u32 v2, v12, s20
	s_add_i32 s8, s15, s14
	v_add_u32_e32 v2, s8, v2
	global_store_dword v1, v2, s[10:11] offset:128
.LBB297_6:
	s_or_b64 exec, exec, s[6:7]
	v_or_b32_e32 v10, 64, v16
	v_mov_b32_e32 v11, v17
	v_cmp_gt_i64_e64 s[6:7], s[16:17], v[10:11]
	s_and_saveexec_b64 s[8:9], s[6:7]
	s_cbranch_execz .LBB297_8
; %bb.7:
	v_mul_lo_u32 v2, v10, s20
	s_add_i32 s12, s15, s14
	v_add_u32_e32 v2, s12, v2
	global_store_dword v1, v2, s[10:11] offset:256
.LBB297_8:
	s_or_b64 exec, exec, s[8:9]
	v_or_b32_e32 v2, 0x60, v16
	v_mov_b32_e32 v3, v17
	v_cmp_gt_i64_e64 s[8:9], s[16:17], v[2:3]
	s_and_saveexec_b64 s[12:13], s[8:9]
	s_cbranch_execz .LBB297_10
; %bb.9:
	v_mul_lo_u32 v2, v2, s20
	s_add_i32 s15, s15, s14
	v_add_u32_e32 v2, s15, v2
	global_store_dword v1, v2, s[10:11] offset:384
.LBB297_10:
	s_or_b64 exec, exec, s[12:13]
	s_cmp_lt_i32 s0, s1
	s_cbranch_scc0 .LBB297_45
; %bb.11:
	s_load_dwordx2 s[50:51], s[4:5], 0x30
	s_load_dwordx2 s[20:21], s[4:5], 0x48
	s_load_dword s0, s[4:5], 0x0
	s_load_dwordx2 s[22:23], s[4:5], 0x20
	s_load_dwordx2 s[24:25], s[4:5], 0x58
	v_and_b32_e32 v0, 31, v0
	v_mov_b32_e32 v1, 0
	v_or_b32_e32 v4, 64, v0
	v_mov_b32_e32 v5, v1
	s_waitcnt lgkmcnt(0)
	s_cmp_eq_u32 s0, 0
	v_or_b32_e32 v2, 32, v0
	v_mov_b32_e32 v3, v1
	v_cmp_gt_i64_e64 s[12:13], s[16:17], v[4:5]
	v_or_b32_e32 v6, 0x60, v0
	v_mov_b32_e32 v7, v1
	v_or_b32_e32 v5, 0x60, v16
	s_cselect_b64 s[0:1], -1, 0
	v_mul_lo_u32 v11, v16, s19
	v_cmp_gt_i64_e64 s[4:5], s[16:17], v[0:1]
	v_cmp_gt_i64_e64 s[10:11], s[16:17], v[2:3]
	;; [unrolled: 1-line block ×3, first 2 shown]
	v_mul_lo_u32 v5, v5, s19
	v_mul_lo_u32 v7, v10, s19
	;; [unrolled: 1-line block ×3, first 2 shown]
	s_ashr_i32 s19, s18, 31
	s_and_b64 s[26:27], vcc, s[4:5]
	s_and_b64 s[28:29], vcc, s[10:11]
	;; [unrolled: 1-line block ×4, first 2 shown]
	s_and_b64 s[36:37], s[2:3], s[4:5]
	s_and_b64 s[38:39], s[2:3], s[10:11]
	;; [unrolled: 1-line block ×12, first 2 shown]
	s_lshl_b64 s[14:15], s[18:19], 3
	s_mul_i32 s56, s16, s18
	s_add_u32 s14, s50, s14
	s_mul_hi_u32 s50, s16, s18
	s_mul_i32 s19, s16, s19
	v_add_u32_e32 v5, s56, v5
	s_addc_u32 s15, s51, s15
	s_add_i32 s19, s50, s19
	s_mul_i32 s50, s17, s18
	v_mul_lo_u32 v5, s16, v5
	v_mov_b32_e32 v13, 0x60
	v_add_co_u32_e64 v8, vcc, 0, 0
	s_add_i32 s57, s19, s50
	v_addc_co_u32_e32 v5, vcc, v5, v13, vcc
	s_lshl_b64 s[50:51], s[56:57], 4
	v_lshlrev_b32_e32 v30, 4, v16
	v_mov_b32_e32 v15, s51
	v_add_co_u32_e32 v22, vcc, s50, v30
	v_addc_co_u32_e32 v23, vcc, 0, v15, vcc
	s_movk_i32 s19, 0x600
	v_add_co_u32_e32 v16, vcc, s19, v22
	v_addc_co_u32_e32 v17, vcc, 0, v23, vcc
	v_lshlrev_b32_e32 v24, 4, v0
	v_mov_b32_e32 v25, v1
	v_add_u32_e32 v7, s56, v7
	v_mov_b32_e32 v10, v1
	v_add_u32_e32 v9, s56, v9
	;; [unrolled: 2-line block ×3, first 2 shown]
	v_mov_b32_e32 v14, v1
	v_mov_b32_e32 v31, v1
	v_mul_lo_u32 v1, s16, v17
	v_mul_lo_u32 v18, s17, v16
	v_mad_u64_u32 v[16:17], s[56:57], s16, v16, v[24:25]
	s_movk_i32 s55, 0x400
	v_add3_u32 v17, v18, v17, v1
	v_add_co_u32_e32 v1, vcc, s55, v22
	v_addc_co_u32_e32 v18, vcc, 0, v23, vcc
	v_mul_lo_u32 v20, s16, v18
	v_mad_u64_u32 v[18:19], s[56:57], s16, v1, v[24:25]
	s_movk_i32 s56, 0x200
	v_mul_lo_u32 v21, s17, v1
	v_add_co_u32_e32 v1, vcc, s56, v22
	v_add3_u32 v19, v21, v19, v20
	v_addc_co_u32_e32 v20, vcc, 0, v23, vcc
	v_mul_lo_u32 v26, s16, v20
	v_mul_lo_u32 v27, s17, v1
	v_mad_u64_u32 v[20:21], s[58:59], s16, v1, v[24:25]
	v_add3_u32 v21, v27, v21, v26
	v_mul_lo_u32 v1, s16, v23
	v_mul_lo_u32 v26, s17, v22
	v_mad_u64_u32 v[22:23], s[58:59], s16, v22, v[24:25]
	v_add3_u32 v23, v26, v23, v1
	v_add_co_u32_e32 v1, vcc, s50, v24
	v_addc_co_u32_e32 v15, vcc, 0, v15, vcc
	v_add_co_u32_e32 v24, vcc, s19, v1
	v_addc_co_u32_e32 v25, vcc, 0, v15, vcc
	v_mul_lo_u32 v26, s16, v25
	v_mul_lo_u32 v27, s17, v24
	v_mad_u64_u32 v[24:25], s[50:51], s16, v24, v[30:31]
	v_add3_u32 v25, v27, v25, v26
	v_add_co_u32_e32 v26, vcc, s55, v1
	v_addc_co_u32_e32 v27, vcc, 0, v15, vcc
	v_mul_lo_u32 v28, s16, v27
	v_mul_lo_u32 v29, s17, v26
	v_mad_u64_u32 v[26:27], s[50:51], s16, v26, v[30:31]
	v_add3_u32 v27, v29, v27, v28
	v_add_co_u32_e32 v28, vcc, s56, v1
	v_addc_co_u32_e32 v29, vcc, 0, v15, vcc
	v_mul_lo_u32 v32, s16, v29
	v_mul_lo_u32 v33, s17, v28
	v_mad_u64_u32 v[28:29], s[50:51], s16, v28, v[30:31]
	v_add3_u32 v29, v33, v29, v32
	v_mul_lo_u32 v15, s16, v15
	v_mul_lo_u32 v32, s17, v1
	v_mad_u64_u32 v[30:31], s[50:51], s16, v1, v[30:31]
	v_mov_b32_e32 v3, v0
	s_mov_b32 s54, s16
	v_mul_lo_u32 v7, s16, v7
	v_mul_lo_u32 v9, s16, v9
	;; [unrolled: 1-line block ×3, first 2 shown]
	s_lshl_b64 s[48:49], s[48:49], 4
	v_add3_u32 v31, v32, v31, v15
	v_mov_b32_e32 v1, 0xffffffa0
	v_not_b32_e32 v15, 63
	v_not_b32_e32 v32, 31
	s_branch .LBB297_13
.LBB297_12:                             ;   in Loop: Header=BB297_13 Depth=1
	s_or_b64 exec, exec, s[50:51]
	v_mov_b32_e32 v33, s54
	v_add_co_u32_e32 v8, vcc, 0, v8
	v_addc_co_u32_e32 v5, vcc, v5, v33, vcc
	s_add_i32 s18, s18, 1
	v_add_co_u32_e32 v10, vcc, 0, v10
	v_addc_co_u32_e32 v7, vcc, v7, v33, vcc
	s_add_u32 s14, s14, 8
	v_add_co_u32_e32 v12, vcc, 0, v12
	s_addc_u32 s15, s15, 0
	v_addc_co_u32_e32 v9, vcc, v9, v33, vcc
	s_add_u32 s22, s22, s48
	s_addc_u32 s23, s23, s49
	v_add_co_u32_e32 v14, vcc, 0, v14
	s_cmp_ge_i32 s18, s53
	v_addc_co_u32_e32 v11, vcc, v11, v33, vcc
	s_cbranch_scc1 .LBB297_45
.LBB297_13:                             ; =>This Inner Loop Header: Depth=1
	s_load_dwordx2 s[50:51], s[14:15], 0x0
	s_waitcnt lgkmcnt(0)
	s_sub_u32 s50, s50, s52
	s_subb_u32 s51, s51, 0
	s_mul_i32 s57, s50, s17
	s_mul_hi_u32 s58, s50, s16
	s_add_i32 s57, s58, s57
	s_mul_i32 s51, s51, s16
	s_add_i32 s51, s57, s51
	s_mul_i32 s50, s50, s16
	s_add_u32 s57, s50, s33
	s_addc_u32 s58, s51, 0
	s_and_saveexec_b64 s[50:51], s[26:27]
	s_cbranch_execnz .LBB297_29
; %bb.14:                               ;   in Loop: Header=BB297_13 Depth=1
	s_or_b64 exec, exec, s[50:51]
	s_and_saveexec_b64 s[50:51], s[28:29]
	s_cbranch_execnz .LBB297_30
.LBB297_15:                             ;   in Loop: Header=BB297_13 Depth=1
	s_or_b64 exec, exec, s[50:51]
	s_and_saveexec_b64 s[50:51], s[30:31]
	s_cbranch_execnz .LBB297_31
.LBB297_16:                             ;   in Loop: Header=BB297_13 Depth=1
	s_or_b64 exec, exec, s[50:51]
	s_and_saveexec_b64 s[50:51], s[34:35]
	s_cbranch_execnz .LBB297_32
.LBB297_17:                             ;   in Loop: Header=BB297_13 Depth=1
	s_or_b64 exec, exec, s[50:51]
	s_and_saveexec_b64 s[50:51], s[36:37]
	s_cbranch_execnz .LBB297_33
.LBB297_18:                             ;   in Loop: Header=BB297_13 Depth=1
	s_or_b64 exec, exec, s[50:51]
	s_and_saveexec_b64 s[50:51], s[38:39]
	s_cbranch_execnz .LBB297_34
.LBB297_19:                             ;   in Loop: Header=BB297_13 Depth=1
	s_or_b64 exec, exec, s[50:51]
	s_and_saveexec_b64 s[50:51], s[40:41]
	s_cbranch_execnz .LBB297_35
.LBB297_20:                             ;   in Loop: Header=BB297_13 Depth=1
	s_or_b64 exec, exec, s[50:51]
	s_and_saveexec_b64 s[50:51], s[2:3]
	s_cbranch_execnz .LBB297_36
.LBB297_21:                             ;   in Loop: Header=BB297_13 Depth=1
	s_or_b64 exec, exec, s[50:51]
	s_and_saveexec_b64 s[50:51], s[42:43]
	s_cbranch_execnz .LBB297_37
.LBB297_22:                             ;   in Loop: Header=BB297_13 Depth=1
	s_or_b64 exec, exec, s[50:51]
	s_and_saveexec_b64 s[50:51], s[44:45]
	s_cbranch_execnz .LBB297_38
.LBB297_23:                             ;   in Loop: Header=BB297_13 Depth=1
	s_or_b64 exec, exec, s[50:51]
	s_and_saveexec_b64 s[50:51], s[46:47]
	s_cbranch_execnz .LBB297_39
.LBB297_24:                             ;   in Loop: Header=BB297_13 Depth=1
	s_or_b64 exec, exec, s[50:51]
	s_and_saveexec_b64 s[50:51], s[6:7]
	s_cbranch_execnz .LBB297_40
.LBB297_25:                             ;   in Loop: Header=BB297_13 Depth=1
	s_or_b64 exec, exec, s[50:51]
	s_and_saveexec_b64 s[50:51], s[4:5]
	s_cbranch_execnz .LBB297_41
.LBB297_26:                             ;   in Loop: Header=BB297_13 Depth=1
	s_or_b64 exec, exec, s[50:51]
	s_and_saveexec_b64 s[50:51], s[10:11]
	s_cbranch_execnz .LBB297_42
.LBB297_27:                             ;   in Loop: Header=BB297_13 Depth=1
	s_or_b64 exec, exec, s[50:51]
	s_and_saveexec_b64 s[50:51], s[12:13]
	s_cbranch_execnz .LBB297_43
.LBB297_28:                             ;   in Loop: Header=BB297_13 Depth=1
	s_or_b64 exec, exec, s[50:51]
	s_and_saveexec_b64 s[50:51], s[8:9]
	s_cbranch_execz .LBB297_12
	s_branch .LBB297_44
.LBB297_29:                             ;   in Loop: Header=BB297_13 Depth=1
	v_cndmask_b32_e64 v34, v30, v22, s[0:1]
	v_cndmask_b32_e64 v33, v31, v23, s[0:1]
	v_mov_b32_e32 v35, s23
	v_add_co_u32_e32 v34, vcc, s22, v34
	v_addc_co_u32_e32 v35, vcc, v35, v33, vcc
	global_load_dwordx4 v[34:37], v[34:35], off
	v_mov_b32_e32 v33, s58
	v_add_co_u32_e32 v38, vcc, s57, v0
	v_addc_co_u32_e32 v39, vcc, 0, v33, vcc
	v_add_co_u32_e32 v40, vcc, 0, v14
	v_addc_co_u32_e32 v41, vcc, v3, v11, vcc
	v_ashrrev_i64 v[42:43], 29, v[40:41]
	v_mov_b32_e32 v33, s25
	v_add_co_u32_e32 v42, vcc, s24, v42
	v_addc_co_u32_e32 v43, vcc, v33, v43, vcc
	global_store_dwordx2 v[42:43], v[38:39], off
	v_ashrrev_i64 v[38:39], 28, v[40:41]
	v_mov_b32_e32 v33, s21
	v_add_co_u32_e32 v38, vcc, s20, v38
	v_addc_co_u32_e32 v39, vcc, v33, v39, vcc
	s_waitcnt vmcnt(1)
	global_store_dwordx4 v[38:39], v[34:37], off
	s_or_b64 exec, exec, s[50:51]
	s_and_saveexec_b64 s[50:51], s[28:29]
	s_cbranch_execz .LBB297_15
.LBB297_30:                             ;   in Loop: Header=BB297_13 Depth=1
	v_mov_b32_e32 v33, s23
	v_add_co_u32_e32 v34, vcc, s22, v22
	v_addc_co_u32_e32 v35, vcc, v33, v23, vcc
	v_add_co_u32_e32 v34, vcc, s56, v34
	v_addc_co_u32_e32 v35, vcc, 0, v35, vcc
	;; [unrolled: 2-line block ×3, first 2 shown]
	v_cndmask_b32_e64 v35, v33, v35, s[0:1]
	v_cndmask_b32_e64 v34, v36, v34, s[0:1]
	global_load_dwordx4 v[34:37], v[34:35], off
	v_mov_b32_e32 v33, s58
	v_add_co_u32_e32 v38, vcc, s57, v2
	v_addc_co_u32_e32 v39, vcc, 0, v33, vcc
	v_add_co_u32_e32 v33, vcc, 0, v14
	v_addc_co_u32_e32 v41, vcc, v3, v11, vcc
	;; [unrolled: 2-line block ×3, first 2 shown]
	v_ashrrev_i64 v[42:43], 29, v[40:41]
	v_mov_b32_e32 v33, s25
	v_add_co_u32_e32 v42, vcc, s24, v42
	v_addc_co_u32_e32 v43, vcc, v33, v43, vcc
	global_store_dwordx2 v[42:43], v[38:39], off
	v_ashrrev_i64 v[38:39], 28, v[40:41]
	v_mov_b32_e32 v33, s21
	v_add_co_u32_e32 v38, vcc, s20, v38
	v_addc_co_u32_e32 v39, vcc, v33, v39, vcc
	s_waitcnt vmcnt(1)
	global_store_dwordx4 v[38:39], v[34:37], off
	s_or_b64 exec, exec, s[50:51]
	s_and_saveexec_b64 s[50:51], s[30:31]
	s_cbranch_execz .LBB297_16
.LBB297_31:                             ;   in Loop: Header=BB297_13 Depth=1
	v_mov_b32_e32 v33, s23
	v_add_co_u32_e32 v34, vcc, s22, v22
	v_addc_co_u32_e32 v35, vcc, v33, v23, vcc
	v_add_co_u32_e32 v34, vcc, s55, v34
	v_addc_co_u32_e32 v35, vcc, 0, v35, vcc
	v_add_co_u32_e32 v36, vcc, s22, v26
	v_addc_co_u32_e32 v33, vcc, v33, v27, vcc
	v_cndmask_b32_e64 v35, v33, v35, s[0:1]
	v_cndmask_b32_e64 v34, v36, v34, s[0:1]
	global_load_dwordx4 v[34:37], v[34:35], off
	v_mov_b32_e32 v33, s58
	v_add_co_u32_e32 v38, vcc, s57, v4
	v_addc_co_u32_e32 v39, vcc, 0, v33, vcc
	v_add_co_u32_e32 v33, vcc, 0, v14
	v_addc_co_u32_e32 v41, vcc, v3, v11, vcc
	v_add_co_u32_e32 v40, vcc, 0, v33
	v_addc_co_u32_e32 v41, vcc, 64, v41, vcc
	v_ashrrev_i64 v[42:43], 29, v[40:41]
	v_mov_b32_e32 v33, s25
	v_add_co_u32_e32 v42, vcc, s24, v42
	v_addc_co_u32_e32 v43, vcc, v33, v43, vcc
	global_store_dwordx2 v[42:43], v[38:39], off
	v_ashrrev_i64 v[38:39], 28, v[40:41]
	v_mov_b32_e32 v33, s21
	v_add_co_u32_e32 v38, vcc, s20, v38
	v_addc_co_u32_e32 v39, vcc, v33, v39, vcc
	s_waitcnt vmcnt(1)
	global_store_dwordx4 v[38:39], v[34:37], off
	s_or_b64 exec, exec, s[50:51]
	s_and_saveexec_b64 s[50:51], s[34:35]
	s_cbranch_execz .LBB297_17
.LBB297_32:                             ;   in Loop: Header=BB297_13 Depth=1
	v_mov_b32_e32 v33, s23
	v_add_co_u32_e32 v34, vcc, s22, v22
	v_addc_co_u32_e32 v35, vcc, v33, v23, vcc
	v_add_co_u32_e32 v34, vcc, s19, v34
	v_addc_co_u32_e32 v35, vcc, 0, v35, vcc
	;; [unrolled: 2-line block ×3, first 2 shown]
	v_cndmask_b32_e64 v35, v33, v35, s[0:1]
	v_cndmask_b32_e64 v34, v36, v34, s[0:1]
	global_load_dwordx4 v[34:37], v[34:35], off
	v_mov_b32_e32 v33, s58
	v_add_co_u32_e32 v38, vcc, s57, v6
	v_addc_co_u32_e32 v39, vcc, 0, v33, vcc
	v_add_co_u32_e32 v33, vcc, 0, v14
	v_addc_co_u32_e32 v41, vcc, v3, v11, vcc
	;; [unrolled: 2-line block ×3, first 2 shown]
	v_ashrrev_i64 v[42:43], 29, v[40:41]
	v_mov_b32_e32 v33, s25
	v_add_co_u32_e32 v42, vcc, s24, v42
	v_addc_co_u32_e32 v43, vcc, v33, v43, vcc
	global_store_dwordx2 v[42:43], v[38:39], off
	v_ashrrev_i64 v[38:39], 28, v[40:41]
	v_mov_b32_e32 v33, s21
	v_add_co_u32_e32 v38, vcc, s20, v38
	v_addc_co_u32_e32 v39, vcc, v33, v39, vcc
	s_waitcnt vmcnt(1)
	global_store_dwordx4 v[38:39], v[34:37], off
	s_or_b64 exec, exec, s[50:51]
	s_and_saveexec_b64 s[50:51], s[36:37]
	s_cbranch_execz .LBB297_18
.LBB297_33:                             ;   in Loop: Header=BB297_13 Depth=1
	v_mov_b32_e32 v33, s23
	v_add_co_u32_e32 v34, vcc, s22, v20
	v_addc_co_u32_e32 v35, vcc, v33, v21, vcc
	v_add_co_u32_e32 v36, vcc, s22, v30
	v_addc_co_u32_e32 v33, vcc, v33, v31, vcc
	;; [unrolled: 2-line block ×3, first 2 shown]
	v_cndmask_b32_e64 v35, v33, v35, s[0:1]
	v_cndmask_b32_e64 v34, v36, v34, s[0:1]
	global_load_dwordx4 v[34:37], v[34:35], off
	v_mov_b32_e32 v33, s58
	v_add_co_u32_e32 v38, vcc, s57, v0
	v_addc_co_u32_e32 v39, vcc, 0, v33, vcc
	v_add_co_u32_e32 v40, vcc, 0, v12
	v_addc_co_u32_e32 v41, vcc, v3, v9, vcc
	v_ashrrev_i64 v[42:43], 29, v[40:41]
	v_mov_b32_e32 v33, s25
	v_add_co_u32_e32 v42, vcc, s24, v42
	v_addc_co_u32_e32 v43, vcc, v33, v43, vcc
	global_store_dwordx2 v[42:43], v[38:39], off
	v_ashrrev_i64 v[38:39], 28, v[40:41]
	v_mov_b32_e32 v33, s21
	v_add_co_u32_e32 v38, vcc, s20, v38
	v_addc_co_u32_e32 v39, vcc, v33, v39, vcc
	s_waitcnt vmcnt(1)
	global_store_dwordx4 v[38:39], v[34:37], off
	s_or_b64 exec, exec, s[50:51]
	s_and_saveexec_b64 s[50:51], s[38:39]
	s_cbranch_execz .LBB297_19
.LBB297_34:                             ;   in Loop: Header=BB297_13 Depth=1
	v_cndmask_b32_e64 v34, v28, v20, s[0:1]
	v_cndmask_b32_e64 v33, v29, v21, s[0:1]
	v_mov_b32_e32 v35, s23
	v_add_co_u32_e32 v34, vcc, s22, v34
	v_addc_co_u32_e32 v35, vcc, v35, v33, vcc
	global_load_dwordx4 v[34:37], v[34:35], off offset:512
	v_mov_b32_e32 v33, s58
	v_add_co_u32_e32 v38, vcc, s57, v2
	v_addc_co_u32_e32 v39, vcc, 0, v33, vcc
	v_add_co_u32_e32 v33, vcc, 0, v12
	v_addc_co_u32_e32 v41, vcc, v3, v9, vcc
	;; [unrolled: 2-line block ×3, first 2 shown]
	v_ashrrev_i64 v[42:43], 29, v[40:41]
	v_mov_b32_e32 v33, s25
	v_add_co_u32_e32 v42, vcc, s24, v42
	v_addc_co_u32_e32 v43, vcc, v33, v43, vcc
	global_store_dwordx2 v[42:43], v[38:39], off
	v_ashrrev_i64 v[38:39], 28, v[40:41]
	v_mov_b32_e32 v33, s21
	v_add_co_u32_e32 v38, vcc, s20, v38
	v_addc_co_u32_e32 v39, vcc, v33, v39, vcc
	s_waitcnt vmcnt(1)
	global_store_dwordx4 v[38:39], v[34:37], off
	s_or_b64 exec, exec, s[50:51]
	s_and_saveexec_b64 s[50:51], s[40:41]
	s_cbranch_execz .LBB297_20
.LBB297_35:                             ;   in Loop: Header=BB297_13 Depth=1
	v_mov_b32_e32 v33, s23
	v_add_co_u32_e32 v34, vcc, s22, v20
	v_addc_co_u32_e32 v35, vcc, v33, v21, vcc
	v_add_co_u32_e32 v34, vcc, s55, v34
	v_addc_co_u32_e32 v35, vcc, 0, v35, vcc
	;; [unrolled: 2-line block ×4, first 2 shown]
	v_cndmask_b32_e64 v35, v33, v35, s[0:1]
	v_cndmask_b32_e64 v34, v36, v34, s[0:1]
	global_load_dwordx4 v[34:37], v[34:35], off
	v_mov_b32_e32 v33, s58
	v_add_co_u32_e32 v38, vcc, s57, v4
	v_addc_co_u32_e32 v39, vcc, 0, v33, vcc
	v_add_co_u32_e32 v33, vcc, 0, v12
	v_addc_co_u32_e32 v41, vcc, v3, v9, vcc
	;; [unrolled: 2-line block ×3, first 2 shown]
	v_ashrrev_i64 v[42:43], 29, v[40:41]
	v_mov_b32_e32 v33, s25
	v_add_co_u32_e32 v42, vcc, s24, v42
	v_addc_co_u32_e32 v43, vcc, v33, v43, vcc
	global_store_dwordx2 v[42:43], v[38:39], off
	v_ashrrev_i64 v[38:39], 28, v[40:41]
	v_mov_b32_e32 v33, s21
	v_add_co_u32_e32 v38, vcc, s20, v38
	v_addc_co_u32_e32 v39, vcc, v33, v39, vcc
	s_waitcnt vmcnt(1)
	global_store_dwordx4 v[38:39], v[34:37], off
	s_or_b64 exec, exec, s[50:51]
	s_and_saveexec_b64 s[50:51], s[2:3]
	s_cbranch_execz .LBB297_21
.LBB297_36:                             ;   in Loop: Header=BB297_13 Depth=1
	v_mov_b32_e32 v33, s23
	v_add_co_u32_e32 v34, vcc, s22, v20
	v_addc_co_u32_e32 v35, vcc, v33, v21, vcc
	v_add_co_u32_e32 v34, vcc, s19, v34
	v_addc_co_u32_e32 v35, vcc, 0, v35, vcc
	;; [unrolled: 2-line block ×4, first 2 shown]
	v_cndmask_b32_e64 v35, v33, v35, s[0:1]
	v_cndmask_b32_e64 v34, v36, v34, s[0:1]
	global_load_dwordx4 v[34:37], v[34:35], off
	v_mov_b32_e32 v33, s58
	v_add_co_u32_e32 v38, vcc, s57, v6
	v_addc_co_u32_e32 v39, vcc, 0, v33, vcc
	v_add_co_u32_e32 v33, vcc, 0, v12
	v_addc_co_u32_e32 v41, vcc, v3, v9, vcc
	;; [unrolled: 2-line block ×3, first 2 shown]
	v_ashrrev_i64 v[42:43], 29, v[40:41]
	v_mov_b32_e32 v33, s25
	v_add_co_u32_e32 v42, vcc, s24, v42
	v_addc_co_u32_e32 v43, vcc, v33, v43, vcc
	global_store_dwordx2 v[42:43], v[38:39], off
	v_ashrrev_i64 v[38:39], 28, v[40:41]
	v_mov_b32_e32 v33, s21
	v_add_co_u32_e32 v38, vcc, s20, v38
	v_addc_co_u32_e32 v39, vcc, v33, v39, vcc
	s_waitcnt vmcnt(1)
	global_store_dwordx4 v[38:39], v[34:37], off
	s_or_b64 exec, exec, s[50:51]
	s_and_saveexec_b64 s[50:51], s[42:43]
	s_cbranch_execz .LBB297_22
.LBB297_37:                             ;   in Loop: Header=BB297_13 Depth=1
	v_mov_b32_e32 v33, s23
	v_add_co_u32_e32 v34, vcc, s22, v18
	v_addc_co_u32_e32 v35, vcc, v33, v19, vcc
	v_add_co_u32_e32 v36, vcc, s22, v30
	v_addc_co_u32_e32 v33, vcc, v33, v31, vcc
	;; [unrolled: 2-line block ×3, first 2 shown]
	v_cndmask_b32_e64 v35, v33, v35, s[0:1]
	v_cndmask_b32_e64 v34, v36, v34, s[0:1]
	global_load_dwordx4 v[34:37], v[34:35], off
	v_mov_b32_e32 v33, s58
	v_add_co_u32_e32 v38, vcc, s57, v0
	v_addc_co_u32_e32 v39, vcc, 0, v33, vcc
	v_add_co_u32_e32 v40, vcc, 0, v10
	v_addc_co_u32_e32 v41, vcc, v3, v7, vcc
	v_ashrrev_i64 v[42:43], 29, v[40:41]
	v_mov_b32_e32 v33, s25
	v_add_co_u32_e32 v42, vcc, s24, v42
	v_addc_co_u32_e32 v43, vcc, v33, v43, vcc
	global_store_dwordx2 v[42:43], v[38:39], off
	v_ashrrev_i64 v[38:39], 28, v[40:41]
	v_mov_b32_e32 v33, s21
	v_add_co_u32_e32 v38, vcc, s20, v38
	v_addc_co_u32_e32 v39, vcc, v33, v39, vcc
	s_waitcnt vmcnt(1)
	global_store_dwordx4 v[38:39], v[34:37], off
	s_or_b64 exec, exec, s[50:51]
	s_and_saveexec_b64 s[50:51], s[44:45]
	s_cbranch_execz .LBB297_23
.LBB297_38:                             ;   in Loop: Header=BB297_13 Depth=1
	v_mov_b32_e32 v33, s23
	v_add_co_u32_e32 v34, vcc, s22, v18
	v_addc_co_u32_e32 v35, vcc, v33, v19, vcc
	v_add_co_u32_e32 v34, vcc, s56, v34
	v_addc_co_u32_e32 v35, vcc, 0, v35, vcc
	v_add_co_u32_e32 v36, vcc, s22, v28
	v_addc_co_u32_e32 v33, vcc, v33, v29, vcc
	v_add_co_u32_e32 v36, vcc, 0x400, v36
	v_addc_co_u32_e32 v33, vcc, 0, v33, vcc
	v_cndmask_b32_e64 v35, v33, v35, s[0:1]
	v_cndmask_b32_e64 v34, v36, v34, s[0:1]
	global_load_dwordx4 v[34:37], v[34:35], off
	v_mov_b32_e32 v33, s58
	v_add_co_u32_e32 v38, vcc, s57, v2
	v_addc_co_u32_e32 v39, vcc, 0, v33, vcc
	v_add_co_u32_e32 v33, vcc, 0, v10
	v_addc_co_u32_e32 v41, vcc, v3, v7, vcc
	;; [unrolled: 2-line block ×3, first 2 shown]
	v_ashrrev_i64 v[42:43], 29, v[40:41]
	v_mov_b32_e32 v33, s25
	v_add_co_u32_e32 v42, vcc, s24, v42
	v_addc_co_u32_e32 v43, vcc, v33, v43, vcc
	global_store_dwordx2 v[42:43], v[38:39], off
	v_ashrrev_i64 v[38:39], 28, v[40:41]
	v_mov_b32_e32 v33, s21
	v_add_co_u32_e32 v38, vcc, s20, v38
	v_addc_co_u32_e32 v39, vcc, v33, v39, vcc
	s_waitcnt vmcnt(1)
	global_store_dwordx4 v[38:39], v[34:37], off
	s_or_b64 exec, exec, s[50:51]
	s_and_saveexec_b64 s[50:51], s[46:47]
	s_cbranch_execz .LBB297_24
.LBB297_39:                             ;   in Loop: Header=BB297_13 Depth=1
	v_cndmask_b32_e64 v34, v26, v18, s[0:1]
	v_cndmask_b32_e64 v33, v27, v19, s[0:1]
	v_mov_b32_e32 v35, s23
	v_add_co_u32_e32 v34, vcc, s22, v34
	v_addc_co_u32_e32 v35, vcc, v35, v33, vcc
	global_load_dwordx4 v[34:37], v[34:35], off offset:1024
	v_mov_b32_e32 v33, s58
	v_add_co_u32_e32 v38, vcc, s57, v4
	v_addc_co_u32_e32 v39, vcc, 0, v33, vcc
	v_add_co_u32_e32 v33, vcc, 0, v10
	v_addc_co_u32_e32 v41, vcc, v3, v7, vcc
	;; [unrolled: 2-line block ×3, first 2 shown]
	v_ashrrev_i64 v[42:43], 29, v[40:41]
	v_mov_b32_e32 v33, s25
	v_add_co_u32_e32 v42, vcc, s24, v42
	v_addc_co_u32_e32 v43, vcc, v33, v43, vcc
	global_store_dwordx2 v[42:43], v[38:39], off
	v_ashrrev_i64 v[38:39], 28, v[40:41]
	v_mov_b32_e32 v33, s21
	v_add_co_u32_e32 v38, vcc, s20, v38
	v_addc_co_u32_e32 v39, vcc, v33, v39, vcc
	s_waitcnt vmcnt(1)
	global_store_dwordx4 v[38:39], v[34:37], off
	s_or_b64 exec, exec, s[50:51]
	s_and_saveexec_b64 s[50:51], s[6:7]
	s_cbranch_execz .LBB297_25
.LBB297_40:                             ;   in Loop: Header=BB297_13 Depth=1
	v_mov_b32_e32 v33, s23
	v_add_co_u32_e32 v34, vcc, s22, v18
	v_addc_co_u32_e32 v35, vcc, v33, v19, vcc
	v_add_co_u32_e32 v34, vcc, s19, v34
	v_addc_co_u32_e32 v35, vcc, 0, v35, vcc
	;; [unrolled: 2-line block ×4, first 2 shown]
	v_cndmask_b32_e64 v35, v33, v35, s[0:1]
	v_cndmask_b32_e64 v34, v36, v34, s[0:1]
	global_load_dwordx4 v[34:37], v[34:35], off
	v_mov_b32_e32 v33, s58
	v_add_co_u32_e32 v38, vcc, s57, v6
	v_addc_co_u32_e32 v39, vcc, 0, v33, vcc
	v_add_co_u32_e32 v33, vcc, 0, v10
	v_addc_co_u32_e32 v41, vcc, v3, v7, vcc
	;; [unrolled: 2-line block ×3, first 2 shown]
	v_ashrrev_i64 v[42:43], 29, v[40:41]
	v_mov_b32_e32 v33, s25
	v_add_co_u32_e32 v42, vcc, s24, v42
	v_addc_co_u32_e32 v43, vcc, v33, v43, vcc
	global_store_dwordx2 v[42:43], v[38:39], off
	v_ashrrev_i64 v[38:39], 28, v[40:41]
	v_mov_b32_e32 v33, s21
	v_add_co_u32_e32 v38, vcc, s20, v38
	v_addc_co_u32_e32 v39, vcc, v33, v39, vcc
	s_waitcnt vmcnt(1)
	global_store_dwordx4 v[38:39], v[34:37], off
	s_or_b64 exec, exec, s[50:51]
	s_and_saveexec_b64 s[50:51], s[4:5]
	s_cbranch_execz .LBB297_26
.LBB297_41:                             ;   in Loop: Header=BB297_13 Depth=1
	v_mov_b32_e32 v33, s23
	v_add_co_u32_e32 v34, vcc, s22, v16
	v_addc_co_u32_e32 v35, vcc, v33, v17, vcc
	v_add_co_u32_e32 v36, vcc, s22, v30
	v_addc_co_u32_e32 v33, vcc, v33, v31, vcc
	;; [unrolled: 2-line block ×3, first 2 shown]
	v_cndmask_b32_e64 v35, v33, v35, s[0:1]
	v_cndmask_b32_e64 v34, v36, v34, s[0:1]
	global_load_dwordx4 v[34:37], v[34:35], off
	v_mov_b32_e32 v33, s58
	v_add_co_u32_e32 v38, vcc, s57, v0
	v_addc_co_u32_e32 v39, vcc, 0, v33, vcc
	v_add_co_u32_e32 v33, vcc, 0, v8
	v_addc_co_u32_e32 v41, vcc, v3, v5, vcc
	;; [unrolled: 2-line block ×3, first 2 shown]
	v_ashrrev_i64 v[42:43], 29, v[40:41]
	v_mov_b32_e32 v33, s25
	v_add_co_u32_e32 v42, vcc, s24, v42
	v_addc_co_u32_e32 v43, vcc, v33, v43, vcc
	global_store_dwordx2 v[42:43], v[38:39], off
	v_ashrrev_i64 v[38:39], 28, v[40:41]
	v_mov_b32_e32 v33, s21
	v_add_co_u32_e32 v38, vcc, s20, v38
	v_addc_co_u32_e32 v39, vcc, v33, v39, vcc
	s_waitcnt vmcnt(1)
	global_store_dwordx4 v[38:39], v[34:37], off
	s_or_b64 exec, exec, s[50:51]
	s_and_saveexec_b64 s[50:51], s[10:11]
	s_cbranch_execz .LBB297_27
.LBB297_42:                             ;   in Loop: Header=BB297_13 Depth=1
	v_mov_b32_e32 v33, s23
	v_add_co_u32_e32 v34, vcc, s22, v16
	v_addc_co_u32_e32 v35, vcc, v33, v17, vcc
	v_add_co_u32_e32 v34, vcc, s56, v34
	v_addc_co_u32_e32 v35, vcc, 0, v35, vcc
	;; [unrolled: 2-line block ×4, first 2 shown]
	v_cndmask_b32_e64 v35, v33, v35, s[0:1]
	v_cndmask_b32_e64 v34, v36, v34, s[0:1]
	global_load_dwordx4 v[34:37], v[34:35], off
	v_mov_b32_e32 v33, s58
	v_add_co_u32_e32 v38, vcc, s57, v2
	v_addc_co_u32_e32 v39, vcc, 0, v33, vcc
	v_add_co_u32_e32 v33, vcc, 0, v8
	v_addc_co_u32_e32 v41, vcc, v3, v5, vcc
	;; [unrolled: 2-line block ×3, first 2 shown]
	v_ashrrev_i64 v[42:43], 29, v[40:41]
	v_mov_b32_e32 v33, s25
	v_add_co_u32_e32 v42, vcc, s24, v42
	v_addc_co_u32_e32 v43, vcc, v33, v43, vcc
	global_store_dwordx2 v[42:43], v[38:39], off
	v_ashrrev_i64 v[38:39], 28, v[40:41]
	v_mov_b32_e32 v33, s21
	v_add_co_u32_e32 v38, vcc, s20, v38
	v_addc_co_u32_e32 v39, vcc, v33, v39, vcc
	s_waitcnt vmcnt(1)
	global_store_dwordx4 v[38:39], v[34:37], off
	s_or_b64 exec, exec, s[50:51]
	s_and_saveexec_b64 s[50:51], s[12:13]
	s_cbranch_execz .LBB297_28
.LBB297_43:                             ;   in Loop: Header=BB297_13 Depth=1
	v_mov_b32_e32 v33, s23
	v_add_co_u32_e32 v34, vcc, s22, v16
	v_addc_co_u32_e32 v35, vcc, v33, v17, vcc
	v_add_co_u32_e32 v34, vcc, s55, v34
	v_addc_co_u32_e32 v35, vcc, 0, v35, vcc
	;; [unrolled: 2-line block ×4, first 2 shown]
	v_cndmask_b32_e64 v35, v33, v35, s[0:1]
	v_cndmask_b32_e64 v34, v36, v34, s[0:1]
	global_load_dwordx4 v[34:37], v[34:35], off
	v_mov_b32_e32 v33, s58
	v_add_co_u32_e32 v38, vcc, s57, v4
	v_addc_co_u32_e32 v39, vcc, 0, v33, vcc
	v_add_co_u32_e32 v33, vcc, 0, v8
	v_addc_co_u32_e32 v41, vcc, v3, v5, vcc
	;; [unrolled: 2-line block ×3, first 2 shown]
	v_ashrrev_i64 v[42:43], 29, v[40:41]
	v_mov_b32_e32 v33, s25
	v_add_co_u32_e32 v42, vcc, s24, v42
	v_addc_co_u32_e32 v43, vcc, v33, v43, vcc
	global_store_dwordx2 v[42:43], v[38:39], off
	v_ashrrev_i64 v[38:39], 28, v[40:41]
	v_mov_b32_e32 v33, s21
	v_add_co_u32_e32 v38, vcc, s20, v38
	v_addc_co_u32_e32 v39, vcc, v33, v39, vcc
	s_waitcnt vmcnt(1)
	global_store_dwordx4 v[38:39], v[34:37], off
	s_or_b64 exec, exec, s[50:51]
	s_and_saveexec_b64 s[50:51], s[8:9]
	s_cbranch_execz .LBB297_12
.LBB297_44:                             ;   in Loop: Header=BB297_13 Depth=1
	v_cndmask_b32_e64 v34, v24, v16, s[0:1]
	v_cndmask_b32_e64 v33, v25, v17, s[0:1]
	v_mov_b32_e32 v35, s23
	v_add_co_u32_e32 v34, vcc, s22, v34
	v_addc_co_u32_e32 v35, vcc, v35, v33, vcc
	global_load_dwordx4 v[34:37], v[34:35], off offset:1536
	v_mov_b32_e32 v33, s58
	v_add_co_u32_e32 v38, vcc, s57, v6
	v_addc_co_u32_e32 v39, vcc, 0, v33, vcc
	v_add_co_u32_e32 v40, vcc, 0, v8
	v_addc_co_u32_e32 v41, vcc, v3, v5, vcc
	v_ashrrev_i64 v[42:43], 29, v[40:41]
	v_mov_b32_e32 v33, s25
	v_add_co_u32_e32 v42, vcc, s24, v42
	v_addc_co_u32_e32 v43, vcc, v33, v43, vcc
	global_store_dwordx2 v[42:43], v[38:39], off
	v_ashrrev_i64 v[38:39], 28, v[40:41]
	v_mov_b32_e32 v33, s21
	v_add_co_u32_e32 v38, vcc, s20, v38
	v_addc_co_u32_e32 v39, vcc, v33, v39, vcc
	s_waitcnt vmcnt(1)
	global_store_dwordx4 v[38:39], v[34:37], off
	s_branch .LBB297_12
.LBB297_45:
	s_endpgm
	.section	.rodata,"a",@progbits
	.p2align	6, 0x0
	.amdhsa_kernel _ZN9rocsparseL35bsr2csr_block_per_row_33_256_kernelILj1024ELj128ELj32E21rocsparse_complex_numIdEilEEv20rocsparse_direction_T4_S4_21rocsparse_index_base_PKT2_PKT3_PKS4_S4_S5_PS6_PS9_PS4_
		.amdhsa_group_segment_fixed_size 0
		.amdhsa_private_segment_fixed_size 0
		.amdhsa_kernarg_size 96
		.amdhsa_user_sgpr_count 6
		.amdhsa_user_sgpr_private_segment_buffer 1
		.amdhsa_user_sgpr_dispatch_ptr 0
		.amdhsa_user_sgpr_queue_ptr 0
		.amdhsa_user_sgpr_kernarg_segment_ptr 1
		.amdhsa_user_sgpr_dispatch_id 0
		.amdhsa_user_sgpr_flat_scratch_init 0
		.amdhsa_user_sgpr_kernarg_preload_length 0
		.amdhsa_user_sgpr_kernarg_preload_offset 0
		.amdhsa_user_sgpr_private_segment_size 0
		.amdhsa_uses_dynamic_stack 0
		.amdhsa_system_sgpr_private_segment_wavefront_offset 0
		.amdhsa_system_sgpr_workgroup_id_x 1
		.amdhsa_system_sgpr_workgroup_id_y 0
		.amdhsa_system_sgpr_workgroup_id_z 0
		.amdhsa_system_sgpr_workgroup_info 0
		.amdhsa_system_vgpr_workitem_id 0
		.amdhsa_next_free_vgpr 44
		.amdhsa_next_free_sgpr 60
		.amdhsa_accum_offset 44
		.amdhsa_reserve_vcc 1
		.amdhsa_reserve_flat_scratch 0
		.amdhsa_float_round_mode_32 0
		.amdhsa_float_round_mode_16_64 0
		.amdhsa_float_denorm_mode_32 3
		.amdhsa_float_denorm_mode_16_64 3
		.amdhsa_dx10_clamp 1
		.amdhsa_ieee_mode 1
		.amdhsa_fp16_overflow 0
		.amdhsa_tg_split 0
		.amdhsa_exception_fp_ieee_invalid_op 0
		.amdhsa_exception_fp_denorm_src 0
		.amdhsa_exception_fp_ieee_div_zero 0
		.amdhsa_exception_fp_ieee_overflow 0
		.amdhsa_exception_fp_ieee_underflow 0
		.amdhsa_exception_fp_ieee_inexact 0
		.amdhsa_exception_int_div_zero 0
	.end_amdhsa_kernel
	.section	.text._ZN9rocsparseL35bsr2csr_block_per_row_33_256_kernelILj1024ELj128ELj32E21rocsparse_complex_numIdEilEEv20rocsparse_direction_T4_S4_21rocsparse_index_base_PKT2_PKT3_PKS4_S4_S5_PS6_PS9_PS4_,"axG",@progbits,_ZN9rocsparseL35bsr2csr_block_per_row_33_256_kernelILj1024ELj128ELj32E21rocsparse_complex_numIdEilEEv20rocsparse_direction_T4_S4_21rocsparse_index_base_PKT2_PKT3_PKS4_S4_S5_PS6_PS9_PS4_,comdat
.Lfunc_end297:
	.size	_ZN9rocsparseL35bsr2csr_block_per_row_33_256_kernelILj1024ELj128ELj32E21rocsparse_complex_numIdEilEEv20rocsparse_direction_T4_S4_21rocsparse_index_base_PKT2_PKT3_PKS4_S4_S5_PS6_PS9_PS4_, .Lfunc_end297-_ZN9rocsparseL35bsr2csr_block_per_row_33_256_kernelILj1024ELj128ELj32E21rocsparse_complex_numIdEilEEv20rocsparse_direction_T4_S4_21rocsparse_index_base_PKT2_PKT3_PKS4_S4_S5_PS6_PS9_PS4_
                                        ; -- End function
	.section	.AMDGPU.csdata,"",@progbits
; Kernel info:
; codeLenInByte = 3868
; NumSgprs: 64
; NumVgprs: 44
; NumAgprs: 0
; TotalNumVgprs: 44
; ScratchSize: 0
; MemoryBound: 0
; FloatMode: 240
; IeeeMode: 1
; LDSByteSize: 0 bytes/workgroup (compile time only)
; SGPRBlocks: 7
; VGPRBlocks: 5
; NumSGPRsForWavesPerEU: 64
; NumVGPRsForWavesPerEU: 44
; AccumOffset: 44
; Occupancy: 8
; WaveLimiterHint : 0
; COMPUTE_PGM_RSRC2:SCRATCH_EN: 0
; COMPUTE_PGM_RSRC2:USER_SGPR: 6
; COMPUTE_PGM_RSRC2:TRAP_HANDLER: 0
; COMPUTE_PGM_RSRC2:TGID_X_EN: 1
; COMPUTE_PGM_RSRC2:TGID_Y_EN: 0
; COMPUTE_PGM_RSRC2:TGID_Z_EN: 0
; COMPUTE_PGM_RSRC2:TIDIG_COMP_CNT: 0
; COMPUTE_PGM_RSRC3_GFX90A:ACCUM_OFFSET: 10
; COMPUTE_PGM_RSRC3_GFX90A:TG_SPLIT: 0
	.section	.text._ZN9rocsparseL35bsr2csr_block_per_row_33_256_kernelILj1024ELj256ELj32E21rocsparse_complex_numIdEilEEv20rocsparse_direction_T4_S4_21rocsparse_index_base_PKT2_PKT3_PKS4_S4_S5_PS6_PS9_PS4_,"axG",@progbits,_ZN9rocsparseL35bsr2csr_block_per_row_33_256_kernelILj1024ELj256ELj32E21rocsparse_complex_numIdEilEEv20rocsparse_direction_T4_S4_21rocsparse_index_base_PKT2_PKT3_PKS4_S4_S5_PS6_PS9_PS4_,comdat
	.globl	_ZN9rocsparseL35bsr2csr_block_per_row_33_256_kernelILj1024ELj256ELj32E21rocsparse_complex_numIdEilEEv20rocsparse_direction_T4_S4_21rocsparse_index_base_PKT2_PKT3_PKS4_S4_S5_PS6_PS9_PS4_ ; -- Begin function _ZN9rocsparseL35bsr2csr_block_per_row_33_256_kernelILj1024ELj256ELj32E21rocsparse_complex_numIdEilEEv20rocsparse_direction_T4_S4_21rocsparse_index_base_PKT2_PKT3_PKS4_S4_S5_PS6_PS9_PS4_
	.p2align	8
	.type	_ZN9rocsparseL35bsr2csr_block_per_row_33_256_kernelILj1024ELj256ELj32E21rocsparse_complex_numIdEilEEv20rocsparse_direction_T4_S4_21rocsparse_index_base_PKT2_PKT3_PKS4_S4_S5_PS6_PS9_PS4_,@function
_ZN9rocsparseL35bsr2csr_block_per_row_33_256_kernelILj1024ELj256ELj32E21rocsparse_complex_numIdEilEEv20rocsparse_direction_T4_S4_21rocsparse_index_base_PKT2_PKT3_PKS4_S4_S5_PS6_PS9_PS4_: ; @_ZN9rocsparseL35bsr2csr_block_per_row_33_256_kernelILj1024ELj256ELj32E21rocsparse_complex_numIdEilEEv20rocsparse_direction_T4_S4_21rocsparse_index_base_PKT2_PKT3_PKS4_S4_S5_PS6_PS9_PS4_
; %bb.0:
	s_load_dwordx2 s[0:1], s[4:5], 0x28
	s_load_dword s12, s[4:5], 0x40
	s_load_dwordx2 s[2:3], s[4:5], 0x50
	s_mov_b32 s7, 0
	s_lshl_b64 s[8:9], s[6:7], 2
	s_waitcnt lgkmcnt(0)
	s_add_u32 s0, s0, s8
	s_addc_u32 s1, s1, s9
	s_load_dwordx2 s[0:1], s[0:1], 0x0
	v_or_b32_e32 v1, s6, v0
	v_cmp_eq_u32_e32 vcc, 0, v1
	s_and_saveexec_b64 s[8:9], vcc
	s_cbranch_execz .LBB298_2
; %bb.1:
	v_mov_b32_e32 v1, 0
	v_mov_b32_e32 v2, s12
	global_store_dword v1, v2, s[2:3]
.LBB298_2:
	s_or_b64 exec, exec, s[8:9]
	s_load_dword s7, s[4:5], 0x18
	s_load_dwordx2 s[36:37], s[4:5], 0x38
                                        ; implicit-def: $vgpr88 : SGPR spill to VGPR lane
	v_mov_b32_e32 v17, 0
	v_lshrrev_b32_e32 v16, 5, v0
	v_lshlrev_b32_e32 v1, 2, v16
	s_waitcnt lgkmcnt(0)
	s_sub_i32 s38, s0, s7
	v_writelane_b32 v88, s7, 0
	s_sub_i32 s9, s1, s7
	s_mul_i32 s7, s36, s37
	s_mul_hi_u32 s8, s36, s36
	s_add_i32 s8, s8, s7
	s_add_i32 s89, s8, s7
	s_sub_i32 s33, s9, s38
	s_mul_i32 s7, s6, s37
	s_mul_hi_u32 s8, s6, s36
	s_mul_i32 s24, s33, s36
	s_add_i32 s7, s8, s7
	s_mul_i32 s6, s6, s36
	s_add_i32 s23, s24, s12
	s_lshl_b64 s[6:7], s[6:7], 2
	s_mul_i32 s88, s36, s36
	s_add_u32 s2, s2, s6
	s_mul_i32 s22, s88, s38
	v_writelane_b32 v88, s9, 1
	s_addc_u32 s3, s3, s7
	v_cmp_gt_i64_e32 vcc, s[36:37], v[16:17]
	v_writelane_b32 v88, s12, 2
	s_and_saveexec_b64 s[6:7], vcc
	s_cbranch_execz .LBB298_4
; %bb.3:
	v_mul_lo_u32 v2, v16, s24
	s_add_i32 s8, s23, s22
	v_add_u32_e32 v2, s8, v2
	global_store_dword v1, v2, s[2:3] offset:4
.LBB298_4:
	s_or_b64 exec, exec, s[6:7]
	s_add_u32 s18, s2, 4
	v_or_b32_e32 v18, 32, v16
	v_mov_b32_e32 v19, v17
	s_addc_u32 s19, s3, 0
	v_cmp_gt_i64_e64 s[2:3], s[36:37], v[18:19]
	s_and_saveexec_b64 s[6:7], s[2:3]
	s_cbranch_execz .LBB298_6
; %bb.5:
	v_mul_lo_u32 v2, v18, s24
	s_add_i32 s8, s23, s22
	v_add_u32_e32 v2, s8, v2
	global_store_dword v1, v2, s[18:19] offset:128
.LBB298_6:
	s_or_b64 exec, exec, s[6:7]
	v_or_b32_e32 v20, 64, v16
	v_mov_b32_e32 v21, v17
	v_cmp_gt_i64_e64 s[6:7], s[36:37], v[20:21]
	s_and_saveexec_b64 s[8:9], s[6:7]
	s_cbranch_execz .LBB298_8
; %bb.7:
	v_mul_lo_u32 v2, v20, s24
	s_add_i32 s10, s23, s22
	v_add_u32_e32 v2, s10, v2
	global_store_dword v1, v2, s[18:19] offset:256
.LBB298_8:
	s_or_b64 exec, exec, s[8:9]
	v_or_b32_e32 v2, 0x60, v16
	v_mov_b32_e32 v3, v17
	;; [unrolled: 12-line block ×6, first 2 shown]
	v_cmp_gt_i64_e64 s[16:17], s[36:37], v[2:3]
	s_and_saveexec_b64 s[20:21], s[16:17]
	s_cbranch_execz .LBB298_18
; %bb.17:
	v_mul_lo_u32 v2, v2, s24
	s_add_i32 s23, s23, s22
	v_add_u32_e32 v2, s23, v2
	global_store_dword v1, v2, s[18:19] offset:896
.LBB298_18:
	s_or_b64 exec, exec, s[20:21]
	s_cmp_lt_i32 s0, s1
	s_cbranch_scc0 .LBB298_149
; %bb.19:
	s_load_dword s0, s[4:5], 0x0
	v_and_b32_e32 v0, 31, v0
	v_mov_b32_e32 v1, 0
	v_cmp_gt_i64_e64 s[18:19], s[36:37], v[0:1]
	v_or_b32_e32 v2, 32, v0
	s_waitcnt lgkmcnt(0)
	s_cmp_eq_u32 s0, 0
	s_cselect_b64 s[0:1], -1, 0
	v_mov_b32_e32 v3, v1
	s_and_b64 s[44:45], vcc, s[18:19]
	v_cmp_gt_i64_e64 s[20:21], s[36:37], v[2:3]
	v_writelane_b32 v88, s44, 3
	v_or_b32_e32 v4, 64, v0
	v_mov_b32_e32 v5, v1
	v_writelane_b32 v88, s45, 4
	s_and_b64 s[44:45], vcc, s[20:21]
	v_cmp_gt_i64_e64 s[22:23], s[36:37], v[4:5]
	v_writelane_b32 v88, s44, 5
	v_or_b32_e32 v6, 0x60, v0
	v_mov_b32_e32 v7, v1
	v_writelane_b32 v88, s45, 6
	;; [unrolled: 6-line block ×6, first 2 shown]
	s_and_b64 s[44:45], vcc, s[30:31]
	v_cmp_gt_i64_e64 s[34:35], s[36:37], v[14:15]
	v_writelane_b32 v88, s44, 15
	v_writelane_b32 v88, s45, 16
	s_and_b64 s[44:45], vcc, s[34:35]
	v_writelane_b32 v88, s44, 17
	v_writelane_b32 v88, s45, 18
	s_and_b64 s[44:45], s[2:3], s[18:19]
	v_writelane_b32 v88, s44, 19
	v_writelane_b32 v88, s45, 20
	s_and_b64 s[44:45], s[2:3], s[20:21]
	;; [unrolled: 3-line block ×23, first 2 shown]
	s_and_b64 s[8:9], s[8:9], s[34:35]
	s_and_b64 s[50:51], s[10:11], s[18:19]
	;; [unrolled: 1-line block ×33, first 2 shown]
	s_load_dwordx2 s[34:35], s[4:5], 0x30
	s_ashr_i32 s39, s38, 31
	s_lshl_b64 s[44:45], s[38:39], 3
	v_or_b32_e32 v5, 0xe0, v16
	v_or_b32_e32 v7, 0xc0, v16
	v_or_b32_e32 v9, 0xa0, v16
	v_or_b32_e32 v11, 0x80, v16
	v_or_b32_e32 v13, 0x60, v16
	s_waitcnt lgkmcnt(0)
	s_add_u32 s34, s34, s44
	v_mul_lo_u32 v3, v16, s33
	v_mul_lo_u32 v5, v5, s33
	;; [unrolled: 1-line block ×8, first 2 shown]
	s_mul_hi_u32 s33, s36, s38
	s_mul_i32 s39, s36, s39
	s_addc_u32 s35, s35, s45
	s_add_i32 s33, s33, s39
	s_mul_i32 s39, s37, s38
	s_add_i32 s45, s33, s39
	s_mul_i32 s44, s36, s38
	s_lshl_b64 s[46:47], s[44:45], 4
	v_lshlrev_b32_e32 v62, 4, v16
	v_add_u32_e32 v19, s44, v3
	v_mov_b32_e32 v3, s47
	v_add_co_u32_e32 v21, vcc, s46, v62
	v_addc_co_u32_e32 v23, vcc, 0, v3, vcc
	s_movk_i32 s39, 0xe00
	v_add_co_u32_e32 v25, vcc, s39, v21
	v_addc_co_u32_e32 v27, vcc, 0, v23, vcc
	s_movk_i32 s33, 0xc00
	;; [unrolled: 3-line block ×6, first 2 shown]
	v_add_co_u32_e32 v42, vcc, s95, v21
	v_add_u32_e32 v5, s44, v5
	v_add_u32_e32 v7, s44, v7
	;; [unrolled: 1-line block ×7, first 2 shown]
	v_addc_co_u32_e32 v43, vcc, 0, v23, vcc
	s_movk_i32 s44, 0x200
	v_add_co_u32_e32 v44, vcc, s44, v21
	v_addc_co_u32_e32 v45, vcc, 0, v23, vcc
	v_lshlrev_b32_e32 v46, 4, v0
	v_add_co_u32_e32 v48, vcc, s46, v46
	v_addc_co_u32_e32 v49, vcc, 0, v3, vcc
	v_add_co_u32_e32 v50, vcc, s44, v48
	v_addc_co_u32_e32 v51, vcc, 0, v49, vcc
	;; [unrolled: 2-line block ×3, first 2 shown]
	v_add_co_u32_e32 v54, vcc, s94, v48
	v_mov_b32_e32 v47, v1
	v_addc_co_u32_e32 v55, vcc, 0, v49, vcc
	v_mov_b32_e32 v16, v1
	v_mov_b32_e32 v18, v1
	;; [unrolled: 1-line block ×9, first 2 shown]
	v_mul_lo_u32 v1, s36, v27
	v_mul_lo_u32 v27, s37, v25
	v_mad_u64_u32 v[32:33], s[46:47], s36, v25, v[46:47]
	v_add_co_u32_e32 v56, vcc, s93, v48
	v_add3_u32 v33, v27, v33, v1
	v_mul_lo_u32 v1, s36, v31
	v_mul_lo_u32 v25, s37, v29
	v_mad_u64_u32 v[34:35], s[46:47], s36, v29, v[46:47]
	v_addc_co_u32_e32 v57, vcc, 0, v49, vcc
	v_add3_u32 v35, v25, v35, v1
	v_mul_lo_u32 v1, s36, v37
	v_mul_lo_u32 v25, s37, v36
	v_mad_u64_u32 v[36:37], s[46:47], s36, v36, v[46:47]
	v_add_co_u32_e32 v58, vcc, s92, v48
	v_add3_u32 v37, v25, v37, v1
	v_mul_lo_u32 v1, s36, v39
	v_mul_lo_u32 v25, s37, v38
	v_mad_u64_u32 v[38:39], s[46:47], s36, v38, v[46:47]
	v_addc_co_u32_e32 v59, vcc, 0, v49, vcc
	v_add3_u32 v39, v25, v39, v1
	;; [unrolled: 10-line block ×4, first 2 shown]
	v_mul_lo_u32 v1, s36, v49
	v_mul_lo_u32 v21, s37, v48
	v_mad_u64_u32 v[48:49], s[46:47], s36, v48, v[62:63]
	v_add3_u32 v49, v21, v49, v1
	v_mul_lo_u32 v1, s36, v51
	v_mul_lo_u32 v21, s37, v50
	v_mad_u64_u32 v[50:51], s[46:47], s36, v50, v[62:63]
	v_add3_u32 v51, v21, v51, v1
	;; [unrolled: 4-line block ×3, first 2 shown]
	v_mul_lo_u32 v1, s36, v55
	v_mul_lo_u32 v21, s37, v54
	v_mad_u64_u32 v[54:55], s[46:47], s36, v54, v[62:63]
	s_load_dwordx2 s[40:41], s[4:5], 0x48
	s_load_dwordx2 s[42:43], s[4:5], 0x20
	v_add3_u32 v55, v21, v55, v1
	s_load_dwordx2 s[4:5], s[4:5], 0x58
	v_mul_lo_u32 v1, s36, v57
	v_mul_lo_u32 v21, s37, v56
	v_mad_u64_u32 v[56:57], s[46:47], s36, v56, v[62:63]
	v_add3_u32 v57, v21, v57, v1
	v_mul_lo_u32 v1, s36, v59
	v_mul_lo_u32 v21, s37, v58
	v_mad_u64_u32 v[58:59], s[46:47], s36, v58, v[62:63]
	v_add3_u32 v59, v21, v59, v1
	;; [unrolled: 4-line block ×3, first 2 shown]
	v_mul_lo_u32 v1, s36, v65
	v_mul_lo_u32 v21, s37, v64
	v_mad_u64_u32 v[62:63], s[46:47], s36, v64, v[62:63]
	v_mov_b32_e32 v3, v0
	v_mul_lo_u32 v5, s36, v5
	v_mul_lo_u32 v7, s36, v7
	;; [unrolled: 1-line block ×8, first 2 shown]
	s_lshl_b64 s[88:89], s[88:89], 4
	v_add3_u32 v63, v21, v63, v1
	v_mov_b32_e32 v1, 0x60
	v_mov_b32_e32 v21, 0x80
	;; [unrolled: 1-line block ×5, first 2 shown]
	s_mov_b32 s45, s36
	s_branch .LBB298_21
.LBB298_20:                             ;   in Loop: Header=BB298_21 Depth=1
	s_or_b64 exec, exec, s[90:91]
	v_mov_b32_e32 v29, s45
	v_add_co_u32_e32 v16, vcc, 0, v16
	v_addc_co_u32_e32 v5, vcc, v5, v29, vcc
	v_add_co_u32_e32 v18, vcc, 0, v18
	v_addc_co_u32_e32 v7, vcc, v7, v29, vcc
	;; [unrolled: 2-line block ×5, first 2 shown]
	s_add_i32 s38, s38, 1
	v_add_co_u32_e32 v26, vcc, 0, v26
	v_addc_co_u32_e32 v15, vcc, v15, v29, vcc
	s_add_u32 s34, s34, 8
	v_add_co_u32_e32 v28, vcc, 0, v28
	s_addc_u32 s35, s35, 0
	v_addc_co_u32_e32 v17, vcc, v17, v29, vcc
	s_add_u32 s42, s42, s88
	s_addc_u32 s43, s43, s89
	v_readlane_b32 s46, v88, 1
	v_add_co_u32_e32 v30, vcc, 0, v30
	s_cmp_ge_i32 s38, s46
	v_addc_co_u32_e32 v19, vcc, v19, v29, vcc
	s_cbranch_scc1 .LBB298_149
.LBB298_21:                             ; =>This Inner Loop Header: Depth=1
	s_load_dwordx2 s[46:47], s[34:35], 0x0
	v_readlane_b32 s90, v88, 0
	s_waitcnt lgkmcnt(0)
	s_sub_u32 s46, s46, s90
	s_subb_u32 s47, s47, 0
	s_mul_i32 s90, s46, s37
	s_mul_hi_u32 s91, s46, s36
	s_add_i32 s90, s91, s90
	s_mul_i32 s47, s47, s36
	s_mul_i32 s46, s46, s36
	s_add_i32 s90, s90, s47
	v_readlane_b32 s47, v88, 2
	s_add_u32 s46, s46, s47
	s_addc_u32 s47, s90, 0
	v_mov_b32_e32 v29, s47
	v_add_co_u32_e32 v64, vcc, s46, v0
	v_addc_co_u32_e32 v65, vcc, 0, v29, vcc
	s_mov_b64 s[90:91], exec
	v_readlane_b32 vcc_lo, v88, 3
	v_readlane_b32 vcc_hi, v88, 4
	s_and_b64 vcc, s[90:91], vcc
	s_mov_b64 exec, vcc
	s_cbranch_execz .LBB298_23
; %bb.22:                               ;   in Loop: Header=BB298_21 Depth=1
	v_cndmask_b32_e64 v31, v48, v46, s[0:1]
	v_cndmask_b32_e64 v29, v49, v47, s[0:1]
	v_mov_b32_e32 v67, s43
	v_add_co_u32_e32 v66, vcc, s42, v31
	v_addc_co_u32_e32 v67, vcc, v67, v29, vcc
	global_load_dwordx4 v[66:69], v[66:67], off
	v_add_co_u32_e32 v70, vcc, 0, v30
	v_addc_co_u32_e32 v71, vcc, v3, v19, vcc
	v_ashrrev_i64 v[72:73], 29, v[70:71]
	v_mov_b32_e32 v29, s5
	v_add_co_u32_e32 v72, vcc, s4, v72
	v_addc_co_u32_e32 v73, vcc, v29, v73, vcc
	v_ashrrev_i64 v[70:71], 28, v[70:71]
	v_mov_b32_e32 v29, s41
	v_add_co_u32_e32 v70, vcc, s40, v70
	v_addc_co_u32_e32 v71, vcc, v29, v71, vcc
	global_store_dwordx2 v[72:73], v[64:65], off
	s_waitcnt vmcnt(1)
	global_store_dwordx4 v[70:71], v[66:69], off
.LBB298_23:                             ;   in Loop: Header=BB298_21 Depth=1
	s_or_b64 exec, exec, s[90:91]
	v_mov_b32_e32 v29, s47
	v_add_co_u32_e32 v66, vcc, s46, v2
	v_addc_co_u32_e32 v67, vcc, 0, v29, vcc
	s_mov_b64 s[90:91], exec
	v_readlane_b32 vcc_lo, v88, 5
	v_readlane_b32 vcc_hi, v88, 6
	s_and_b64 vcc, s[90:91], vcc
	s_mov_b64 exec, vcc
	s_cbranch_execz .LBB298_25
; %bb.24:                               ;   in Loop: Header=BB298_21 Depth=1
	v_mov_b32_e32 v29, s43
	v_add_co_u32_e32 v31, vcc, s42, v46
	v_addc_co_u32_e32 v68, vcc, v29, v47, vcc
	v_add_co_u32_e32 v31, vcc, s44, v31
	v_addc_co_u32_e32 v68, vcc, 0, v68, vcc
	v_add_co_u32_e32 v70, vcc, s42, v50
	v_addc_co_u32_e32 v29, vcc, v29, v51, vcc
	v_cndmask_b32_e64 v69, v29, v68, s[0:1]
	v_cndmask_b32_e64 v68, v70, v31, s[0:1]
	global_load_dwordx4 v[68:71], v[68:69], off
	v_add_co_u32_e32 v29, vcc, 0, v30
	v_addc_co_u32_e32 v31, vcc, v3, v19, vcc
	v_add_co_u32_e32 v72, vcc, 0, v29
	v_addc_co_u32_e32 v73, vcc, 32, v31, vcc
	v_ashrrev_i64 v[74:75], 29, v[72:73]
	v_mov_b32_e32 v29, s5
	v_add_co_u32_e32 v74, vcc, s4, v74
	v_addc_co_u32_e32 v75, vcc, v29, v75, vcc
	v_ashrrev_i64 v[72:73], 28, v[72:73]
	v_mov_b32_e32 v29, s41
	v_add_co_u32_e32 v72, vcc, s40, v72
	v_addc_co_u32_e32 v73, vcc, v29, v73, vcc
	global_store_dwordx2 v[74:75], v[66:67], off
	s_waitcnt vmcnt(1)
	global_store_dwordx4 v[72:73], v[68:71], off
.LBB298_25:                             ;   in Loop: Header=BB298_21 Depth=1
	s_or_b64 exec, exec, s[90:91]
	v_mov_b32_e32 v29, s47
	v_add_co_u32_e32 v68, vcc, s46, v4
	v_addc_co_u32_e32 v69, vcc, 0, v29, vcc
	s_mov_b64 s[90:91], exec
	v_readlane_b32 vcc_lo, v88, 7
	v_readlane_b32 vcc_hi, v88, 8
	s_and_b64 vcc, s[90:91], vcc
	s_mov_b64 exec, vcc
	s_cbranch_execz .LBB298_27
; %bb.26:                               ;   in Loop: Header=BB298_21 Depth=1
	v_mov_b32_e32 v29, s43
	v_add_co_u32_e32 v31, vcc, s42, v46
	v_addc_co_u32_e32 v70, vcc, v29, v47, vcc
	v_add_co_u32_e32 v31, vcc, s95, v31
	v_addc_co_u32_e32 v70, vcc, 0, v70, vcc
	v_add_co_u32_e32 v72, vcc, s42, v52
	v_addc_co_u32_e32 v29, vcc, v29, v53, vcc
	v_cndmask_b32_e64 v71, v29, v70, s[0:1]
	v_cndmask_b32_e64 v70, v72, v31, s[0:1]
	global_load_dwordx4 v[70:73], v[70:71], off
	v_add_co_u32_e32 v29, vcc, 0, v30
	v_addc_co_u32_e32 v31, vcc, v3, v19, vcc
	v_add_co_u32_e32 v74, vcc, 0, v29
	v_addc_co_u32_e32 v75, vcc, 64, v31, vcc
	v_ashrrev_i64 v[76:77], 29, v[74:75]
	v_mov_b32_e32 v29, s5
	v_add_co_u32_e32 v76, vcc, s4, v76
	v_addc_co_u32_e32 v77, vcc, v29, v77, vcc
	v_ashrrev_i64 v[74:75], 28, v[74:75]
	v_mov_b32_e32 v29, s41
	v_add_co_u32_e32 v74, vcc, s40, v74
	v_addc_co_u32_e32 v75, vcc, v29, v75, vcc
	global_store_dwordx2 v[76:77], v[68:69], off
	s_waitcnt vmcnt(1)
	global_store_dwordx4 v[74:75], v[70:73], off
.LBB298_27:                             ;   in Loop: Header=BB298_21 Depth=1
	;; [unrolled: 37-line block ×6, first 2 shown]
	s_or_b64 exec, exec, s[90:91]
	v_mov_b32_e32 v29, s47
	v_add_co_u32_e32 v78, vcc, s46, v14
	v_addc_co_u32_e32 v79, vcc, 0, v29, vcc
	s_mov_b64 s[90:91], exec
	v_readlane_b32 s46, v88, 17
	v_readlane_b32 s47, v88, 18
	s_and_b64 s[46:47], s[90:91], s[46:47]
	s_mov_b64 exec, s[46:47]
	s_cbranch_execz .LBB298_37
; %bb.36:                               ;   in Loop: Header=BB298_21 Depth=1
	v_mov_b32_e32 v29, s43
	v_add_co_u32_e32 v31, vcc, s42, v46
	v_addc_co_u32_e32 v80, vcc, v29, v47, vcc
	v_add_co_u32_e32 v31, vcc, s39, v31
	v_addc_co_u32_e32 v80, vcc, 0, v80, vcc
	v_add_co_u32_e32 v82, vcc, s42, v62
	v_addc_co_u32_e32 v29, vcc, v29, v63, vcc
	v_cndmask_b32_e64 v81, v29, v80, s[0:1]
	v_cndmask_b32_e64 v80, v82, v31, s[0:1]
	global_load_dwordx4 v[80:83], v[80:81], off
	v_add_co_u32_e32 v29, vcc, 0, v30
	v_addc_co_u32_e32 v31, vcc, v3, v19, vcc
	v_add_co_u32_e32 v84, vcc, 0, v29
	v_addc_co_u32_e32 v85, vcc, v31, v27, vcc
	v_ashrrev_i64 v[86:87], 29, v[84:85]
	v_mov_b32_e32 v29, s5
	v_add_co_u32_e32 v86, vcc, s4, v86
	v_addc_co_u32_e32 v87, vcc, v29, v87, vcc
	v_ashrrev_i64 v[84:85], 28, v[84:85]
	v_mov_b32_e32 v29, s41
	v_add_co_u32_e32 v84, vcc, s40, v84
	v_addc_co_u32_e32 v85, vcc, v29, v85, vcc
	global_store_dwordx2 v[86:87], v[78:79], off
	s_waitcnt vmcnt(1)
	global_store_dwordx4 v[84:85], v[80:83], off
.LBB298_37:                             ;   in Loop: Header=BB298_21 Depth=1
	s_or_b64 exec, exec, s[90:91]
	s_mov_b64 s[90:91], exec
	v_readlane_b32 s46, v88, 19
	v_readlane_b32 s47, v88, 20
	s_and_b64 s[46:47], s[90:91], s[46:47]
	s_mov_b64 exec, s[46:47]
	s_cbranch_execz .LBB298_39
; %bb.38:                               ;   in Loop: Header=BB298_21 Depth=1
	v_mov_b32_e32 v29, s43
	v_add_co_u32_e32 v31, vcc, s42, v44
	v_addc_co_u32_e32 v80, vcc, v29, v45, vcc
	v_add_co_u32_e32 v81, vcc, s42, v48
	v_addc_co_u32_e32 v29, vcc, v29, v49, vcc
	;; [unrolled: 2-line block ×3, first 2 shown]
	v_cndmask_b32_e64 v81, v29, v80, s[0:1]
	v_cndmask_b32_e64 v80, v82, v31, s[0:1]
	global_load_dwordx4 v[80:83], v[80:81], off
	v_add_co_u32_e32 v84, vcc, 0, v28
	v_addc_co_u32_e32 v85, vcc, v3, v17, vcc
	v_ashrrev_i64 v[86:87], 29, v[84:85]
	v_mov_b32_e32 v29, s5
	v_add_co_u32_e32 v86, vcc, s4, v86
	v_addc_co_u32_e32 v87, vcc, v29, v87, vcc
	v_ashrrev_i64 v[84:85], 28, v[84:85]
	v_mov_b32_e32 v29, s41
	v_add_co_u32_e32 v84, vcc, s40, v84
	v_addc_co_u32_e32 v85, vcc, v29, v85, vcc
	global_store_dwordx2 v[86:87], v[64:65], off
	s_waitcnt vmcnt(1)
	global_store_dwordx4 v[84:85], v[80:83], off
.LBB298_39:                             ;   in Loop: Header=BB298_21 Depth=1
	s_or_b64 exec, exec, s[90:91]
	s_mov_b64 s[90:91], exec
	v_readlane_b32 s46, v88, 21
	v_readlane_b32 s47, v88, 22
	s_and_b64 s[46:47], s[90:91], s[46:47]
	s_mov_b64 exec, s[46:47]
	s_cbranch_execz .LBB298_41
; %bb.40:                               ;   in Loop: Header=BB298_21 Depth=1
	v_cndmask_b32_e64 v31, v50, v44, s[0:1]
	v_cndmask_b32_e64 v29, v51, v45, s[0:1]
	v_mov_b32_e32 v81, s43
	v_add_co_u32_e32 v80, vcc, s42, v31
	v_addc_co_u32_e32 v81, vcc, v81, v29, vcc
	global_load_dwordx4 v[80:83], v[80:81], off offset:512
	v_add_co_u32_e32 v29, vcc, 0, v28
	v_addc_co_u32_e32 v31, vcc, v3, v17, vcc
	v_add_co_u32_e32 v84, vcc, 0, v29
	v_addc_co_u32_e32 v85, vcc, 32, v31, vcc
	v_ashrrev_i64 v[86:87], 29, v[84:85]
	v_mov_b32_e32 v29, s5
	v_add_co_u32_e32 v86, vcc, s4, v86
	v_addc_co_u32_e32 v87, vcc, v29, v87, vcc
	v_ashrrev_i64 v[84:85], 28, v[84:85]
	v_mov_b32_e32 v29, s41
	v_add_co_u32_e32 v84, vcc, s40, v84
	v_addc_co_u32_e32 v85, vcc, v29, v85, vcc
	global_store_dwordx2 v[86:87], v[66:67], off
	s_waitcnt vmcnt(1)
	global_store_dwordx4 v[84:85], v[80:83], off
.LBB298_41:                             ;   in Loop: Header=BB298_21 Depth=1
	s_or_b64 exec, exec, s[90:91]
	s_mov_b64 s[90:91], exec
	v_readlane_b32 s46, v88, 23
	v_readlane_b32 s47, v88, 24
	s_and_b64 s[46:47], s[90:91], s[46:47]
	s_mov_b64 exec, s[46:47]
	s_cbranch_execz .LBB298_43
; %bb.42:                               ;   in Loop: Header=BB298_21 Depth=1
	v_mov_b32_e32 v29, s43
	v_add_co_u32_e32 v31, vcc, s42, v44
	v_addc_co_u32_e32 v80, vcc, v29, v45, vcc
	v_add_co_u32_e32 v31, vcc, s95, v31
	v_addc_co_u32_e32 v80, vcc, 0, v80, vcc
	v_add_co_u32_e32 v81, vcc, s42, v52
	v_addc_co_u32_e32 v29, vcc, v29, v53, vcc
	v_add_co_u32_e32 v82, vcc, 0x200, v81
	v_addc_co_u32_e32 v29, vcc, 0, v29, vcc
	v_cndmask_b32_e64 v81, v29, v80, s[0:1]
	v_cndmask_b32_e64 v80, v82, v31, s[0:1]
	global_load_dwordx4 v[80:83], v[80:81], off
	v_add_co_u32_e32 v29, vcc, 0, v28
	v_addc_co_u32_e32 v31, vcc, v3, v17, vcc
	v_add_co_u32_e32 v84, vcc, 0, v29
	v_addc_co_u32_e32 v85, vcc, 64, v31, vcc
	v_ashrrev_i64 v[86:87], 29, v[84:85]
	v_mov_b32_e32 v29, s5
	v_add_co_u32_e32 v86, vcc, s4, v86
	v_addc_co_u32_e32 v87, vcc, v29, v87, vcc
	v_ashrrev_i64 v[84:85], 28, v[84:85]
	v_mov_b32_e32 v29, s41
	v_add_co_u32_e32 v84, vcc, s40, v84
	v_addc_co_u32_e32 v85, vcc, v29, v85, vcc
	global_store_dwordx2 v[86:87], v[68:69], off
	s_waitcnt vmcnt(1)
	global_store_dwordx4 v[84:85], v[80:83], off
.LBB298_43:                             ;   in Loop: Header=BB298_21 Depth=1
	s_or_b64 exec, exec, s[90:91]
	s_mov_b64 s[90:91], exec
	v_readlane_b32 s46, v88, 25
	v_readlane_b32 s47, v88, 26
	s_and_b64 s[46:47], s[90:91], s[46:47]
	s_mov_b64 exec, s[46:47]
	s_cbranch_execz .LBB298_45
; %bb.44:                               ;   in Loop: Header=BB298_21 Depth=1
	v_mov_b32_e32 v29, s43
	v_add_co_u32_e32 v31, vcc, s42, v44
	v_addc_co_u32_e32 v80, vcc, v29, v45, vcc
	v_add_co_u32_e32 v31, vcc, s94, v31
	v_addc_co_u32_e32 v80, vcc, 0, v80, vcc
	v_add_co_u32_e32 v81, vcc, s42, v54
	v_addc_co_u32_e32 v29, vcc, v29, v55, vcc
	v_add_co_u32_e32 v82, vcc, 0x200, v81
	v_addc_co_u32_e32 v29, vcc, 0, v29, vcc
	v_cndmask_b32_e64 v81, v29, v80, s[0:1]
	v_cndmask_b32_e64 v80, v82, v31, s[0:1]
	global_load_dwordx4 v[80:83], v[80:81], off
	v_add_co_u32_e32 v29, vcc, 0, v28
	v_addc_co_u32_e32 v31, vcc, v3, v17, vcc
	v_add_co_u32_e32 v84, vcc, 0, v29
	v_addc_co_u32_e32 v85, vcc, v31, v1, vcc
	v_ashrrev_i64 v[86:87], 29, v[84:85]
	v_mov_b32_e32 v29, s5
	v_add_co_u32_e32 v86, vcc, s4, v86
	v_addc_co_u32_e32 v87, vcc, v29, v87, vcc
	v_ashrrev_i64 v[84:85], 28, v[84:85]
	v_mov_b32_e32 v29, s41
	v_add_co_u32_e32 v84, vcc, s40, v84
	v_addc_co_u32_e32 v85, vcc, v29, v85, vcc
	global_store_dwordx2 v[86:87], v[70:71], off
	s_waitcnt vmcnt(1)
	global_store_dwordx4 v[84:85], v[80:83], off
.LBB298_45:                             ;   in Loop: Header=BB298_21 Depth=1
	s_or_b64 exec, exec, s[90:91]
	s_mov_b64 s[90:91], exec
	v_readlane_b32 s46, v88, 27
	v_readlane_b32 s47, v88, 28
	s_and_b64 s[46:47], s[90:91], s[46:47]
	s_mov_b64 exec, s[46:47]
	s_cbranch_execz .LBB298_47
; %bb.46:                               ;   in Loop: Header=BB298_21 Depth=1
	v_mov_b32_e32 v29, s43
	v_add_co_u32_e32 v31, vcc, s42, v44
	v_addc_co_u32_e32 v80, vcc, v29, v45, vcc
	v_add_co_u32_e32 v31, vcc, s93, v31
	v_addc_co_u32_e32 v80, vcc, 0, v80, vcc
	v_add_co_u32_e32 v81, vcc, s42, v56
	v_addc_co_u32_e32 v29, vcc, v29, v57, vcc
	v_add_co_u32_e32 v82, vcc, 0x200, v81
	v_addc_co_u32_e32 v29, vcc, 0, v29, vcc
	v_cndmask_b32_e64 v81, v29, v80, s[0:1]
	v_cndmask_b32_e64 v80, v82, v31, s[0:1]
	global_load_dwordx4 v[80:83], v[80:81], off
	v_add_co_u32_e32 v29, vcc, 0, v28
	v_addc_co_u32_e32 v31, vcc, v3, v17, vcc
	v_add_co_u32_e32 v84, vcc, 0, v29
	v_addc_co_u32_e32 v85, vcc, v31, v21, vcc
	v_ashrrev_i64 v[86:87], 29, v[84:85]
	v_mov_b32_e32 v29, s5
	v_add_co_u32_e32 v86, vcc, s4, v86
	v_addc_co_u32_e32 v87, vcc, v29, v87, vcc
	v_ashrrev_i64 v[84:85], 28, v[84:85]
	v_mov_b32_e32 v29, s41
	v_add_co_u32_e32 v84, vcc, s40, v84
	v_addc_co_u32_e32 v85, vcc, v29, v85, vcc
	global_store_dwordx2 v[86:87], v[72:73], off
	s_waitcnt vmcnt(1)
	global_store_dwordx4 v[84:85], v[80:83], off
.LBB298_47:                             ;   in Loop: Header=BB298_21 Depth=1
	s_or_b64 exec, exec, s[90:91]
	s_mov_b64 s[90:91], exec
	v_readlane_b32 s46, v88, 29
	v_readlane_b32 s47, v88, 30
	s_and_b64 s[46:47], s[90:91], s[46:47]
	s_mov_b64 exec, s[46:47]
	s_cbranch_execz .LBB298_49
; %bb.48:                               ;   in Loop: Header=BB298_21 Depth=1
	v_mov_b32_e32 v29, s43
	v_add_co_u32_e32 v31, vcc, s42, v44
	v_addc_co_u32_e32 v80, vcc, v29, v45, vcc
	v_add_co_u32_e32 v31, vcc, s92, v31
	v_addc_co_u32_e32 v80, vcc, 0, v80, vcc
	v_add_co_u32_e32 v81, vcc, s42, v58
	v_addc_co_u32_e32 v29, vcc, v29, v59, vcc
	v_add_co_u32_e32 v82, vcc, 0x200, v81
	v_addc_co_u32_e32 v29, vcc, 0, v29, vcc
	v_cndmask_b32_e64 v81, v29, v80, s[0:1]
	v_cndmask_b32_e64 v80, v82, v31, s[0:1]
	global_load_dwordx4 v[80:83], v[80:81], off
	v_add_co_u32_e32 v29, vcc, 0, v28
	v_addc_co_u32_e32 v31, vcc, v3, v17, vcc
	v_add_co_u32_e32 v84, vcc, 0, v29
	v_addc_co_u32_e32 v85, vcc, v31, v23, vcc
	v_ashrrev_i64 v[86:87], 29, v[84:85]
	v_mov_b32_e32 v29, s5
	v_add_co_u32_e32 v86, vcc, s4, v86
	v_addc_co_u32_e32 v87, vcc, v29, v87, vcc
	v_ashrrev_i64 v[84:85], 28, v[84:85]
	v_mov_b32_e32 v29, s41
	v_add_co_u32_e32 v84, vcc, s40, v84
	v_addc_co_u32_e32 v85, vcc, v29, v85, vcc
	global_store_dwordx2 v[86:87], v[74:75], off
	s_waitcnt vmcnt(1)
	global_store_dwordx4 v[84:85], v[80:83], off
.LBB298_49:                             ;   in Loop: Header=BB298_21 Depth=1
	s_or_b64 exec, exec, s[90:91]
	s_mov_b64 s[90:91], exec
	v_readlane_b32 s46, v88, 31
	v_readlane_b32 s47, v88, 32
	s_and_b64 s[46:47], s[90:91], s[46:47]
	s_mov_b64 exec, s[46:47]
	s_cbranch_execz .LBB298_51
; %bb.50:                               ;   in Loop: Header=BB298_21 Depth=1
	v_mov_b32_e32 v29, s43
	v_add_co_u32_e32 v31, vcc, s42, v44
	v_addc_co_u32_e32 v80, vcc, v29, v45, vcc
	v_add_co_u32_e32 v31, vcc, s33, v31
	v_addc_co_u32_e32 v80, vcc, 0, v80, vcc
	v_add_co_u32_e32 v81, vcc, s42, v60
	v_addc_co_u32_e32 v29, vcc, v29, v61, vcc
	v_add_co_u32_e32 v82, vcc, 0x200, v81
	v_addc_co_u32_e32 v29, vcc, 0, v29, vcc
	v_cndmask_b32_e64 v81, v29, v80, s[0:1]
	v_cndmask_b32_e64 v80, v82, v31, s[0:1]
	global_load_dwordx4 v[80:83], v[80:81], off
	v_add_co_u32_e32 v29, vcc, 0, v28
	v_addc_co_u32_e32 v31, vcc, v3, v17, vcc
	v_add_co_u32_e32 v84, vcc, 0, v29
	v_addc_co_u32_e32 v85, vcc, v31, v25, vcc
	v_ashrrev_i64 v[86:87], 29, v[84:85]
	v_mov_b32_e32 v29, s5
	v_add_co_u32_e32 v86, vcc, s4, v86
	v_addc_co_u32_e32 v87, vcc, v29, v87, vcc
	v_ashrrev_i64 v[84:85], 28, v[84:85]
	v_mov_b32_e32 v29, s41
	v_add_co_u32_e32 v84, vcc, s40, v84
	v_addc_co_u32_e32 v85, vcc, v29, v85, vcc
	global_store_dwordx2 v[86:87], v[76:77], off
	s_waitcnt vmcnt(1)
	global_store_dwordx4 v[84:85], v[80:83], off
.LBB298_51:                             ;   in Loop: Header=BB298_21 Depth=1
	s_or_b64 exec, exec, s[90:91]
	s_mov_b64 s[90:91], exec
	v_readlane_b32 s46, v88, 33
	v_readlane_b32 s47, v88, 34
	s_and_b64 s[46:47], s[90:91], s[46:47]
	s_mov_b64 exec, s[46:47]
	s_cbranch_execz .LBB298_53
; %bb.52:                               ;   in Loop: Header=BB298_21 Depth=1
	v_mov_b32_e32 v29, s43
	v_add_co_u32_e32 v31, vcc, s42, v44
	v_addc_co_u32_e32 v80, vcc, v29, v45, vcc
	v_add_co_u32_e32 v31, vcc, s39, v31
	v_addc_co_u32_e32 v80, vcc, 0, v80, vcc
	v_add_co_u32_e32 v81, vcc, s42, v62
	v_addc_co_u32_e32 v29, vcc, v29, v63, vcc
	v_add_co_u32_e32 v82, vcc, 0x200, v81
	v_addc_co_u32_e32 v29, vcc, 0, v29, vcc
	v_cndmask_b32_e64 v81, v29, v80, s[0:1]
	v_cndmask_b32_e64 v80, v82, v31, s[0:1]
	global_load_dwordx4 v[80:83], v[80:81], off
	v_add_co_u32_e32 v29, vcc, 0, v28
	v_addc_co_u32_e32 v31, vcc, v3, v17, vcc
	v_add_co_u32_e32 v84, vcc, 0, v29
	v_addc_co_u32_e32 v85, vcc, v31, v27, vcc
	v_ashrrev_i64 v[86:87], 29, v[84:85]
	v_mov_b32_e32 v29, s5
	v_add_co_u32_e32 v86, vcc, s4, v86
	v_addc_co_u32_e32 v87, vcc, v29, v87, vcc
	v_ashrrev_i64 v[84:85], 28, v[84:85]
	v_mov_b32_e32 v29, s41
	v_add_co_u32_e32 v84, vcc, s40, v84
	v_addc_co_u32_e32 v85, vcc, v29, v85, vcc
	global_store_dwordx2 v[86:87], v[78:79], off
	s_waitcnt vmcnt(1)
	global_store_dwordx4 v[84:85], v[80:83], off
.LBB298_53:                             ;   in Loop: Header=BB298_21 Depth=1
	s_or_b64 exec, exec, s[90:91]
	s_mov_b64 s[90:91], exec
	v_readlane_b32 s46, v88, 35
	v_readlane_b32 s47, v88, 36
	s_and_b64 s[46:47], s[90:91], s[46:47]
	s_mov_b64 exec, s[46:47]
	s_cbranch_execz .LBB298_55
; %bb.54:                               ;   in Loop: Header=BB298_21 Depth=1
	v_mov_b32_e32 v29, s43
	v_add_co_u32_e32 v31, vcc, s42, v42
	v_addc_co_u32_e32 v80, vcc, v29, v43, vcc
	v_add_co_u32_e32 v81, vcc, s42, v48
	v_addc_co_u32_e32 v29, vcc, v29, v49, vcc
	;; [unrolled: 2-line block ×3, first 2 shown]
	v_cndmask_b32_e64 v81, v29, v80, s[0:1]
	v_cndmask_b32_e64 v80, v82, v31, s[0:1]
	global_load_dwordx4 v[80:83], v[80:81], off
	v_add_co_u32_e32 v84, vcc, 0, v26
	v_addc_co_u32_e32 v85, vcc, v3, v15, vcc
	v_ashrrev_i64 v[86:87], 29, v[84:85]
	v_mov_b32_e32 v29, s5
	v_add_co_u32_e32 v86, vcc, s4, v86
	v_addc_co_u32_e32 v87, vcc, v29, v87, vcc
	v_ashrrev_i64 v[84:85], 28, v[84:85]
	v_mov_b32_e32 v29, s41
	v_add_co_u32_e32 v84, vcc, s40, v84
	v_addc_co_u32_e32 v85, vcc, v29, v85, vcc
	global_store_dwordx2 v[86:87], v[64:65], off
	s_waitcnt vmcnt(1)
	global_store_dwordx4 v[84:85], v[80:83], off
.LBB298_55:                             ;   in Loop: Header=BB298_21 Depth=1
	s_or_b64 exec, exec, s[90:91]
	s_mov_b64 s[90:91], exec
	v_readlane_b32 s46, v88, 37
	v_readlane_b32 s47, v88, 38
	s_and_b64 s[46:47], s[90:91], s[46:47]
	s_mov_b64 exec, s[46:47]
	s_cbranch_execz .LBB298_57
; %bb.56:                               ;   in Loop: Header=BB298_21 Depth=1
	v_mov_b32_e32 v29, s43
	v_add_co_u32_e32 v31, vcc, s42, v42
	v_addc_co_u32_e32 v80, vcc, v29, v43, vcc
	v_add_co_u32_e32 v31, vcc, s44, v31
	v_addc_co_u32_e32 v80, vcc, 0, v80, vcc
	;; [unrolled: 2-line block ×4, first 2 shown]
	v_cndmask_b32_e64 v81, v29, v80, s[0:1]
	v_cndmask_b32_e64 v80, v82, v31, s[0:1]
	global_load_dwordx4 v[80:83], v[80:81], off
	v_add_co_u32_e32 v29, vcc, 0, v26
	v_addc_co_u32_e32 v31, vcc, v3, v15, vcc
	v_add_co_u32_e32 v84, vcc, 0, v29
	v_addc_co_u32_e32 v85, vcc, 32, v31, vcc
	v_ashrrev_i64 v[86:87], 29, v[84:85]
	v_mov_b32_e32 v29, s5
	v_add_co_u32_e32 v86, vcc, s4, v86
	v_addc_co_u32_e32 v87, vcc, v29, v87, vcc
	v_ashrrev_i64 v[84:85], 28, v[84:85]
	v_mov_b32_e32 v29, s41
	v_add_co_u32_e32 v84, vcc, s40, v84
	v_addc_co_u32_e32 v85, vcc, v29, v85, vcc
	global_store_dwordx2 v[86:87], v[66:67], off
	s_waitcnt vmcnt(1)
	global_store_dwordx4 v[84:85], v[80:83], off
.LBB298_57:                             ;   in Loop: Header=BB298_21 Depth=1
	s_or_b64 exec, exec, s[90:91]
	s_mov_b64 s[90:91], exec
	v_readlane_b32 s46, v88, 39
	v_readlane_b32 s47, v88, 40
	s_and_b64 s[46:47], s[90:91], s[46:47]
	s_mov_b64 exec, s[46:47]
	s_cbranch_execz .LBB298_59
; %bb.58:                               ;   in Loop: Header=BB298_21 Depth=1
	v_cndmask_b32_e64 v31, v52, v42, s[0:1]
	v_cndmask_b32_e64 v29, v53, v43, s[0:1]
	v_mov_b32_e32 v81, s43
	v_add_co_u32_e32 v80, vcc, s42, v31
	v_addc_co_u32_e32 v81, vcc, v81, v29, vcc
	global_load_dwordx4 v[80:83], v[80:81], off offset:1024
	v_add_co_u32_e32 v29, vcc, 0, v26
	v_addc_co_u32_e32 v31, vcc, v3, v15, vcc
	v_add_co_u32_e32 v84, vcc, 0, v29
	v_addc_co_u32_e32 v85, vcc, 64, v31, vcc
	v_ashrrev_i64 v[86:87], 29, v[84:85]
	v_mov_b32_e32 v29, s5
	v_add_co_u32_e32 v86, vcc, s4, v86
	v_addc_co_u32_e32 v87, vcc, v29, v87, vcc
	v_ashrrev_i64 v[84:85], 28, v[84:85]
	v_mov_b32_e32 v29, s41
	v_add_co_u32_e32 v84, vcc, s40, v84
	v_addc_co_u32_e32 v85, vcc, v29, v85, vcc
	global_store_dwordx2 v[86:87], v[68:69], off
	s_waitcnt vmcnt(1)
	global_store_dwordx4 v[84:85], v[80:83], off
.LBB298_59:                             ;   in Loop: Header=BB298_21 Depth=1
	s_or_b64 exec, exec, s[90:91]
	s_mov_b64 s[90:91], exec
	v_readlane_b32 s46, v88, 41
	v_readlane_b32 s47, v88, 42
	s_and_b64 s[46:47], s[90:91], s[46:47]
	s_mov_b64 exec, s[46:47]
	s_cbranch_execz .LBB298_61
; %bb.60:                               ;   in Loop: Header=BB298_21 Depth=1
	v_mov_b32_e32 v29, s43
	v_add_co_u32_e32 v31, vcc, s42, v42
	v_addc_co_u32_e32 v80, vcc, v29, v43, vcc
	v_add_co_u32_e32 v31, vcc, s94, v31
	v_addc_co_u32_e32 v80, vcc, 0, v80, vcc
	v_add_co_u32_e32 v81, vcc, s42, v54
	v_addc_co_u32_e32 v29, vcc, v29, v55, vcc
	v_add_co_u32_e32 v82, vcc, 0x400, v81
	v_addc_co_u32_e32 v29, vcc, 0, v29, vcc
	v_cndmask_b32_e64 v81, v29, v80, s[0:1]
	v_cndmask_b32_e64 v80, v82, v31, s[0:1]
	global_load_dwordx4 v[80:83], v[80:81], off
	v_add_co_u32_e32 v29, vcc, 0, v26
	v_addc_co_u32_e32 v31, vcc, v3, v15, vcc
	v_add_co_u32_e32 v84, vcc, 0, v29
	v_addc_co_u32_e32 v85, vcc, v31, v1, vcc
	v_ashrrev_i64 v[86:87], 29, v[84:85]
	v_mov_b32_e32 v29, s5
	v_add_co_u32_e32 v86, vcc, s4, v86
	v_addc_co_u32_e32 v87, vcc, v29, v87, vcc
	v_ashrrev_i64 v[84:85], 28, v[84:85]
	v_mov_b32_e32 v29, s41
	v_add_co_u32_e32 v84, vcc, s40, v84
	v_addc_co_u32_e32 v85, vcc, v29, v85, vcc
	global_store_dwordx2 v[86:87], v[70:71], off
	s_waitcnt vmcnt(1)
	global_store_dwordx4 v[84:85], v[80:83], off
.LBB298_61:                             ;   in Loop: Header=BB298_21 Depth=1
	s_or_b64 exec, exec, s[90:91]
	s_mov_b64 s[90:91], exec
	v_readlane_b32 s46, v88, 43
	v_readlane_b32 s47, v88, 44
	s_and_b64 s[46:47], s[90:91], s[46:47]
	s_mov_b64 exec, s[46:47]
	s_cbranch_execz .LBB298_63
; %bb.62:                               ;   in Loop: Header=BB298_21 Depth=1
	v_mov_b32_e32 v29, s43
	v_add_co_u32_e32 v31, vcc, s42, v42
	v_addc_co_u32_e32 v80, vcc, v29, v43, vcc
	v_add_co_u32_e32 v31, vcc, s93, v31
	v_addc_co_u32_e32 v80, vcc, 0, v80, vcc
	v_add_co_u32_e32 v81, vcc, s42, v56
	v_addc_co_u32_e32 v29, vcc, v29, v57, vcc
	v_add_co_u32_e32 v82, vcc, 0x400, v81
	v_addc_co_u32_e32 v29, vcc, 0, v29, vcc
	v_cndmask_b32_e64 v81, v29, v80, s[0:1]
	v_cndmask_b32_e64 v80, v82, v31, s[0:1]
	global_load_dwordx4 v[80:83], v[80:81], off
	v_add_co_u32_e32 v29, vcc, 0, v26
	v_addc_co_u32_e32 v31, vcc, v3, v15, vcc
	v_add_co_u32_e32 v84, vcc, 0, v29
	v_addc_co_u32_e32 v85, vcc, v31, v21, vcc
	v_ashrrev_i64 v[86:87], 29, v[84:85]
	v_mov_b32_e32 v29, s5
	v_add_co_u32_e32 v86, vcc, s4, v86
	v_addc_co_u32_e32 v87, vcc, v29, v87, vcc
	v_ashrrev_i64 v[84:85], 28, v[84:85]
	v_mov_b32_e32 v29, s41
	v_add_co_u32_e32 v84, vcc, s40, v84
	v_addc_co_u32_e32 v85, vcc, v29, v85, vcc
	global_store_dwordx2 v[86:87], v[72:73], off
	s_waitcnt vmcnt(1)
	global_store_dwordx4 v[84:85], v[80:83], off
.LBB298_63:                             ;   in Loop: Header=BB298_21 Depth=1
	;; [unrolled: 36-line block ×5, first 2 shown]
	s_or_b64 exec, exec, s[90:91]
	s_mov_b64 s[90:91], exec
	v_readlane_b32 s46, v88, 51
	v_readlane_b32 s47, v88, 52
	s_and_b64 s[46:47], s[90:91], s[46:47]
	s_mov_b64 exec, s[46:47]
	s_cbranch_execz .LBB298_71
; %bb.70:                               ;   in Loop: Header=BB298_21 Depth=1
	v_mov_b32_e32 v29, s43
	v_add_co_u32_e32 v31, vcc, s42, v40
	v_addc_co_u32_e32 v80, vcc, v29, v41, vcc
	v_add_co_u32_e32 v81, vcc, s42, v48
	v_addc_co_u32_e32 v29, vcc, v29, v49, vcc
	;; [unrolled: 2-line block ×3, first 2 shown]
	v_cndmask_b32_e64 v81, v29, v80, s[0:1]
	v_cndmask_b32_e64 v80, v82, v31, s[0:1]
	global_load_dwordx4 v[80:83], v[80:81], off
	v_add_co_u32_e32 v84, vcc, 0, v24
	v_addc_co_u32_e32 v85, vcc, v3, v13, vcc
	v_ashrrev_i64 v[86:87], 29, v[84:85]
	v_mov_b32_e32 v29, s5
	v_add_co_u32_e32 v86, vcc, s4, v86
	v_addc_co_u32_e32 v87, vcc, v29, v87, vcc
	v_ashrrev_i64 v[84:85], 28, v[84:85]
	v_mov_b32_e32 v29, s41
	v_add_co_u32_e32 v84, vcc, s40, v84
	v_addc_co_u32_e32 v85, vcc, v29, v85, vcc
	global_store_dwordx2 v[86:87], v[64:65], off
	s_waitcnt vmcnt(1)
	global_store_dwordx4 v[84:85], v[80:83], off
.LBB298_71:                             ;   in Loop: Header=BB298_21 Depth=1
	s_or_b64 exec, exec, s[90:91]
	s_mov_b64 s[90:91], exec
	v_readlane_b32 s46, v88, 53
	v_readlane_b32 s47, v88, 54
	s_and_b64 s[46:47], s[90:91], s[46:47]
	s_mov_b64 exec, s[46:47]
	s_cbranch_execz .LBB298_73
; %bb.72:                               ;   in Loop: Header=BB298_21 Depth=1
	v_mov_b32_e32 v29, s43
	v_add_co_u32_e32 v31, vcc, s42, v40
	v_addc_co_u32_e32 v80, vcc, v29, v41, vcc
	v_add_co_u32_e32 v31, vcc, s44, v31
	v_addc_co_u32_e32 v80, vcc, 0, v80, vcc
	;; [unrolled: 2-line block ×4, first 2 shown]
	v_cndmask_b32_e64 v81, v29, v80, s[0:1]
	v_cndmask_b32_e64 v80, v82, v31, s[0:1]
	global_load_dwordx4 v[80:83], v[80:81], off
	v_add_co_u32_e32 v29, vcc, 0, v24
	v_addc_co_u32_e32 v31, vcc, v3, v13, vcc
	v_add_co_u32_e32 v84, vcc, 0, v29
	v_addc_co_u32_e32 v85, vcc, 32, v31, vcc
	v_ashrrev_i64 v[86:87], 29, v[84:85]
	v_mov_b32_e32 v29, s5
	v_add_co_u32_e32 v86, vcc, s4, v86
	v_addc_co_u32_e32 v87, vcc, v29, v87, vcc
	v_ashrrev_i64 v[84:85], 28, v[84:85]
	v_mov_b32_e32 v29, s41
	v_add_co_u32_e32 v84, vcc, s40, v84
	v_addc_co_u32_e32 v85, vcc, v29, v85, vcc
	global_store_dwordx2 v[86:87], v[66:67], off
	s_waitcnt vmcnt(1)
	global_store_dwordx4 v[84:85], v[80:83], off
.LBB298_73:                             ;   in Loop: Header=BB298_21 Depth=1
	s_or_b64 exec, exec, s[90:91]
	s_mov_b64 s[90:91], exec
	v_readlane_b32 s46, v88, 55
	v_readlane_b32 s47, v88, 56
	s_and_b64 s[46:47], s[90:91], s[46:47]
	s_mov_b64 exec, s[46:47]
	s_cbranch_execz .LBB298_75
; %bb.74:                               ;   in Loop: Header=BB298_21 Depth=1
	v_mov_b32_e32 v29, s43
	v_add_co_u32_e32 v31, vcc, s42, v40
	v_addc_co_u32_e32 v80, vcc, v29, v41, vcc
	v_add_co_u32_e32 v31, vcc, s95, v31
	v_addc_co_u32_e32 v80, vcc, 0, v80, vcc
	;; [unrolled: 2-line block ×4, first 2 shown]
	v_cndmask_b32_e64 v81, v29, v80, s[0:1]
	v_cndmask_b32_e64 v80, v82, v31, s[0:1]
	global_load_dwordx4 v[80:83], v[80:81], off
	v_add_co_u32_e32 v29, vcc, 0, v24
	v_addc_co_u32_e32 v31, vcc, v3, v13, vcc
	v_add_co_u32_e32 v84, vcc, 0, v29
	v_addc_co_u32_e32 v85, vcc, 64, v31, vcc
	v_ashrrev_i64 v[86:87], 29, v[84:85]
	v_mov_b32_e32 v29, s5
	v_add_co_u32_e32 v86, vcc, s4, v86
	v_addc_co_u32_e32 v87, vcc, v29, v87, vcc
	v_ashrrev_i64 v[84:85], 28, v[84:85]
	v_mov_b32_e32 v29, s41
	v_add_co_u32_e32 v84, vcc, s40, v84
	v_addc_co_u32_e32 v85, vcc, v29, v85, vcc
	global_store_dwordx2 v[86:87], v[68:69], off
	s_waitcnt vmcnt(1)
	global_store_dwordx4 v[84:85], v[80:83], off
.LBB298_75:                             ;   in Loop: Header=BB298_21 Depth=1
	s_or_b64 exec, exec, s[90:91]
	s_mov_b64 s[90:91], exec
	v_readlane_b32 s46, v88, 57
	v_readlane_b32 s47, v88, 58
	s_and_b64 s[46:47], s[90:91], s[46:47]
	s_mov_b64 exec, s[46:47]
	s_cbranch_execz .LBB298_77
; %bb.76:                               ;   in Loop: Header=BB298_21 Depth=1
	v_cndmask_b32_e64 v31, v54, v40, s[0:1]
	v_cndmask_b32_e64 v29, v55, v41, s[0:1]
	v_mov_b32_e32 v81, s43
	v_add_co_u32_e32 v80, vcc, s42, v31
	v_addc_co_u32_e32 v81, vcc, v81, v29, vcc
	global_load_dwordx4 v[80:83], v[80:81], off offset:1536
	v_add_co_u32_e32 v29, vcc, 0, v24
	v_addc_co_u32_e32 v31, vcc, v3, v13, vcc
	v_add_co_u32_e32 v84, vcc, 0, v29
	v_addc_co_u32_e32 v85, vcc, v31, v1, vcc
	v_ashrrev_i64 v[86:87], 29, v[84:85]
	v_mov_b32_e32 v29, s5
	v_add_co_u32_e32 v86, vcc, s4, v86
	v_addc_co_u32_e32 v87, vcc, v29, v87, vcc
	v_ashrrev_i64 v[84:85], 28, v[84:85]
	v_mov_b32_e32 v29, s41
	v_add_co_u32_e32 v84, vcc, s40, v84
	v_addc_co_u32_e32 v85, vcc, v29, v85, vcc
	global_store_dwordx2 v[86:87], v[70:71], off
	s_waitcnt vmcnt(1)
	global_store_dwordx4 v[84:85], v[80:83], off
.LBB298_77:                             ;   in Loop: Header=BB298_21 Depth=1
	s_or_b64 exec, exec, s[90:91]
	s_mov_b64 s[90:91], exec
	v_readlane_b32 s46, v88, 59
	v_readlane_b32 s47, v88, 60
	s_and_b64 s[46:47], s[90:91], s[46:47]
	s_mov_b64 exec, s[46:47]
	s_cbranch_execz .LBB298_79
; %bb.78:                               ;   in Loop: Header=BB298_21 Depth=1
	v_mov_b32_e32 v29, s43
	v_add_co_u32_e32 v31, vcc, s42, v40
	v_addc_co_u32_e32 v80, vcc, v29, v41, vcc
	v_add_co_u32_e32 v31, vcc, s93, v31
	v_addc_co_u32_e32 v80, vcc, 0, v80, vcc
	;; [unrolled: 2-line block ×4, first 2 shown]
	v_cndmask_b32_e64 v81, v29, v80, s[0:1]
	v_cndmask_b32_e64 v80, v82, v31, s[0:1]
	global_load_dwordx4 v[80:83], v[80:81], off
	v_add_co_u32_e32 v29, vcc, 0, v24
	v_addc_co_u32_e32 v31, vcc, v3, v13, vcc
	v_add_co_u32_e32 v84, vcc, 0, v29
	v_addc_co_u32_e32 v85, vcc, v31, v21, vcc
	v_ashrrev_i64 v[86:87], 29, v[84:85]
	v_mov_b32_e32 v29, s5
	v_add_co_u32_e32 v86, vcc, s4, v86
	v_addc_co_u32_e32 v87, vcc, v29, v87, vcc
	v_ashrrev_i64 v[84:85], 28, v[84:85]
	v_mov_b32_e32 v29, s41
	v_add_co_u32_e32 v84, vcc, s40, v84
	v_addc_co_u32_e32 v85, vcc, v29, v85, vcc
	global_store_dwordx2 v[86:87], v[72:73], off
	s_waitcnt vmcnt(1)
	global_store_dwordx4 v[84:85], v[80:83], off
.LBB298_79:                             ;   in Loop: Header=BB298_21 Depth=1
	s_or_b64 exec, exec, s[90:91]
	s_mov_b64 s[90:91], exec
	v_readlane_b32 s46, v88, 61
	v_readlane_b32 s47, v88, 62
	s_and_b64 s[46:47], s[90:91], s[46:47]
	s_mov_b64 exec, s[46:47]
	s_cbranch_execnz .LBB298_114
; %bb.80:                               ;   in Loop: Header=BB298_21 Depth=1
	s_or_b64 exec, exec, s[90:91]
	s_and_saveexec_b64 s[90:91], s[48:49]
	s_cbranch_execnz .LBB298_115
.LBB298_81:                             ;   in Loop: Header=BB298_21 Depth=1
	s_or_b64 exec, exec, s[90:91]
	s_and_saveexec_b64 s[90:91], s[8:9]
	s_cbranch_execnz .LBB298_116
.LBB298_82:                             ;   in Loop: Header=BB298_21 Depth=1
	s_or_b64 exec, exec, s[90:91]
	s_and_saveexec_b64 s[90:91], s[50:51]
	s_cbranch_execnz .LBB298_117
.LBB298_83:                             ;   in Loop: Header=BB298_21 Depth=1
	s_or_b64 exec, exec, s[90:91]
	s_and_saveexec_b64 s[90:91], s[52:53]
	s_cbranch_execnz .LBB298_118
.LBB298_84:                             ;   in Loop: Header=BB298_21 Depth=1
	s_or_b64 exec, exec, s[90:91]
	s_and_saveexec_b64 s[90:91], s[54:55]
	s_cbranch_execnz .LBB298_119
.LBB298_85:                             ;   in Loop: Header=BB298_21 Depth=1
	s_or_b64 exec, exec, s[90:91]
	s_and_saveexec_b64 s[90:91], s[56:57]
	s_cbranch_execnz .LBB298_120
.LBB298_86:                             ;   in Loop: Header=BB298_21 Depth=1
	s_or_b64 exec, exec, s[90:91]
	s_and_saveexec_b64 s[90:91], s[58:59]
	s_cbranch_execnz .LBB298_121
.LBB298_87:                             ;   in Loop: Header=BB298_21 Depth=1
	s_or_b64 exec, exec, s[90:91]
	s_and_saveexec_b64 s[90:91], s[60:61]
	s_cbranch_execnz .LBB298_122
.LBB298_88:                             ;   in Loop: Header=BB298_21 Depth=1
	s_or_b64 exec, exec, s[90:91]
	s_and_saveexec_b64 s[90:91], s[62:63]
	s_cbranch_execnz .LBB298_123
.LBB298_89:                             ;   in Loop: Header=BB298_21 Depth=1
	s_or_b64 exec, exec, s[90:91]
	s_and_saveexec_b64 s[90:91], s[10:11]
	s_cbranch_execnz .LBB298_124
.LBB298_90:                             ;   in Loop: Header=BB298_21 Depth=1
	s_or_b64 exec, exec, s[90:91]
	s_and_saveexec_b64 s[90:91], s[64:65]
	s_cbranch_execnz .LBB298_125
.LBB298_91:                             ;   in Loop: Header=BB298_21 Depth=1
	s_or_b64 exec, exec, s[90:91]
	s_and_saveexec_b64 s[90:91], s[66:67]
	s_cbranch_execnz .LBB298_126
.LBB298_92:                             ;   in Loop: Header=BB298_21 Depth=1
	s_or_b64 exec, exec, s[90:91]
	s_and_saveexec_b64 s[90:91], s[68:69]
	s_cbranch_execnz .LBB298_127
.LBB298_93:                             ;   in Loop: Header=BB298_21 Depth=1
	s_or_b64 exec, exec, s[90:91]
	s_and_saveexec_b64 s[90:91], s[70:71]
	s_cbranch_execnz .LBB298_128
.LBB298_94:                             ;   in Loop: Header=BB298_21 Depth=1
	s_or_b64 exec, exec, s[90:91]
	s_and_saveexec_b64 s[90:91], s[72:73]
	s_cbranch_execnz .LBB298_129
.LBB298_95:                             ;   in Loop: Header=BB298_21 Depth=1
	s_or_b64 exec, exec, s[90:91]
	s_and_saveexec_b64 s[90:91], s[2:3]
	s_cbranch_execnz .LBB298_130
.LBB298_96:                             ;   in Loop: Header=BB298_21 Depth=1
	s_or_b64 exec, exec, s[90:91]
	s_and_saveexec_b64 s[90:91], s[74:75]
	s_cbranch_execnz .LBB298_131
.LBB298_97:                             ;   in Loop: Header=BB298_21 Depth=1
	s_or_b64 exec, exec, s[90:91]
	s_and_saveexec_b64 s[90:91], s[12:13]
	s_cbranch_execnz .LBB298_132
.LBB298_98:                             ;   in Loop: Header=BB298_21 Depth=1
	s_or_b64 exec, exec, s[90:91]
	s_and_saveexec_b64 s[90:91], s[76:77]
	s_cbranch_execnz .LBB298_133
.LBB298_99:                             ;   in Loop: Header=BB298_21 Depth=1
	s_or_b64 exec, exec, s[90:91]
	s_and_saveexec_b64 s[90:91], s[78:79]
	s_cbranch_execnz .LBB298_134
.LBB298_100:                            ;   in Loop: Header=BB298_21 Depth=1
	s_or_b64 exec, exec, s[90:91]
	s_and_saveexec_b64 s[90:91], s[80:81]
	s_cbranch_execnz .LBB298_135
.LBB298_101:                            ;   in Loop: Header=BB298_21 Depth=1
	s_or_b64 exec, exec, s[90:91]
	s_and_saveexec_b64 s[90:91], s[82:83]
	s_cbranch_execnz .LBB298_136
.LBB298_102:                            ;   in Loop: Header=BB298_21 Depth=1
	s_or_b64 exec, exec, s[90:91]
	s_and_saveexec_b64 s[90:91], s[84:85]
	s_cbranch_execnz .LBB298_137
.LBB298_103:                            ;   in Loop: Header=BB298_21 Depth=1
	s_or_b64 exec, exec, s[90:91]
	s_and_saveexec_b64 s[90:91], s[86:87]
	s_cbranch_execnz .LBB298_138
.LBB298_104:                            ;   in Loop: Header=BB298_21 Depth=1
	s_or_b64 exec, exec, s[90:91]
	s_and_saveexec_b64 s[90:91], s[6:7]
	s_cbranch_execnz .LBB298_139
.LBB298_105:                            ;   in Loop: Header=BB298_21 Depth=1
	s_or_b64 exec, exec, s[90:91]
	s_and_saveexec_b64 s[90:91], s[14:15]
	s_cbranch_execnz .LBB298_140
.LBB298_106:                            ;   in Loop: Header=BB298_21 Depth=1
	s_or_b64 exec, exec, s[90:91]
	s_and_saveexec_b64 s[90:91], s[18:19]
	s_cbranch_execnz .LBB298_141
.LBB298_107:                            ;   in Loop: Header=BB298_21 Depth=1
	s_or_b64 exec, exec, s[90:91]
	s_and_saveexec_b64 s[90:91], s[20:21]
	s_cbranch_execnz .LBB298_142
.LBB298_108:                            ;   in Loop: Header=BB298_21 Depth=1
	s_or_b64 exec, exec, s[90:91]
	s_and_saveexec_b64 s[90:91], s[22:23]
	s_cbranch_execnz .LBB298_143
.LBB298_109:                            ;   in Loop: Header=BB298_21 Depth=1
	s_or_b64 exec, exec, s[90:91]
	s_and_saveexec_b64 s[90:91], s[24:25]
	s_cbranch_execnz .LBB298_144
.LBB298_110:                            ;   in Loop: Header=BB298_21 Depth=1
	s_or_b64 exec, exec, s[90:91]
	s_and_saveexec_b64 s[90:91], s[26:27]
	s_cbranch_execnz .LBB298_145
.LBB298_111:                            ;   in Loop: Header=BB298_21 Depth=1
	s_or_b64 exec, exec, s[90:91]
	s_and_saveexec_b64 s[90:91], s[28:29]
	s_cbranch_execnz .LBB298_146
.LBB298_112:                            ;   in Loop: Header=BB298_21 Depth=1
	s_or_b64 exec, exec, s[90:91]
	s_and_saveexec_b64 s[90:91], s[30:31]
	s_cbranch_execnz .LBB298_147
.LBB298_113:                            ;   in Loop: Header=BB298_21 Depth=1
	s_or_b64 exec, exec, s[90:91]
	s_and_saveexec_b64 s[90:91], s[16:17]
	s_cbranch_execz .LBB298_20
	s_branch .LBB298_148
.LBB298_114:                            ;   in Loop: Header=BB298_21 Depth=1
	v_mov_b32_e32 v29, s43
	v_add_co_u32_e32 v31, vcc, s42, v40
	v_addc_co_u32_e32 v80, vcc, v29, v41, vcc
	v_add_co_u32_e32 v31, vcc, s92, v31
	v_addc_co_u32_e32 v80, vcc, 0, v80, vcc
	;; [unrolled: 2-line block ×4, first 2 shown]
	v_cndmask_b32_e64 v81, v29, v80, s[0:1]
	v_cndmask_b32_e64 v80, v82, v31, s[0:1]
	global_load_dwordx4 v[80:83], v[80:81], off
	v_add_co_u32_e32 v29, vcc, 0, v24
	v_addc_co_u32_e32 v31, vcc, v3, v13, vcc
	v_add_co_u32_e32 v84, vcc, 0, v29
	v_addc_co_u32_e32 v85, vcc, v31, v23, vcc
	v_ashrrev_i64 v[86:87], 29, v[84:85]
	v_mov_b32_e32 v29, s5
	v_add_co_u32_e32 v86, vcc, s4, v86
	v_addc_co_u32_e32 v87, vcc, v29, v87, vcc
	v_ashrrev_i64 v[84:85], 28, v[84:85]
	v_mov_b32_e32 v29, s41
	v_add_co_u32_e32 v84, vcc, s40, v84
	v_addc_co_u32_e32 v85, vcc, v29, v85, vcc
	global_store_dwordx2 v[86:87], v[74:75], off
	s_waitcnt vmcnt(1)
	global_store_dwordx4 v[84:85], v[80:83], off
	s_or_b64 exec, exec, s[90:91]
	s_and_saveexec_b64 s[90:91], s[48:49]
	s_cbranch_execz .LBB298_81
.LBB298_115:                            ;   in Loop: Header=BB298_21 Depth=1
	v_mov_b32_e32 v29, s43
	v_add_co_u32_e32 v31, vcc, s42, v40
	v_addc_co_u32_e32 v80, vcc, v29, v41, vcc
	v_add_co_u32_e32 v31, vcc, s33, v31
	v_addc_co_u32_e32 v80, vcc, 0, v80, vcc
	;; [unrolled: 2-line block ×4, first 2 shown]
	v_cndmask_b32_e64 v81, v29, v80, s[0:1]
	v_cndmask_b32_e64 v80, v82, v31, s[0:1]
	global_load_dwordx4 v[80:83], v[80:81], off
	v_add_co_u32_e32 v29, vcc, 0, v24
	v_addc_co_u32_e32 v31, vcc, v3, v13, vcc
	v_add_co_u32_e32 v84, vcc, 0, v29
	v_addc_co_u32_e32 v85, vcc, v31, v25, vcc
	v_ashrrev_i64 v[86:87], 29, v[84:85]
	v_mov_b32_e32 v29, s5
	v_add_co_u32_e32 v86, vcc, s4, v86
	v_addc_co_u32_e32 v87, vcc, v29, v87, vcc
	v_ashrrev_i64 v[84:85], 28, v[84:85]
	v_mov_b32_e32 v29, s41
	v_add_co_u32_e32 v84, vcc, s40, v84
	v_addc_co_u32_e32 v85, vcc, v29, v85, vcc
	global_store_dwordx2 v[86:87], v[76:77], off
	s_waitcnt vmcnt(1)
	global_store_dwordx4 v[84:85], v[80:83], off
	s_or_b64 exec, exec, s[90:91]
	s_and_saveexec_b64 s[90:91], s[8:9]
	s_cbranch_execz .LBB298_82
.LBB298_116:                            ;   in Loop: Header=BB298_21 Depth=1
	v_mov_b32_e32 v29, s43
	v_add_co_u32_e32 v31, vcc, s42, v40
	v_addc_co_u32_e32 v80, vcc, v29, v41, vcc
	v_add_co_u32_e32 v31, vcc, s39, v31
	v_addc_co_u32_e32 v80, vcc, 0, v80, vcc
	;; [unrolled: 2-line block ×4, first 2 shown]
	v_cndmask_b32_e64 v81, v29, v80, s[0:1]
	v_cndmask_b32_e64 v80, v82, v31, s[0:1]
	global_load_dwordx4 v[80:83], v[80:81], off
	v_add_co_u32_e32 v29, vcc, 0, v24
	v_addc_co_u32_e32 v31, vcc, v3, v13, vcc
	v_add_co_u32_e32 v84, vcc, 0, v29
	v_addc_co_u32_e32 v85, vcc, v31, v27, vcc
	v_ashrrev_i64 v[86:87], 29, v[84:85]
	v_mov_b32_e32 v29, s5
	v_add_co_u32_e32 v86, vcc, s4, v86
	v_addc_co_u32_e32 v87, vcc, v29, v87, vcc
	v_ashrrev_i64 v[84:85], 28, v[84:85]
	v_mov_b32_e32 v29, s41
	v_add_co_u32_e32 v84, vcc, s40, v84
	v_addc_co_u32_e32 v85, vcc, v29, v85, vcc
	global_store_dwordx2 v[86:87], v[78:79], off
	s_waitcnt vmcnt(1)
	global_store_dwordx4 v[84:85], v[80:83], off
	s_or_b64 exec, exec, s[90:91]
	s_and_saveexec_b64 s[90:91], s[50:51]
	s_cbranch_execz .LBB298_83
.LBB298_117:                            ;   in Loop: Header=BB298_21 Depth=1
	v_mov_b32_e32 v29, s43
	v_add_co_u32_e32 v31, vcc, s42, v38
	v_addc_co_u32_e32 v80, vcc, v29, v39, vcc
	v_add_co_u32_e32 v81, vcc, s42, v48
	v_addc_co_u32_e32 v29, vcc, v29, v49, vcc
	;; [unrolled: 2-line block ×3, first 2 shown]
	v_cndmask_b32_e64 v81, v29, v80, s[0:1]
	v_cndmask_b32_e64 v80, v82, v31, s[0:1]
	global_load_dwordx4 v[80:83], v[80:81], off
	v_add_co_u32_e32 v84, vcc, 0, v22
	v_addc_co_u32_e32 v85, vcc, v3, v11, vcc
	v_ashrrev_i64 v[86:87], 29, v[84:85]
	v_mov_b32_e32 v29, s5
	v_add_co_u32_e32 v86, vcc, s4, v86
	v_addc_co_u32_e32 v87, vcc, v29, v87, vcc
	v_ashrrev_i64 v[84:85], 28, v[84:85]
	v_mov_b32_e32 v29, s41
	v_add_co_u32_e32 v84, vcc, s40, v84
	v_addc_co_u32_e32 v85, vcc, v29, v85, vcc
	global_store_dwordx2 v[86:87], v[64:65], off
	s_waitcnt vmcnt(1)
	global_store_dwordx4 v[84:85], v[80:83], off
	s_or_b64 exec, exec, s[90:91]
	s_and_saveexec_b64 s[90:91], s[52:53]
	s_cbranch_execz .LBB298_84
.LBB298_118:                            ;   in Loop: Header=BB298_21 Depth=1
	v_mov_b32_e32 v29, s43
	v_add_co_u32_e32 v31, vcc, s42, v38
	v_addc_co_u32_e32 v80, vcc, v29, v39, vcc
	v_add_co_u32_e32 v31, vcc, s44, v31
	v_addc_co_u32_e32 v80, vcc, 0, v80, vcc
	;; [unrolled: 2-line block ×4, first 2 shown]
	v_cndmask_b32_e64 v81, v29, v80, s[0:1]
	v_cndmask_b32_e64 v80, v82, v31, s[0:1]
	global_load_dwordx4 v[80:83], v[80:81], off
	v_add_co_u32_e32 v29, vcc, 0, v22
	v_addc_co_u32_e32 v31, vcc, v3, v11, vcc
	v_add_co_u32_e32 v84, vcc, 0, v29
	v_addc_co_u32_e32 v85, vcc, 32, v31, vcc
	v_ashrrev_i64 v[86:87], 29, v[84:85]
	v_mov_b32_e32 v29, s5
	v_add_co_u32_e32 v86, vcc, s4, v86
	v_addc_co_u32_e32 v87, vcc, v29, v87, vcc
	v_ashrrev_i64 v[84:85], 28, v[84:85]
	v_mov_b32_e32 v29, s41
	v_add_co_u32_e32 v84, vcc, s40, v84
	v_addc_co_u32_e32 v85, vcc, v29, v85, vcc
	global_store_dwordx2 v[86:87], v[66:67], off
	s_waitcnt vmcnt(1)
	global_store_dwordx4 v[84:85], v[80:83], off
	s_or_b64 exec, exec, s[90:91]
	s_and_saveexec_b64 s[90:91], s[54:55]
	s_cbranch_execz .LBB298_85
.LBB298_119:                            ;   in Loop: Header=BB298_21 Depth=1
	v_mov_b32_e32 v29, s43
	v_add_co_u32_e32 v31, vcc, s42, v38
	v_addc_co_u32_e32 v80, vcc, v29, v39, vcc
	v_add_co_u32_e32 v31, vcc, s95, v31
	v_addc_co_u32_e32 v80, vcc, 0, v80, vcc
	;; [unrolled: 2-line block ×4, first 2 shown]
	v_cndmask_b32_e64 v81, v29, v80, s[0:1]
	v_cndmask_b32_e64 v80, v82, v31, s[0:1]
	global_load_dwordx4 v[80:83], v[80:81], off
	v_add_co_u32_e32 v29, vcc, 0, v22
	v_addc_co_u32_e32 v31, vcc, v3, v11, vcc
	v_add_co_u32_e32 v84, vcc, 0, v29
	v_addc_co_u32_e32 v85, vcc, 64, v31, vcc
	v_ashrrev_i64 v[86:87], 29, v[84:85]
	v_mov_b32_e32 v29, s5
	v_add_co_u32_e32 v86, vcc, s4, v86
	v_addc_co_u32_e32 v87, vcc, v29, v87, vcc
	v_ashrrev_i64 v[84:85], 28, v[84:85]
	v_mov_b32_e32 v29, s41
	v_add_co_u32_e32 v84, vcc, s40, v84
	v_addc_co_u32_e32 v85, vcc, v29, v85, vcc
	global_store_dwordx2 v[86:87], v[68:69], off
	s_waitcnt vmcnt(1)
	global_store_dwordx4 v[84:85], v[80:83], off
	s_or_b64 exec, exec, s[90:91]
	s_and_saveexec_b64 s[90:91], s[56:57]
	s_cbranch_execz .LBB298_86
.LBB298_120:                            ;   in Loop: Header=BB298_21 Depth=1
	v_mov_b32_e32 v29, s43
	v_add_co_u32_e32 v31, vcc, s42, v38
	v_addc_co_u32_e32 v80, vcc, v29, v39, vcc
	v_add_co_u32_e32 v31, vcc, s94, v31
	v_addc_co_u32_e32 v80, vcc, 0, v80, vcc
	;; [unrolled: 2-line block ×4, first 2 shown]
	v_cndmask_b32_e64 v81, v29, v80, s[0:1]
	v_cndmask_b32_e64 v80, v82, v31, s[0:1]
	global_load_dwordx4 v[80:83], v[80:81], off
	v_add_co_u32_e32 v29, vcc, 0, v22
	v_addc_co_u32_e32 v31, vcc, v3, v11, vcc
	v_add_co_u32_e32 v84, vcc, 0, v29
	v_addc_co_u32_e32 v85, vcc, v31, v1, vcc
	v_ashrrev_i64 v[86:87], 29, v[84:85]
	v_mov_b32_e32 v29, s5
	v_add_co_u32_e32 v86, vcc, s4, v86
	v_addc_co_u32_e32 v87, vcc, v29, v87, vcc
	v_ashrrev_i64 v[84:85], 28, v[84:85]
	v_mov_b32_e32 v29, s41
	v_add_co_u32_e32 v84, vcc, s40, v84
	v_addc_co_u32_e32 v85, vcc, v29, v85, vcc
	global_store_dwordx2 v[86:87], v[70:71], off
	s_waitcnt vmcnt(1)
	global_store_dwordx4 v[84:85], v[80:83], off
	s_or_b64 exec, exec, s[90:91]
	s_and_saveexec_b64 s[90:91], s[58:59]
	s_cbranch_execz .LBB298_87
.LBB298_121:                            ;   in Loop: Header=BB298_21 Depth=1
	v_cndmask_b32_e64 v31, v56, v38, s[0:1]
	v_cndmask_b32_e64 v29, v57, v39, s[0:1]
	v_mov_b32_e32 v81, s43
	v_add_co_u32_e32 v80, vcc, s42, v31
	v_addc_co_u32_e32 v81, vcc, v81, v29, vcc
	global_load_dwordx4 v[80:83], v[80:81], off offset:2048
	v_add_co_u32_e32 v29, vcc, 0, v22
	v_addc_co_u32_e32 v31, vcc, v3, v11, vcc
	v_add_co_u32_e32 v84, vcc, 0, v29
	v_addc_co_u32_e32 v85, vcc, v31, v21, vcc
	v_ashrrev_i64 v[86:87], 29, v[84:85]
	v_mov_b32_e32 v29, s5
	v_add_co_u32_e32 v86, vcc, s4, v86
	v_addc_co_u32_e32 v87, vcc, v29, v87, vcc
	v_ashrrev_i64 v[84:85], 28, v[84:85]
	v_mov_b32_e32 v29, s41
	v_add_co_u32_e32 v84, vcc, s40, v84
	v_addc_co_u32_e32 v85, vcc, v29, v85, vcc
	global_store_dwordx2 v[86:87], v[72:73], off
	s_waitcnt vmcnt(1)
	global_store_dwordx4 v[84:85], v[80:83], off
	s_or_b64 exec, exec, s[90:91]
	s_and_saveexec_b64 s[90:91], s[60:61]
	s_cbranch_execz .LBB298_88
.LBB298_122:                            ;   in Loop: Header=BB298_21 Depth=1
	v_mov_b32_e32 v29, s43
	v_add_co_u32_e32 v31, vcc, s42, v38
	v_addc_co_u32_e32 v80, vcc, v29, v39, vcc
	v_add_co_u32_e32 v31, vcc, s92, v31
	v_addc_co_u32_e32 v80, vcc, 0, v80, vcc
	;; [unrolled: 2-line block ×4, first 2 shown]
	v_cndmask_b32_e64 v81, v29, v80, s[0:1]
	v_cndmask_b32_e64 v80, v82, v31, s[0:1]
	global_load_dwordx4 v[80:83], v[80:81], off
	v_add_co_u32_e32 v29, vcc, 0, v22
	v_addc_co_u32_e32 v31, vcc, v3, v11, vcc
	v_add_co_u32_e32 v84, vcc, 0, v29
	v_addc_co_u32_e32 v85, vcc, v31, v23, vcc
	v_ashrrev_i64 v[86:87], 29, v[84:85]
	v_mov_b32_e32 v29, s5
	v_add_co_u32_e32 v86, vcc, s4, v86
	v_addc_co_u32_e32 v87, vcc, v29, v87, vcc
	v_ashrrev_i64 v[84:85], 28, v[84:85]
	v_mov_b32_e32 v29, s41
	v_add_co_u32_e32 v84, vcc, s40, v84
	v_addc_co_u32_e32 v85, vcc, v29, v85, vcc
	global_store_dwordx2 v[86:87], v[74:75], off
	s_waitcnt vmcnt(1)
	global_store_dwordx4 v[84:85], v[80:83], off
	s_or_b64 exec, exec, s[90:91]
	s_and_saveexec_b64 s[90:91], s[62:63]
	s_cbranch_execz .LBB298_89
.LBB298_123:                            ;   in Loop: Header=BB298_21 Depth=1
	v_mov_b32_e32 v29, s43
	v_add_co_u32_e32 v31, vcc, s42, v38
	v_addc_co_u32_e32 v80, vcc, v29, v39, vcc
	v_add_co_u32_e32 v31, vcc, s33, v31
	v_addc_co_u32_e32 v80, vcc, 0, v80, vcc
	;; [unrolled: 2-line block ×4, first 2 shown]
	v_cndmask_b32_e64 v81, v29, v80, s[0:1]
	v_cndmask_b32_e64 v80, v82, v31, s[0:1]
	global_load_dwordx4 v[80:83], v[80:81], off
	v_add_co_u32_e32 v29, vcc, 0, v22
	v_addc_co_u32_e32 v31, vcc, v3, v11, vcc
	v_add_co_u32_e32 v84, vcc, 0, v29
	v_addc_co_u32_e32 v85, vcc, v31, v25, vcc
	v_ashrrev_i64 v[86:87], 29, v[84:85]
	v_mov_b32_e32 v29, s5
	v_add_co_u32_e32 v86, vcc, s4, v86
	v_addc_co_u32_e32 v87, vcc, v29, v87, vcc
	v_ashrrev_i64 v[84:85], 28, v[84:85]
	v_mov_b32_e32 v29, s41
	v_add_co_u32_e32 v84, vcc, s40, v84
	v_addc_co_u32_e32 v85, vcc, v29, v85, vcc
	global_store_dwordx2 v[86:87], v[76:77], off
	s_waitcnt vmcnt(1)
	global_store_dwordx4 v[84:85], v[80:83], off
	s_or_b64 exec, exec, s[90:91]
	s_and_saveexec_b64 s[90:91], s[10:11]
	s_cbranch_execz .LBB298_90
.LBB298_124:                            ;   in Loop: Header=BB298_21 Depth=1
	v_mov_b32_e32 v29, s43
	v_add_co_u32_e32 v31, vcc, s42, v38
	v_addc_co_u32_e32 v80, vcc, v29, v39, vcc
	v_add_co_u32_e32 v31, vcc, s39, v31
	v_addc_co_u32_e32 v80, vcc, 0, v80, vcc
	;; [unrolled: 2-line block ×4, first 2 shown]
	v_cndmask_b32_e64 v81, v29, v80, s[0:1]
	v_cndmask_b32_e64 v80, v82, v31, s[0:1]
	global_load_dwordx4 v[80:83], v[80:81], off
	v_add_co_u32_e32 v29, vcc, 0, v22
	v_addc_co_u32_e32 v31, vcc, v3, v11, vcc
	v_add_co_u32_e32 v84, vcc, 0, v29
	v_addc_co_u32_e32 v85, vcc, v31, v27, vcc
	v_ashrrev_i64 v[86:87], 29, v[84:85]
	v_mov_b32_e32 v29, s5
	v_add_co_u32_e32 v86, vcc, s4, v86
	v_addc_co_u32_e32 v87, vcc, v29, v87, vcc
	v_ashrrev_i64 v[84:85], 28, v[84:85]
	v_mov_b32_e32 v29, s41
	v_add_co_u32_e32 v84, vcc, s40, v84
	v_addc_co_u32_e32 v85, vcc, v29, v85, vcc
	global_store_dwordx2 v[86:87], v[78:79], off
	s_waitcnt vmcnt(1)
	global_store_dwordx4 v[84:85], v[80:83], off
	s_or_b64 exec, exec, s[90:91]
	s_and_saveexec_b64 s[90:91], s[64:65]
	s_cbranch_execz .LBB298_91
.LBB298_125:                            ;   in Loop: Header=BB298_21 Depth=1
	v_mov_b32_e32 v29, s43
	v_add_co_u32_e32 v31, vcc, s42, v36
	v_addc_co_u32_e32 v80, vcc, v29, v37, vcc
	v_add_co_u32_e32 v81, vcc, s42, v48
	v_addc_co_u32_e32 v29, vcc, v29, v49, vcc
	;; [unrolled: 2-line block ×3, first 2 shown]
	v_cndmask_b32_e64 v81, v29, v80, s[0:1]
	v_cndmask_b32_e64 v80, v82, v31, s[0:1]
	global_load_dwordx4 v[80:83], v[80:81], off
	v_add_co_u32_e32 v84, vcc, 0, v20
	v_addc_co_u32_e32 v85, vcc, v3, v9, vcc
	v_ashrrev_i64 v[86:87], 29, v[84:85]
	v_mov_b32_e32 v29, s5
	v_add_co_u32_e32 v86, vcc, s4, v86
	v_addc_co_u32_e32 v87, vcc, v29, v87, vcc
	v_ashrrev_i64 v[84:85], 28, v[84:85]
	v_mov_b32_e32 v29, s41
	v_add_co_u32_e32 v84, vcc, s40, v84
	v_addc_co_u32_e32 v85, vcc, v29, v85, vcc
	global_store_dwordx2 v[86:87], v[64:65], off
	s_waitcnt vmcnt(1)
	global_store_dwordx4 v[84:85], v[80:83], off
	s_or_b64 exec, exec, s[90:91]
	s_and_saveexec_b64 s[90:91], s[66:67]
	s_cbranch_execz .LBB298_92
.LBB298_126:                            ;   in Loop: Header=BB298_21 Depth=1
	v_mov_b32_e32 v29, s43
	v_add_co_u32_e32 v31, vcc, s42, v36
	v_addc_co_u32_e32 v80, vcc, v29, v37, vcc
	v_add_co_u32_e32 v31, vcc, s44, v31
	v_addc_co_u32_e32 v80, vcc, 0, v80, vcc
	;; [unrolled: 2-line block ×4, first 2 shown]
	v_cndmask_b32_e64 v81, v29, v80, s[0:1]
	v_cndmask_b32_e64 v80, v82, v31, s[0:1]
	global_load_dwordx4 v[80:83], v[80:81], off
	v_add_co_u32_e32 v29, vcc, 0, v20
	v_addc_co_u32_e32 v31, vcc, v3, v9, vcc
	v_add_co_u32_e32 v84, vcc, 0, v29
	v_addc_co_u32_e32 v85, vcc, 32, v31, vcc
	v_ashrrev_i64 v[86:87], 29, v[84:85]
	v_mov_b32_e32 v29, s5
	v_add_co_u32_e32 v86, vcc, s4, v86
	v_addc_co_u32_e32 v87, vcc, v29, v87, vcc
	v_ashrrev_i64 v[84:85], 28, v[84:85]
	v_mov_b32_e32 v29, s41
	v_add_co_u32_e32 v84, vcc, s40, v84
	v_addc_co_u32_e32 v85, vcc, v29, v85, vcc
	global_store_dwordx2 v[86:87], v[66:67], off
	s_waitcnt vmcnt(1)
	global_store_dwordx4 v[84:85], v[80:83], off
	s_or_b64 exec, exec, s[90:91]
	s_and_saveexec_b64 s[90:91], s[68:69]
	s_cbranch_execz .LBB298_93
.LBB298_127:                            ;   in Loop: Header=BB298_21 Depth=1
	v_mov_b32_e32 v29, s43
	v_add_co_u32_e32 v31, vcc, s42, v36
	v_addc_co_u32_e32 v80, vcc, v29, v37, vcc
	v_add_co_u32_e32 v31, vcc, s95, v31
	v_addc_co_u32_e32 v80, vcc, 0, v80, vcc
	;; [unrolled: 2-line block ×4, first 2 shown]
	v_cndmask_b32_e64 v81, v29, v80, s[0:1]
	v_cndmask_b32_e64 v80, v82, v31, s[0:1]
	global_load_dwordx4 v[80:83], v[80:81], off
	v_add_co_u32_e32 v29, vcc, 0, v20
	v_addc_co_u32_e32 v31, vcc, v3, v9, vcc
	v_add_co_u32_e32 v84, vcc, 0, v29
	v_addc_co_u32_e32 v85, vcc, 64, v31, vcc
	v_ashrrev_i64 v[86:87], 29, v[84:85]
	v_mov_b32_e32 v29, s5
	v_add_co_u32_e32 v86, vcc, s4, v86
	v_addc_co_u32_e32 v87, vcc, v29, v87, vcc
	v_ashrrev_i64 v[84:85], 28, v[84:85]
	v_mov_b32_e32 v29, s41
	v_add_co_u32_e32 v84, vcc, s40, v84
	v_addc_co_u32_e32 v85, vcc, v29, v85, vcc
	global_store_dwordx2 v[86:87], v[68:69], off
	s_waitcnt vmcnt(1)
	global_store_dwordx4 v[84:85], v[80:83], off
	s_or_b64 exec, exec, s[90:91]
	s_and_saveexec_b64 s[90:91], s[70:71]
	s_cbranch_execz .LBB298_94
.LBB298_128:                            ;   in Loop: Header=BB298_21 Depth=1
	v_mov_b32_e32 v29, s43
	v_add_co_u32_e32 v31, vcc, s42, v36
	v_addc_co_u32_e32 v80, vcc, v29, v37, vcc
	v_add_co_u32_e32 v31, vcc, s94, v31
	v_addc_co_u32_e32 v80, vcc, 0, v80, vcc
	;; [unrolled: 2-line block ×4, first 2 shown]
	v_cndmask_b32_e64 v81, v29, v80, s[0:1]
	v_cndmask_b32_e64 v80, v82, v31, s[0:1]
	global_load_dwordx4 v[80:83], v[80:81], off
	v_add_co_u32_e32 v29, vcc, 0, v20
	v_addc_co_u32_e32 v31, vcc, v3, v9, vcc
	v_add_co_u32_e32 v84, vcc, 0, v29
	v_addc_co_u32_e32 v85, vcc, v31, v1, vcc
	v_ashrrev_i64 v[86:87], 29, v[84:85]
	v_mov_b32_e32 v29, s5
	v_add_co_u32_e32 v86, vcc, s4, v86
	v_addc_co_u32_e32 v87, vcc, v29, v87, vcc
	v_ashrrev_i64 v[84:85], 28, v[84:85]
	v_mov_b32_e32 v29, s41
	v_add_co_u32_e32 v84, vcc, s40, v84
	v_addc_co_u32_e32 v85, vcc, v29, v85, vcc
	global_store_dwordx2 v[86:87], v[70:71], off
	s_waitcnt vmcnt(1)
	global_store_dwordx4 v[84:85], v[80:83], off
	s_or_b64 exec, exec, s[90:91]
	s_and_saveexec_b64 s[90:91], s[72:73]
	s_cbranch_execz .LBB298_95
.LBB298_129:                            ;   in Loop: Header=BB298_21 Depth=1
	v_mov_b32_e32 v29, s43
	v_add_co_u32_e32 v31, vcc, s42, v36
	v_addc_co_u32_e32 v80, vcc, v29, v37, vcc
	v_add_co_u32_e32 v31, vcc, s93, v31
	v_addc_co_u32_e32 v80, vcc, 0, v80, vcc
	;; [unrolled: 2-line block ×4, first 2 shown]
	v_cndmask_b32_e64 v81, v29, v80, s[0:1]
	v_cndmask_b32_e64 v80, v82, v31, s[0:1]
	global_load_dwordx4 v[80:83], v[80:81], off
	v_add_co_u32_e32 v29, vcc, 0, v20
	v_addc_co_u32_e32 v31, vcc, v3, v9, vcc
	v_add_co_u32_e32 v84, vcc, 0, v29
	v_addc_co_u32_e32 v85, vcc, v31, v21, vcc
	v_ashrrev_i64 v[86:87], 29, v[84:85]
	v_mov_b32_e32 v29, s5
	v_add_co_u32_e32 v86, vcc, s4, v86
	v_addc_co_u32_e32 v87, vcc, v29, v87, vcc
	v_ashrrev_i64 v[84:85], 28, v[84:85]
	v_mov_b32_e32 v29, s41
	v_add_co_u32_e32 v84, vcc, s40, v84
	v_addc_co_u32_e32 v85, vcc, v29, v85, vcc
	global_store_dwordx2 v[86:87], v[72:73], off
	s_waitcnt vmcnt(1)
	global_store_dwordx4 v[84:85], v[80:83], off
	s_or_b64 exec, exec, s[90:91]
	s_and_saveexec_b64 s[90:91], s[2:3]
	s_cbranch_execz .LBB298_96
.LBB298_130:                            ;   in Loop: Header=BB298_21 Depth=1
	v_cndmask_b32_e64 v31, v58, v36, s[0:1]
	v_cndmask_b32_e64 v29, v59, v37, s[0:1]
	v_mov_b32_e32 v81, s43
	v_add_co_u32_e32 v80, vcc, s42, v31
	v_addc_co_u32_e32 v81, vcc, v81, v29, vcc
	global_load_dwordx4 v[80:83], v[80:81], off offset:2560
	v_add_co_u32_e32 v29, vcc, 0, v20
	v_addc_co_u32_e32 v31, vcc, v3, v9, vcc
	v_add_co_u32_e32 v84, vcc, 0, v29
	v_addc_co_u32_e32 v85, vcc, v31, v23, vcc
	v_ashrrev_i64 v[86:87], 29, v[84:85]
	v_mov_b32_e32 v29, s5
	v_add_co_u32_e32 v86, vcc, s4, v86
	v_addc_co_u32_e32 v87, vcc, v29, v87, vcc
	v_ashrrev_i64 v[84:85], 28, v[84:85]
	v_mov_b32_e32 v29, s41
	v_add_co_u32_e32 v84, vcc, s40, v84
	v_addc_co_u32_e32 v85, vcc, v29, v85, vcc
	global_store_dwordx2 v[86:87], v[74:75], off
	s_waitcnt vmcnt(1)
	global_store_dwordx4 v[84:85], v[80:83], off
	s_or_b64 exec, exec, s[90:91]
	s_and_saveexec_b64 s[90:91], s[74:75]
	s_cbranch_execz .LBB298_97
.LBB298_131:                            ;   in Loop: Header=BB298_21 Depth=1
	v_mov_b32_e32 v29, s43
	v_add_co_u32_e32 v31, vcc, s42, v36
	v_addc_co_u32_e32 v80, vcc, v29, v37, vcc
	v_add_co_u32_e32 v31, vcc, s33, v31
	v_addc_co_u32_e32 v80, vcc, 0, v80, vcc
	;; [unrolled: 2-line block ×4, first 2 shown]
	v_cndmask_b32_e64 v81, v29, v80, s[0:1]
	v_cndmask_b32_e64 v80, v82, v31, s[0:1]
	global_load_dwordx4 v[80:83], v[80:81], off
	v_add_co_u32_e32 v29, vcc, 0, v20
	v_addc_co_u32_e32 v31, vcc, v3, v9, vcc
	v_add_co_u32_e32 v84, vcc, 0, v29
	v_addc_co_u32_e32 v85, vcc, v31, v25, vcc
	v_ashrrev_i64 v[86:87], 29, v[84:85]
	v_mov_b32_e32 v29, s5
	v_add_co_u32_e32 v86, vcc, s4, v86
	v_addc_co_u32_e32 v87, vcc, v29, v87, vcc
	v_ashrrev_i64 v[84:85], 28, v[84:85]
	v_mov_b32_e32 v29, s41
	v_add_co_u32_e32 v84, vcc, s40, v84
	v_addc_co_u32_e32 v85, vcc, v29, v85, vcc
	global_store_dwordx2 v[86:87], v[76:77], off
	s_waitcnt vmcnt(1)
	global_store_dwordx4 v[84:85], v[80:83], off
	s_or_b64 exec, exec, s[90:91]
	s_and_saveexec_b64 s[90:91], s[12:13]
	s_cbranch_execz .LBB298_98
.LBB298_132:                            ;   in Loop: Header=BB298_21 Depth=1
	v_mov_b32_e32 v29, s43
	v_add_co_u32_e32 v31, vcc, s42, v36
	v_addc_co_u32_e32 v80, vcc, v29, v37, vcc
	v_add_co_u32_e32 v31, vcc, s39, v31
	v_addc_co_u32_e32 v80, vcc, 0, v80, vcc
	;; [unrolled: 2-line block ×4, first 2 shown]
	v_cndmask_b32_e64 v81, v29, v80, s[0:1]
	v_cndmask_b32_e64 v80, v82, v31, s[0:1]
	global_load_dwordx4 v[80:83], v[80:81], off
	v_add_co_u32_e32 v29, vcc, 0, v20
	v_addc_co_u32_e32 v31, vcc, v3, v9, vcc
	v_add_co_u32_e32 v84, vcc, 0, v29
	v_addc_co_u32_e32 v85, vcc, v31, v27, vcc
	v_ashrrev_i64 v[86:87], 29, v[84:85]
	v_mov_b32_e32 v29, s5
	v_add_co_u32_e32 v86, vcc, s4, v86
	v_addc_co_u32_e32 v87, vcc, v29, v87, vcc
	v_ashrrev_i64 v[84:85], 28, v[84:85]
	v_mov_b32_e32 v29, s41
	v_add_co_u32_e32 v84, vcc, s40, v84
	v_addc_co_u32_e32 v85, vcc, v29, v85, vcc
	global_store_dwordx2 v[86:87], v[78:79], off
	s_waitcnt vmcnt(1)
	global_store_dwordx4 v[84:85], v[80:83], off
	s_or_b64 exec, exec, s[90:91]
	s_and_saveexec_b64 s[90:91], s[76:77]
	s_cbranch_execz .LBB298_99
.LBB298_133:                            ;   in Loop: Header=BB298_21 Depth=1
	v_mov_b32_e32 v29, s43
	v_add_co_u32_e32 v31, vcc, s42, v34
	v_addc_co_u32_e32 v80, vcc, v29, v35, vcc
	v_add_co_u32_e32 v81, vcc, s42, v48
	v_addc_co_u32_e32 v29, vcc, v29, v49, vcc
	;; [unrolled: 2-line block ×3, first 2 shown]
	v_cndmask_b32_e64 v81, v29, v80, s[0:1]
	v_cndmask_b32_e64 v80, v82, v31, s[0:1]
	global_load_dwordx4 v[80:83], v[80:81], off
	v_add_co_u32_e32 v84, vcc, 0, v18
	v_addc_co_u32_e32 v85, vcc, v3, v7, vcc
	v_ashrrev_i64 v[86:87], 29, v[84:85]
	v_mov_b32_e32 v29, s5
	v_add_co_u32_e32 v86, vcc, s4, v86
	v_addc_co_u32_e32 v87, vcc, v29, v87, vcc
	v_ashrrev_i64 v[84:85], 28, v[84:85]
	v_mov_b32_e32 v29, s41
	v_add_co_u32_e32 v84, vcc, s40, v84
	v_addc_co_u32_e32 v85, vcc, v29, v85, vcc
	global_store_dwordx2 v[86:87], v[64:65], off
	s_waitcnt vmcnt(1)
	global_store_dwordx4 v[84:85], v[80:83], off
	s_or_b64 exec, exec, s[90:91]
	s_and_saveexec_b64 s[90:91], s[78:79]
	s_cbranch_execz .LBB298_100
.LBB298_134:                            ;   in Loop: Header=BB298_21 Depth=1
	v_mov_b32_e32 v29, s43
	v_add_co_u32_e32 v31, vcc, s42, v34
	v_addc_co_u32_e32 v80, vcc, v29, v35, vcc
	v_add_co_u32_e32 v31, vcc, s44, v31
	v_addc_co_u32_e32 v80, vcc, 0, v80, vcc
	;; [unrolled: 2-line block ×4, first 2 shown]
	v_cndmask_b32_e64 v81, v29, v80, s[0:1]
	v_cndmask_b32_e64 v80, v82, v31, s[0:1]
	global_load_dwordx4 v[80:83], v[80:81], off
	v_add_co_u32_e32 v29, vcc, 0, v18
	v_addc_co_u32_e32 v31, vcc, v3, v7, vcc
	v_add_co_u32_e32 v84, vcc, 0, v29
	v_addc_co_u32_e32 v85, vcc, 32, v31, vcc
	v_ashrrev_i64 v[86:87], 29, v[84:85]
	v_mov_b32_e32 v29, s5
	v_add_co_u32_e32 v86, vcc, s4, v86
	v_addc_co_u32_e32 v87, vcc, v29, v87, vcc
	v_ashrrev_i64 v[84:85], 28, v[84:85]
	v_mov_b32_e32 v29, s41
	v_add_co_u32_e32 v84, vcc, s40, v84
	v_addc_co_u32_e32 v85, vcc, v29, v85, vcc
	global_store_dwordx2 v[86:87], v[66:67], off
	s_waitcnt vmcnt(1)
	global_store_dwordx4 v[84:85], v[80:83], off
	s_or_b64 exec, exec, s[90:91]
	s_and_saveexec_b64 s[90:91], s[80:81]
	s_cbranch_execz .LBB298_101
.LBB298_135:                            ;   in Loop: Header=BB298_21 Depth=1
	v_mov_b32_e32 v29, s43
	v_add_co_u32_e32 v31, vcc, s42, v34
	v_addc_co_u32_e32 v80, vcc, v29, v35, vcc
	v_add_co_u32_e32 v31, vcc, s95, v31
	v_addc_co_u32_e32 v80, vcc, 0, v80, vcc
	v_add_co_u32_e32 v81, vcc, s42, v52
	v_addc_co_u32_e32 v29, vcc, v29, v53, vcc
	v_add_co_u32_e32 v82, vcc, 0xc00, v81
	v_addc_co_u32_e32 v29, vcc, 0, v29, vcc
	v_cndmask_b32_e64 v81, v29, v80, s[0:1]
	v_cndmask_b32_e64 v80, v82, v31, s[0:1]
	global_load_dwordx4 v[80:83], v[80:81], off
	v_add_co_u32_e32 v29, vcc, 0, v18
	v_addc_co_u32_e32 v31, vcc, v3, v7, vcc
	v_add_co_u32_e32 v84, vcc, 0, v29
	v_addc_co_u32_e32 v85, vcc, 64, v31, vcc
	v_ashrrev_i64 v[86:87], 29, v[84:85]
	v_mov_b32_e32 v29, s5
	v_add_co_u32_e32 v86, vcc, s4, v86
	v_addc_co_u32_e32 v87, vcc, v29, v87, vcc
	v_ashrrev_i64 v[84:85], 28, v[84:85]
	v_mov_b32_e32 v29, s41
	v_add_co_u32_e32 v84, vcc, s40, v84
	v_addc_co_u32_e32 v85, vcc, v29, v85, vcc
	global_store_dwordx2 v[86:87], v[68:69], off
	s_waitcnt vmcnt(1)
	global_store_dwordx4 v[84:85], v[80:83], off
	s_or_b64 exec, exec, s[90:91]
	s_and_saveexec_b64 s[90:91], s[82:83]
	s_cbranch_execz .LBB298_102
.LBB298_136:                            ;   in Loop: Header=BB298_21 Depth=1
	v_mov_b32_e32 v29, s43
	v_add_co_u32_e32 v31, vcc, s42, v34
	v_addc_co_u32_e32 v80, vcc, v29, v35, vcc
	v_add_co_u32_e32 v31, vcc, s94, v31
	v_addc_co_u32_e32 v80, vcc, 0, v80, vcc
	;; [unrolled: 2-line block ×4, first 2 shown]
	v_cndmask_b32_e64 v81, v29, v80, s[0:1]
	v_cndmask_b32_e64 v80, v82, v31, s[0:1]
	global_load_dwordx4 v[80:83], v[80:81], off
	v_add_co_u32_e32 v29, vcc, 0, v18
	v_addc_co_u32_e32 v31, vcc, v3, v7, vcc
	v_add_co_u32_e32 v84, vcc, 0, v29
	v_addc_co_u32_e32 v85, vcc, v31, v1, vcc
	v_ashrrev_i64 v[86:87], 29, v[84:85]
	v_mov_b32_e32 v29, s5
	v_add_co_u32_e32 v86, vcc, s4, v86
	v_addc_co_u32_e32 v87, vcc, v29, v87, vcc
	v_ashrrev_i64 v[84:85], 28, v[84:85]
	v_mov_b32_e32 v29, s41
	v_add_co_u32_e32 v84, vcc, s40, v84
	v_addc_co_u32_e32 v85, vcc, v29, v85, vcc
	global_store_dwordx2 v[86:87], v[70:71], off
	s_waitcnt vmcnt(1)
	global_store_dwordx4 v[84:85], v[80:83], off
	s_or_b64 exec, exec, s[90:91]
	s_and_saveexec_b64 s[90:91], s[84:85]
	s_cbranch_execz .LBB298_103
.LBB298_137:                            ;   in Loop: Header=BB298_21 Depth=1
	v_mov_b32_e32 v29, s43
	v_add_co_u32_e32 v31, vcc, s42, v34
	v_addc_co_u32_e32 v80, vcc, v29, v35, vcc
	v_add_co_u32_e32 v31, vcc, s93, v31
	v_addc_co_u32_e32 v80, vcc, 0, v80, vcc
	;; [unrolled: 2-line block ×4, first 2 shown]
	v_cndmask_b32_e64 v81, v29, v80, s[0:1]
	v_cndmask_b32_e64 v80, v82, v31, s[0:1]
	global_load_dwordx4 v[80:83], v[80:81], off
	v_add_co_u32_e32 v29, vcc, 0, v18
	v_addc_co_u32_e32 v31, vcc, v3, v7, vcc
	v_add_co_u32_e32 v84, vcc, 0, v29
	v_addc_co_u32_e32 v85, vcc, v31, v21, vcc
	v_ashrrev_i64 v[86:87], 29, v[84:85]
	v_mov_b32_e32 v29, s5
	v_add_co_u32_e32 v86, vcc, s4, v86
	v_addc_co_u32_e32 v87, vcc, v29, v87, vcc
	v_ashrrev_i64 v[84:85], 28, v[84:85]
	v_mov_b32_e32 v29, s41
	v_add_co_u32_e32 v84, vcc, s40, v84
	v_addc_co_u32_e32 v85, vcc, v29, v85, vcc
	global_store_dwordx2 v[86:87], v[72:73], off
	s_waitcnt vmcnt(1)
	global_store_dwordx4 v[84:85], v[80:83], off
	s_or_b64 exec, exec, s[90:91]
	s_and_saveexec_b64 s[90:91], s[86:87]
	s_cbranch_execz .LBB298_104
.LBB298_138:                            ;   in Loop: Header=BB298_21 Depth=1
	v_mov_b32_e32 v29, s43
	v_add_co_u32_e32 v31, vcc, s42, v34
	v_addc_co_u32_e32 v80, vcc, v29, v35, vcc
	v_add_co_u32_e32 v31, vcc, s92, v31
	v_addc_co_u32_e32 v80, vcc, 0, v80, vcc
	v_add_co_u32_e32 v81, vcc, s42, v58
	v_addc_co_u32_e32 v29, vcc, v29, v59, vcc
	v_add_co_u32_e32 v82, vcc, 0xc00, v81
	v_addc_co_u32_e32 v29, vcc, 0, v29, vcc
	v_cndmask_b32_e64 v81, v29, v80, s[0:1]
	v_cndmask_b32_e64 v80, v82, v31, s[0:1]
	global_load_dwordx4 v[80:83], v[80:81], off
	v_add_co_u32_e32 v29, vcc, 0, v18
	v_addc_co_u32_e32 v31, vcc, v3, v7, vcc
	v_add_co_u32_e32 v84, vcc, 0, v29
	v_addc_co_u32_e32 v85, vcc, v31, v23, vcc
	v_ashrrev_i64 v[86:87], 29, v[84:85]
	v_mov_b32_e32 v29, s5
	v_add_co_u32_e32 v86, vcc, s4, v86
	v_addc_co_u32_e32 v87, vcc, v29, v87, vcc
	v_ashrrev_i64 v[84:85], 28, v[84:85]
	v_mov_b32_e32 v29, s41
	v_add_co_u32_e32 v84, vcc, s40, v84
	v_addc_co_u32_e32 v85, vcc, v29, v85, vcc
	global_store_dwordx2 v[86:87], v[74:75], off
	s_waitcnt vmcnt(1)
	global_store_dwordx4 v[84:85], v[80:83], off
	s_or_b64 exec, exec, s[90:91]
	s_and_saveexec_b64 s[90:91], s[6:7]
	s_cbranch_execz .LBB298_105
.LBB298_139:                            ;   in Loop: Header=BB298_21 Depth=1
	v_cndmask_b32_e64 v31, v60, v34, s[0:1]
	v_cndmask_b32_e64 v29, v61, v35, s[0:1]
	v_mov_b32_e32 v81, s43
	v_add_co_u32_e32 v80, vcc, s42, v31
	v_addc_co_u32_e32 v81, vcc, v81, v29, vcc
	global_load_dwordx4 v[80:83], v[80:81], off offset:3072
	v_add_co_u32_e32 v29, vcc, 0, v18
	v_addc_co_u32_e32 v31, vcc, v3, v7, vcc
	v_add_co_u32_e32 v84, vcc, 0, v29
	v_addc_co_u32_e32 v85, vcc, v31, v25, vcc
	v_ashrrev_i64 v[86:87], 29, v[84:85]
	v_mov_b32_e32 v29, s5
	v_add_co_u32_e32 v86, vcc, s4, v86
	v_addc_co_u32_e32 v87, vcc, v29, v87, vcc
	v_ashrrev_i64 v[84:85], 28, v[84:85]
	v_mov_b32_e32 v29, s41
	v_add_co_u32_e32 v84, vcc, s40, v84
	v_addc_co_u32_e32 v85, vcc, v29, v85, vcc
	global_store_dwordx2 v[86:87], v[76:77], off
	s_waitcnt vmcnt(1)
	global_store_dwordx4 v[84:85], v[80:83], off
	s_or_b64 exec, exec, s[90:91]
	s_and_saveexec_b64 s[90:91], s[14:15]
	s_cbranch_execz .LBB298_106
.LBB298_140:                            ;   in Loop: Header=BB298_21 Depth=1
	v_mov_b32_e32 v29, s43
	v_add_co_u32_e32 v31, vcc, s42, v34
	v_addc_co_u32_e32 v80, vcc, v29, v35, vcc
	v_add_co_u32_e32 v31, vcc, s39, v31
	v_addc_co_u32_e32 v80, vcc, 0, v80, vcc
	;; [unrolled: 2-line block ×4, first 2 shown]
	v_cndmask_b32_e64 v81, v29, v80, s[0:1]
	v_cndmask_b32_e64 v80, v82, v31, s[0:1]
	global_load_dwordx4 v[80:83], v[80:81], off
	v_add_co_u32_e32 v29, vcc, 0, v18
	v_addc_co_u32_e32 v31, vcc, v3, v7, vcc
	v_add_co_u32_e32 v84, vcc, 0, v29
	v_addc_co_u32_e32 v85, vcc, v31, v27, vcc
	v_ashrrev_i64 v[86:87], 29, v[84:85]
	v_mov_b32_e32 v29, s5
	v_add_co_u32_e32 v86, vcc, s4, v86
	v_addc_co_u32_e32 v87, vcc, v29, v87, vcc
	v_ashrrev_i64 v[84:85], 28, v[84:85]
	v_mov_b32_e32 v29, s41
	v_add_co_u32_e32 v84, vcc, s40, v84
	v_addc_co_u32_e32 v85, vcc, v29, v85, vcc
	global_store_dwordx2 v[86:87], v[78:79], off
	s_waitcnt vmcnt(1)
	global_store_dwordx4 v[84:85], v[80:83], off
	s_or_b64 exec, exec, s[90:91]
	s_and_saveexec_b64 s[90:91], s[18:19]
	s_cbranch_execz .LBB298_107
.LBB298_141:                            ;   in Loop: Header=BB298_21 Depth=1
	v_mov_b32_e32 v29, s43
	v_add_co_u32_e32 v31, vcc, s42, v32
	v_addc_co_u32_e32 v80, vcc, v29, v33, vcc
	v_add_co_u32_e32 v81, vcc, s42, v48
	v_addc_co_u32_e32 v29, vcc, v29, v49, vcc
	;; [unrolled: 2-line block ×3, first 2 shown]
	v_cndmask_b32_e64 v81, v29, v80, s[0:1]
	v_cndmask_b32_e64 v80, v82, v31, s[0:1]
	global_load_dwordx4 v[80:83], v[80:81], off
	v_add_co_u32_e32 v84, vcc, 0, v16
	v_addc_co_u32_e32 v85, vcc, v3, v5, vcc
	v_ashrrev_i64 v[86:87], 29, v[84:85]
	v_mov_b32_e32 v29, s5
	v_add_co_u32_e32 v86, vcc, s4, v86
	v_addc_co_u32_e32 v87, vcc, v29, v87, vcc
	global_store_dwordx2 v[86:87], v[64:65], off
	v_ashrrev_i64 v[64:65], 28, v[84:85]
	v_mov_b32_e32 v29, s41
	v_add_co_u32_e32 v64, vcc, s40, v64
	v_addc_co_u32_e32 v65, vcc, v29, v65, vcc
	s_waitcnt vmcnt(1)
	global_store_dwordx4 v[64:65], v[80:83], off
	s_or_b64 exec, exec, s[90:91]
	s_and_saveexec_b64 s[90:91], s[20:21]
	s_cbranch_execz .LBB298_108
.LBB298_142:                            ;   in Loop: Header=BB298_21 Depth=1
	v_mov_b32_e32 v29, s43
	v_add_co_u32_e32 v31, vcc, s42, v32
	v_addc_co_u32_e32 v64, vcc, v29, v33, vcc
	v_add_co_u32_e32 v31, vcc, s44, v31
	v_addc_co_u32_e32 v64, vcc, 0, v64, vcc
	;; [unrolled: 2-line block ×4, first 2 shown]
	v_cndmask_b32_e64 v65, v29, v64, s[0:1]
	v_cndmask_b32_e64 v64, v80, v31, s[0:1]
	global_load_dwordx4 v[80:83], v[64:65], off
	v_add_co_u32_e32 v29, vcc, 0, v16
	v_addc_co_u32_e32 v31, vcc, v3, v5, vcc
	v_add_co_u32_e32 v64, vcc, 0, v29
	v_addc_co_u32_e32 v65, vcc, 32, v31, vcc
	v_ashrrev_i64 v[84:85], 29, v[64:65]
	v_mov_b32_e32 v29, s5
	v_add_co_u32_e32 v84, vcc, s4, v84
	v_addc_co_u32_e32 v85, vcc, v29, v85, vcc
	v_ashrrev_i64 v[64:65], 28, v[64:65]
	v_mov_b32_e32 v29, s41
	v_add_co_u32_e32 v64, vcc, s40, v64
	v_addc_co_u32_e32 v65, vcc, v29, v65, vcc
	global_store_dwordx2 v[84:85], v[66:67], off
	s_waitcnt vmcnt(1)
	global_store_dwordx4 v[64:65], v[80:83], off
	s_or_b64 exec, exec, s[90:91]
	s_and_saveexec_b64 s[90:91], s[22:23]
	s_cbranch_execz .LBB298_109
.LBB298_143:                            ;   in Loop: Header=BB298_21 Depth=1
	v_mov_b32_e32 v29, s43
	v_add_co_u32_e32 v31, vcc, s42, v32
	v_addc_co_u32_e32 v64, vcc, v29, v33, vcc
	v_add_co_u32_e32 v31, vcc, s95, v31
	v_addc_co_u32_e32 v64, vcc, 0, v64, vcc
	;; [unrolled: 2-line block ×4, first 2 shown]
	v_cndmask_b32_e64 v65, v29, v64, s[0:1]
	v_cndmask_b32_e64 v64, v66, v31, s[0:1]
	global_load_dwordx4 v[64:67], v[64:65], off
	v_add_co_u32_e32 v29, vcc, 0, v16
	v_addc_co_u32_e32 v31, vcc, v3, v5, vcc
	v_add_co_u32_e32 v80, vcc, 0, v29
	v_addc_co_u32_e32 v81, vcc, 64, v31, vcc
	v_ashrrev_i64 v[82:83], 29, v[80:81]
	v_mov_b32_e32 v29, s5
	v_add_co_u32_e32 v82, vcc, s4, v82
	v_addc_co_u32_e32 v83, vcc, v29, v83, vcc
	global_store_dwordx2 v[82:83], v[68:69], off
	v_ashrrev_i64 v[68:69], 28, v[80:81]
	v_mov_b32_e32 v29, s41
	v_add_co_u32_e32 v68, vcc, s40, v68
	v_addc_co_u32_e32 v69, vcc, v29, v69, vcc
	s_waitcnt vmcnt(1)
	global_store_dwordx4 v[68:69], v[64:67], off
	s_or_b64 exec, exec, s[90:91]
	s_and_saveexec_b64 s[90:91], s[24:25]
	s_cbranch_execz .LBB298_110
.LBB298_144:                            ;   in Loop: Header=BB298_21 Depth=1
	v_mov_b32_e32 v29, s43
	v_add_co_u32_e32 v31, vcc, s42, v32
	v_addc_co_u32_e32 v64, vcc, v29, v33, vcc
	v_add_co_u32_e32 v31, vcc, s94, v31
	v_addc_co_u32_e32 v64, vcc, 0, v64, vcc
	v_add_co_u32_e32 v65, vcc, s42, v54
	v_addc_co_u32_e32 v29, vcc, v29, v55, vcc
	v_add_co_u32_e32 v66, vcc, 0xe00, v65
	v_addc_co_u32_e32 v29, vcc, 0, v29, vcc
	v_cndmask_b32_e64 v65, v29, v64, s[0:1]
	v_cndmask_b32_e64 v64, v66, v31, s[0:1]
	global_load_dwordx4 v[64:67], v[64:65], off
	v_add_co_u32_e32 v29, vcc, 0, v16
	v_addc_co_u32_e32 v31, vcc, v3, v5, vcc
	v_add_co_u32_e32 v68, vcc, 0, v29
	v_addc_co_u32_e32 v69, vcc, v31, v1, vcc
	v_ashrrev_i64 v[80:81], 29, v[68:69]
	v_mov_b32_e32 v29, s5
	v_add_co_u32_e32 v80, vcc, s4, v80
	v_addc_co_u32_e32 v81, vcc, v29, v81, vcc
	v_ashrrev_i64 v[68:69], 28, v[68:69]
	v_mov_b32_e32 v29, s41
	v_add_co_u32_e32 v68, vcc, s40, v68
	v_addc_co_u32_e32 v69, vcc, v29, v69, vcc
	global_store_dwordx2 v[80:81], v[70:71], off
	s_waitcnt vmcnt(1)
	global_store_dwordx4 v[68:69], v[64:67], off
	s_or_b64 exec, exec, s[90:91]
	s_and_saveexec_b64 s[90:91], s[26:27]
	s_cbranch_execz .LBB298_111
.LBB298_145:                            ;   in Loop: Header=BB298_21 Depth=1
	v_mov_b32_e32 v29, s43
	v_add_co_u32_e32 v31, vcc, s42, v32
	v_addc_co_u32_e32 v64, vcc, v29, v33, vcc
	v_add_co_u32_e32 v31, vcc, s93, v31
	v_addc_co_u32_e32 v64, vcc, 0, v64, vcc
	;; [unrolled: 2-line block ×4, first 2 shown]
	v_cndmask_b32_e64 v65, v29, v64, s[0:1]
	v_cndmask_b32_e64 v64, v66, v31, s[0:1]
	global_load_dwordx4 v[64:67], v[64:65], off
	v_add_co_u32_e32 v29, vcc, 0, v16
	v_addc_co_u32_e32 v31, vcc, v3, v5, vcc
	v_add_co_u32_e32 v68, vcc, 0, v29
	v_addc_co_u32_e32 v69, vcc, v31, v21, vcc
	v_ashrrev_i64 v[70:71], 29, v[68:69]
	v_mov_b32_e32 v29, s5
	v_add_co_u32_e32 v70, vcc, s4, v70
	v_addc_co_u32_e32 v71, vcc, v29, v71, vcc
	v_ashrrev_i64 v[68:69], 28, v[68:69]
	v_mov_b32_e32 v29, s41
	v_add_co_u32_e32 v68, vcc, s40, v68
	v_addc_co_u32_e32 v69, vcc, v29, v69, vcc
	global_store_dwordx2 v[70:71], v[72:73], off
	s_waitcnt vmcnt(1)
	global_store_dwordx4 v[68:69], v[64:67], off
	s_or_b64 exec, exec, s[90:91]
	s_and_saveexec_b64 s[90:91], s[28:29]
	s_cbranch_execz .LBB298_112
.LBB298_146:                            ;   in Loop: Header=BB298_21 Depth=1
	v_mov_b32_e32 v29, s43
	v_add_co_u32_e32 v31, vcc, s42, v32
	v_addc_co_u32_e32 v64, vcc, v29, v33, vcc
	v_add_co_u32_e32 v31, vcc, s92, v31
	v_addc_co_u32_e32 v64, vcc, 0, v64, vcc
	;; [unrolled: 2-line block ×4, first 2 shown]
	v_cndmask_b32_e64 v65, v29, v64, s[0:1]
	v_cndmask_b32_e64 v64, v66, v31, s[0:1]
	global_load_dwordx4 v[64:67], v[64:65], off
	v_add_co_u32_e32 v29, vcc, 0, v16
	v_addc_co_u32_e32 v31, vcc, v3, v5, vcc
	v_add_co_u32_e32 v68, vcc, 0, v29
	v_addc_co_u32_e32 v69, vcc, v31, v23, vcc
	v_ashrrev_i64 v[70:71], 29, v[68:69]
	v_mov_b32_e32 v29, s5
	v_add_co_u32_e32 v70, vcc, s4, v70
	v_addc_co_u32_e32 v71, vcc, v29, v71, vcc
	v_ashrrev_i64 v[68:69], 28, v[68:69]
	v_mov_b32_e32 v29, s41
	v_add_co_u32_e32 v68, vcc, s40, v68
	v_addc_co_u32_e32 v69, vcc, v29, v69, vcc
	global_store_dwordx2 v[70:71], v[74:75], off
	s_waitcnt vmcnt(1)
	global_store_dwordx4 v[68:69], v[64:67], off
	s_or_b64 exec, exec, s[90:91]
	s_and_saveexec_b64 s[90:91], s[30:31]
	s_cbranch_execz .LBB298_113
.LBB298_147:                            ;   in Loop: Header=BB298_21 Depth=1
	v_mov_b32_e32 v29, s43
	v_add_co_u32_e32 v31, vcc, s42, v32
	v_addc_co_u32_e32 v64, vcc, v29, v33, vcc
	v_add_co_u32_e32 v31, vcc, s33, v31
	v_addc_co_u32_e32 v64, vcc, 0, v64, vcc
	;; [unrolled: 2-line block ×4, first 2 shown]
	v_cndmask_b32_e64 v65, v29, v64, s[0:1]
	v_cndmask_b32_e64 v64, v66, v31, s[0:1]
	global_load_dwordx4 v[64:67], v[64:65], off
	v_add_co_u32_e32 v29, vcc, 0, v16
	v_addc_co_u32_e32 v31, vcc, v3, v5, vcc
	v_add_co_u32_e32 v68, vcc, 0, v29
	v_addc_co_u32_e32 v69, vcc, v31, v25, vcc
	v_ashrrev_i64 v[70:71], 29, v[68:69]
	v_mov_b32_e32 v29, s5
	v_add_co_u32_e32 v70, vcc, s4, v70
	v_addc_co_u32_e32 v71, vcc, v29, v71, vcc
	v_ashrrev_i64 v[68:69], 28, v[68:69]
	v_mov_b32_e32 v29, s41
	v_add_co_u32_e32 v68, vcc, s40, v68
	v_addc_co_u32_e32 v69, vcc, v29, v69, vcc
	global_store_dwordx2 v[70:71], v[76:77], off
	s_waitcnt vmcnt(1)
	global_store_dwordx4 v[68:69], v[64:67], off
	s_or_b64 exec, exec, s[90:91]
	s_and_saveexec_b64 s[90:91], s[16:17]
	s_cbranch_execz .LBB298_20
.LBB298_148:                            ;   in Loop: Header=BB298_21 Depth=1
	v_cndmask_b32_e64 v31, v62, v32, s[0:1]
	v_cndmask_b32_e64 v29, v63, v33, s[0:1]
	v_mov_b32_e32 v65, s43
	v_add_co_u32_e32 v64, vcc, s42, v31
	v_addc_co_u32_e32 v65, vcc, v65, v29, vcc
	global_load_dwordx4 v[64:67], v[64:65], off offset:3584
	v_add_co_u32_e32 v29, vcc, 0, v16
	v_addc_co_u32_e32 v31, vcc, v3, v5, vcc
	v_add_co_u32_e32 v68, vcc, 0, v29
	v_addc_co_u32_e32 v69, vcc, v31, v27, vcc
	v_ashrrev_i64 v[70:71], 29, v[68:69]
	v_mov_b32_e32 v29, s5
	v_add_co_u32_e32 v70, vcc, s4, v70
	v_addc_co_u32_e32 v71, vcc, v29, v71, vcc
	v_ashrrev_i64 v[68:69], 28, v[68:69]
	v_mov_b32_e32 v29, s41
	v_add_co_u32_e32 v68, vcc, s40, v68
	v_addc_co_u32_e32 v69, vcc, v29, v69, vcc
	global_store_dwordx2 v[70:71], v[78:79], off
	s_waitcnt vmcnt(1)
	global_store_dwordx4 v[68:69], v[64:67], off
	s_branch .LBB298_20
.LBB298_149:
	s_endpgm
	.section	.rodata,"a",@progbits
	.p2align	6, 0x0
	.amdhsa_kernel _ZN9rocsparseL35bsr2csr_block_per_row_33_256_kernelILj1024ELj256ELj32E21rocsparse_complex_numIdEilEEv20rocsparse_direction_T4_S4_21rocsparse_index_base_PKT2_PKT3_PKS4_S4_S5_PS6_PS9_PS4_
		.amdhsa_group_segment_fixed_size 0
		.amdhsa_private_segment_fixed_size 0
		.amdhsa_kernarg_size 96
		.amdhsa_user_sgpr_count 6
		.amdhsa_user_sgpr_private_segment_buffer 1
		.amdhsa_user_sgpr_dispatch_ptr 0
		.amdhsa_user_sgpr_queue_ptr 0
		.amdhsa_user_sgpr_kernarg_segment_ptr 1
		.amdhsa_user_sgpr_dispatch_id 0
		.amdhsa_user_sgpr_flat_scratch_init 0
		.amdhsa_user_sgpr_kernarg_preload_length 0
		.amdhsa_user_sgpr_kernarg_preload_offset 0
		.amdhsa_user_sgpr_private_segment_size 0
		.amdhsa_uses_dynamic_stack 0
		.amdhsa_system_sgpr_private_segment_wavefront_offset 0
		.amdhsa_system_sgpr_workgroup_id_x 1
		.amdhsa_system_sgpr_workgroup_id_y 0
		.amdhsa_system_sgpr_workgroup_id_z 0
		.amdhsa_system_sgpr_workgroup_info 0
		.amdhsa_system_vgpr_workitem_id 0
		.amdhsa_next_free_vgpr 89
		.amdhsa_next_free_sgpr 96
		.amdhsa_accum_offset 92
		.amdhsa_reserve_vcc 1
		.amdhsa_reserve_flat_scratch 0
		.amdhsa_float_round_mode_32 0
		.amdhsa_float_round_mode_16_64 0
		.amdhsa_float_denorm_mode_32 3
		.amdhsa_float_denorm_mode_16_64 3
		.amdhsa_dx10_clamp 1
		.amdhsa_ieee_mode 1
		.amdhsa_fp16_overflow 0
		.amdhsa_tg_split 0
		.amdhsa_exception_fp_ieee_invalid_op 0
		.amdhsa_exception_fp_denorm_src 0
		.amdhsa_exception_fp_ieee_div_zero 0
		.amdhsa_exception_fp_ieee_overflow 0
		.amdhsa_exception_fp_ieee_underflow 0
		.amdhsa_exception_fp_ieee_inexact 0
		.amdhsa_exception_int_div_zero 0
	.end_amdhsa_kernel
	.section	.text._ZN9rocsparseL35bsr2csr_block_per_row_33_256_kernelILj1024ELj256ELj32E21rocsparse_complex_numIdEilEEv20rocsparse_direction_T4_S4_21rocsparse_index_base_PKT2_PKT3_PKS4_S4_S5_PS6_PS9_PS4_,"axG",@progbits,_ZN9rocsparseL35bsr2csr_block_per_row_33_256_kernelILj1024ELj256ELj32E21rocsparse_complex_numIdEilEEv20rocsparse_direction_T4_S4_21rocsparse_index_base_PKT2_PKT3_PKS4_S4_S5_PS6_PS9_PS4_,comdat
.Lfunc_end298:
	.size	_ZN9rocsparseL35bsr2csr_block_per_row_33_256_kernelILj1024ELj256ELj32E21rocsparse_complex_numIdEilEEv20rocsparse_direction_T4_S4_21rocsparse_index_base_PKT2_PKT3_PKS4_S4_S5_PS6_PS9_PS4_, .Lfunc_end298-_ZN9rocsparseL35bsr2csr_block_per_row_33_256_kernelILj1024ELj256ELj32E21rocsparse_complex_numIdEilEEv20rocsparse_direction_T4_S4_21rocsparse_index_base_PKT2_PKT3_PKS4_S4_S5_PS6_PS9_PS4_
                                        ; -- End function
	.section	.AMDGPU.csdata,"",@progbits
; Kernel info:
; codeLenInByte = 13324
; NumSgprs: 100
; NumVgprs: 89
; NumAgprs: 0
; TotalNumVgprs: 89
; ScratchSize: 0
; MemoryBound: 0
; FloatMode: 240
; IeeeMode: 1
; LDSByteSize: 0 bytes/workgroup (compile time only)
; SGPRBlocks: 12
; VGPRBlocks: 11
; NumSGPRsForWavesPerEU: 100
; NumVGPRsForWavesPerEU: 89
; AccumOffset: 92
; Occupancy: 5
; WaveLimiterHint : 0
; COMPUTE_PGM_RSRC2:SCRATCH_EN: 0
; COMPUTE_PGM_RSRC2:USER_SGPR: 6
; COMPUTE_PGM_RSRC2:TRAP_HANDLER: 0
; COMPUTE_PGM_RSRC2:TGID_X_EN: 1
; COMPUTE_PGM_RSRC2:TGID_Y_EN: 0
; COMPUTE_PGM_RSRC2:TGID_Z_EN: 0
; COMPUTE_PGM_RSRC2:TIDIG_COMP_CNT: 0
; COMPUTE_PGM_RSRC3_GFX90A:ACCUM_OFFSET: 22
; COMPUTE_PGM_RSRC3_GFX90A:TG_SPLIT: 0
	.section	.text._ZN9rocsparseL35bsr2csr_block_dim_equals_one_kernelILj1024E21rocsparse_complex_numIdEllEEvT2_S3_21rocsparse_index_base_PKT0_PKT1_PKS3_S4_PS5_PS8_PS3_,"axG",@progbits,_ZN9rocsparseL35bsr2csr_block_dim_equals_one_kernelILj1024E21rocsparse_complex_numIdEllEEvT2_S3_21rocsparse_index_base_PKT0_PKT1_PKS3_S4_PS5_PS8_PS3_,comdat
	.globl	_ZN9rocsparseL35bsr2csr_block_dim_equals_one_kernelILj1024E21rocsparse_complex_numIdEllEEvT2_S3_21rocsparse_index_base_PKT0_PKT1_PKS3_S4_PS5_PS8_PS3_ ; -- Begin function _ZN9rocsparseL35bsr2csr_block_dim_equals_one_kernelILj1024E21rocsparse_complex_numIdEllEEvT2_S3_21rocsparse_index_base_PKT0_PKT1_PKS3_S4_PS5_PS8_PS3_
	.p2align	8
	.type	_ZN9rocsparseL35bsr2csr_block_dim_equals_one_kernelILj1024E21rocsparse_complex_numIdEllEEvT2_S3_21rocsparse_index_base_PKT0_PKT1_PKS3_S4_PS5_PS8_PS3_,@function
_ZN9rocsparseL35bsr2csr_block_dim_equals_one_kernelILj1024E21rocsparse_complex_numIdEllEEvT2_S3_21rocsparse_index_base_PKT0_PKT1_PKS3_S4_PS5_PS8_PS3_: ; @_ZN9rocsparseL35bsr2csr_block_dim_equals_one_kernelILj1024E21rocsparse_complex_numIdEllEEvT2_S3_21rocsparse_index_base_PKT0_PKT1_PKS3_S4_PS5_PS8_PS3_
; %bb.0:
	v_lshl_or_b32 v0, s6, 10, v0
	v_mov_b32_e32 v1, 0
	s_load_dwordx2 s[14:15], s[4:5], 0x0
	s_load_dword s22, s[4:5], 0x10
	s_load_dwordx4 s[0:3], s[4:5], 0x18
	s_load_dwordx2 s[8:9], s[4:5], 0x28
	s_load_dword s23, s[4:5], 0x30
	s_load_dwordx2 s[10:11], s[4:5], 0x48
	s_load_dwordx2 s[12:13], s[4:5], 0x38
	s_waitcnt lgkmcnt(0)
	v_cmp_gt_i64_e32 vcc, s[14:15], v[0:1]
	s_and_saveexec_b64 s[6:7], vcc
	s_cbranch_execz .LBB299_6
; %bb.1:
	s_load_dwordx2 s[16:17], s[4:5], 0x40
	v_cmp_ne_u32_e32 vcc, 0, v0
                                        ; implicit-def: $sgpr20_sgpr21
	s_and_saveexec_b64 s[18:19], vcc
	s_xor_b64 s[18:19], exec, s[18:19]
; %bb.2:
	s_sub_u32 s20, s23, s22
	s_subb_u32 s21, 0, 0
; %bb.3:
	s_or_saveexec_b64 s[18:19], s[18:19]
	v_pk_mov_b32 v[2:3], s[20:21], s[20:21] op_sel:[0,1]
	s_xor_b64 exec, exec, s[18:19]
	s_cbranch_execz .LBB299_5
; %bb.4:
	s_load_dwordx2 s[20:21], s[2:3], 0x0
	s_sub_u32 s24, s23, s22
	s_subb_u32 s25, 0, 0
	v_mov_b32_e32 v4, 0
	s_waitcnt lgkmcnt(0)
	s_add_u32 s20, s24, s20
	s_addc_u32 s21, s25, s21
	v_pk_mov_b32 v[2:3], s[20:21], s[20:21] op_sel:[0,1]
	global_store_dwordx2 v4, v[2:3], s[16:17]
	v_pk_mov_b32 v[2:3], s[24:25], s[24:25] op_sel:[0,1]
.LBB299_5:
	s_or_b64 exec, exec, s[18:19]
	v_lshlrev_b64 v[4:5], 3, v[0:1]
	v_mov_b32_e32 v7, s3
	v_add_co_u32_e32 v6, vcc, s2, v4
	v_addc_co_u32_e32 v7, vcc, v7, v5, vcc
	global_load_dwordx2 v[6:7], v[6:7], off offset:8
	s_waitcnt lgkmcnt(0)
	v_mov_b32_e32 v8, s17
	s_waitcnt vmcnt(0)
	v_add_co_u32_e32 v2, vcc, v2, v6
	v_addc_co_u32_e32 v3, vcc, v3, v7, vcc
	v_add_co_u32_e32 v4, vcc, s16, v4
	v_addc_co_u32_e32 v5, vcc, v8, v5, vcc
	global_store_dwordx2 v[4:5], v[2:3], off offset:8
.LBB299_6:
	s_or_b64 exec, exec, s[6:7]
	s_lshl_b64 s[6:7], s[14:15], 3
	s_add_u32 s6, s2, s6
	s_addc_u32 s7, s3, s7
	s_load_dwordx2 s[14:15], s[6:7], 0x0
	s_load_dwordx2 s[16:17], s[2:3], 0x0
	s_waitcnt lgkmcnt(0)
	s_sub_u32 s2, s14, s16
	s_subb_u32 s3, s15, s17
	v_cmp_gt_i64_e32 vcc, s[2:3], v[0:1]
	s_and_saveexec_b64 s[6:7], vcc
	s_cbranch_execz .LBB299_9
; %bb.7:
	s_load_dword s4, s[4:5], 0x50
	s_sub_u32 s18, s23, s22
	s_mov_b32 s5, 0
	s_subb_u32 s19, 0, 0
	v_lshlrev_b64 v[2:3], 4, v[0:1]
	s_waitcnt lgkmcnt(0)
	s_lshl_b32 s4, s4, 10
	s_lshl_b64 s[6:7], s[4:5], 4
	s_lshl_b64 s[14:15], s[4:5], 3
	v_lshlrev_b64 v[4:5], 3, v[0:1]
	s_mov_b64 s[16:17], 0
	v_mov_b32_e32 v6, s9
	v_mov_b32_e32 v7, s19
	;; [unrolled: 1-line block ×8, first 2 shown]
.LBB299_8:                              ; =>This Inner Loop Header: Depth=1
	v_add_co_u32_e32 v18, vcc, s8, v4
	v_addc_co_u32_e32 v19, vcc, v6, v5, vcc
	v_add_co_u32_e32 v20, vcc, s0, v2
	v_addc_co_u32_e32 v21, vcc, v9, v3, vcc
	global_load_dwordx2 v[22:23], v[18:19], off
	global_load_dwordx4 v[14:17], v[20:21], off
	v_add_co_u32_e32 v18, vcc, s10, v4
	v_addc_co_u32_e32 v19, vcc, v8, v5, vcc
	v_add_co_u32_e32 v20, vcc, s12, v2
	v_addc_co_u32_e32 v21, vcc, v10, v3, vcc
	;; [unrolled: 2-line block ×5, first 2 shown]
	v_cmp_le_i64_e32 vcc, s[2:3], v[0:1]
	s_or_b64 s[16:17], vcc, s[16:17]
	s_waitcnt vmcnt(1)
	v_add_co_u32_e32 v22, vcc, s18, v22
	v_addc_co_u32_e32 v23, vcc, v7, v23, vcc
	s_waitcnt vmcnt(0)
	global_store_dwordx4 v[20:21], v[14:17], off
	global_store_dwordx2 v[18:19], v[22:23], off
	s_andn2_b64 exec, exec, s[16:17]
	s_cbranch_execnz .LBB299_8
.LBB299_9:
	s_endpgm
	.section	.rodata,"a",@progbits
	.p2align	6, 0x0
	.amdhsa_kernel _ZN9rocsparseL35bsr2csr_block_dim_equals_one_kernelILj1024E21rocsparse_complex_numIdEllEEvT2_S3_21rocsparse_index_base_PKT0_PKT1_PKS3_S4_PS5_PS8_PS3_
		.amdhsa_group_segment_fixed_size 0
		.amdhsa_private_segment_fixed_size 0
		.amdhsa_kernarg_size 336
		.amdhsa_user_sgpr_count 6
		.amdhsa_user_sgpr_private_segment_buffer 1
		.amdhsa_user_sgpr_dispatch_ptr 0
		.amdhsa_user_sgpr_queue_ptr 0
		.amdhsa_user_sgpr_kernarg_segment_ptr 1
		.amdhsa_user_sgpr_dispatch_id 0
		.amdhsa_user_sgpr_flat_scratch_init 0
		.amdhsa_user_sgpr_kernarg_preload_length 0
		.amdhsa_user_sgpr_kernarg_preload_offset 0
		.amdhsa_user_sgpr_private_segment_size 0
		.amdhsa_uses_dynamic_stack 0
		.amdhsa_system_sgpr_private_segment_wavefront_offset 0
		.amdhsa_system_sgpr_workgroup_id_x 1
		.amdhsa_system_sgpr_workgroup_id_y 0
		.amdhsa_system_sgpr_workgroup_id_z 0
		.amdhsa_system_sgpr_workgroup_info 0
		.amdhsa_system_vgpr_workitem_id 0
		.amdhsa_next_free_vgpr 24
		.amdhsa_next_free_sgpr 26
		.amdhsa_accum_offset 24
		.amdhsa_reserve_vcc 1
		.amdhsa_reserve_flat_scratch 0
		.amdhsa_float_round_mode_32 0
		.amdhsa_float_round_mode_16_64 0
		.amdhsa_float_denorm_mode_32 3
		.amdhsa_float_denorm_mode_16_64 3
		.amdhsa_dx10_clamp 1
		.amdhsa_ieee_mode 1
		.amdhsa_fp16_overflow 0
		.amdhsa_tg_split 0
		.amdhsa_exception_fp_ieee_invalid_op 0
		.amdhsa_exception_fp_denorm_src 0
		.amdhsa_exception_fp_ieee_div_zero 0
		.amdhsa_exception_fp_ieee_overflow 0
		.amdhsa_exception_fp_ieee_underflow 0
		.amdhsa_exception_fp_ieee_inexact 0
		.amdhsa_exception_int_div_zero 0
	.end_amdhsa_kernel
	.section	.text._ZN9rocsparseL35bsr2csr_block_dim_equals_one_kernelILj1024E21rocsparse_complex_numIdEllEEvT2_S3_21rocsparse_index_base_PKT0_PKT1_PKS3_S4_PS5_PS8_PS3_,"axG",@progbits,_ZN9rocsparseL35bsr2csr_block_dim_equals_one_kernelILj1024E21rocsparse_complex_numIdEllEEvT2_S3_21rocsparse_index_base_PKT0_PKT1_PKS3_S4_PS5_PS8_PS3_,comdat
.Lfunc_end299:
	.size	_ZN9rocsparseL35bsr2csr_block_dim_equals_one_kernelILj1024E21rocsparse_complex_numIdEllEEvT2_S3_21rocsparse_index_base_PKT0_PKT1_PKS3_S4_PS5_PS8_PS3_, .Lfunc_end299-_ZN9rocsparseL35bsr2csr_block_dim_equals_one_kernelILj1024E21rocsparse_complex_numIdEllEEvT2_S3_21rocsparse_index_base_PKT0_PKT1_PKS3_S4_PS5_PS8_PS3_
                                        ; -- End function
	.section	.AMDGPU.csdata,"",@progbits
; Kernel info:
; codeLenInByte = 524
; NumSgprs: 30
; NumVgprs: 24
; NumAgprs: 0
; TotalNumVgprs: 24
; ScratchSize: 0
; MemoryBound: 0
; FloatMode: 240
; IeeeMode: 1
; LDSByteSize: 0 bytes/workgroup (compile time only)
; SGPRBlocks: 3
; VGPRBlocks: 2
; NumSGPRsForWavesPerEU: 30
; NumVGPRsForWavesPerEU: 24
; AccumOffset: 24
; Occupancy: 8
; WaveLimiterHint : 0
; COMPUTE_PGM_RSRC2:SCRATCH_EN: 0
; COMPUTE_PGM_RSRC2:USER_SGPR: 6
; COMPUTE_PGM_RSRC2:TRAP_HANDLER: 0
; COMPUTE_PGM_RSRC2:TGID_X_EN: 1
; COMPUTE_PGM_RSRC2:TGID_Y_EN: 0
; COMPUTE_PGM_RSRC2:TGID_Z_EN: 0
; COMPUTE_PGM_RSRC2:TIDIG_COMP_CNT: 0
; COMPUTE_PGM_RSRC3_GFX90A:ACCUM_OFFSET: 5
; COMPUTE_PGM_RSRC3_GFX90A:TG_SPLIT: 0
	.section	.text._ZN9rocsparseL32bsr2csr_block_per_row_2_7_kernelILj256ELj2E21rocsparse_complex_numIdEllEEv20rocsparse_direction_T3_S4_21rocsparse_index_base_PKT1_PKT2_PKS4_S4_S5_PS6_PS9_PS4_,"axG",@progbits,_ZN9rocsparseL32bsr2csr_block_per_row_2_7_kernelILj256ELj2E21rocsparse_complex_numIdEllEEv20rocsparse_direction_T3_S4_21rocsparse_index_base_PKT1_PKT2_PKS4_S4_S5_PS6_PS9_PS4_,comdat
	.globl	_ZN9rocsparseL32bsr2csr_block_per_row_2_7_kernelILj256ELj2E21rocsparse_complex_numIdEllEEv20rocsparse_direction_T3_S4_21rocsparse_index_base_PKT1_PKT2_PKS4_S4_S5_PS6_PS9_PS4_ ; -- Begin function _ZN9rocsparseL32bsr2csr_block_per_row_2_7_kernelILj256ELj2E21rocsparse_complex_numIdEllEEv20rocsparse_direction_T3_S4_21rocsparse_index_base_PKT1_PKT2_PKS4_S4_S5_PS6_PS9_PS4_
	.p2align	8
	.type	_ZN9rocsparseL32bsr2csr_block_per_row_2_7_kernelILj256ELj2E21rocsparse_complex_numIdEllEEv20rocsparse_direction_T3_S4_21rocsparse_index_base_PKT1_PKT2_PKS4_S4_S5_PS6_PS9_PS4_,@function
_ZN9rocsparseL32bsr2csr_block_per_row_2_7_kernelILj256ELj2E21rocsparse_complex_numIdEllEEv20rocsparse_direction_T3_S4_21rocsparse_index_base_PKT1_PKT2_PKS4_S4_S5_PS6_PS9_PS4_: ; @_ZN9rocsparseL32bsr2csr_block_per_row_2_7_kernelILj256ELj2E21rocsparse_complex_numIdEllEEv20rocsparse_direction_T3_S4_21rocsparse_index_base_PKT1_PKT2_PKS4_S4_S5_PS6_PS9_PS4_
; %bb.0:
	s_load_dwordx2 s[2:3], s[4:5], 0x28
	s_load_dword s12, s[4:5], 0x40
	s_load_dwordx2 s[0:1], s[4:5], 0x50
	s_mov_b32 s15, 0
	s_mov_b32 s7, s15
	s_lshl_b64 s[8:9], s[6:7], 3
	s_waitcnt lgkmcnt(0)
	s_add_u32 s2, s2, s8
	s_addc_u32 s3, s3, s9
	s_load_dwordx4 s[8:11], s[2:3], 0x0
	v_or_b32_e32 v1, s6, v0
	s_mov_b32 s13, s15
	v_cmp_eq_u32_e32 vcc, 0, v1
	s_and_saveexec_b64 s[2:3], vcc
	s_cbranch_execz .LBB300_2
; %bb.1:
	v_mov_b32_e32 v1, 0
	v_pk_mov_b32 v[2:3], s[12:13], s[12:13] op_sel:[0,1]
	global_store_dwordx2 v1, v[2:3], s[0:1]
.LBB300_2:
	s_or_b64 exec, exec, s[2:3]
	s_load_dword s14, s[4:5], 0x18
	v_and_b32_e32 v16, 1, v0
	v_lshrrev_b32_e32 v4, 1, v0
	v_mov_b32_e32 v6, s1
	s_waitcnt lgkmcnt(0)
	s_sub_u32 s16, s8, s14
	s_subb_u32 s17, s9, 0
	s_sub_u32 s10, s10, s14
	s_subb_u32 s11, s11, 0
	s_lshl_b64 s[18:19], s[16:17], 2
	s_sub_u32 s20, s10, s16
	s_subb_u32 s21, s11, s17
	s_lshl_b64 s[2:3], s[20:21], 1
	v_mov_b32_e32 v0, s20
	s_add_u32 s20, s2, s12
	s_addc_u32 s3, s3, 0
	s_add_u32 s18, s20, s18
	v_alignbit_b32 v0, s21, v0, 31
	s_addc_u32 s19, s3, s19
	s_lshl_b64 s[6:7], s[6:7], 4
	v_mul_lo_u32 v5, v0, v16
	v_pk_mov_b32 v[0:1], s[18:19], s[18:19] op_sel:[0,1]
	v_lshl_or_b32 v2, v16, 3, s6
	v_mad_u64_u32 v[0:1], s[18:19], s2, v16, v[0:1]
	v_mov_b32_e32 v3, s7
	v_add_co_u32_e32 v2, vcc, s0, v2
	v_add_u32_e32 v1, v5, v1
	v_addc_co_u32_e32 v3, vcc, v6, v3, vcc
	global_store_dwordx2 v[2:3], v[0:1], off offset:8
	v_mov_b32_e32 v1, s17
	v_add_co_u32_e32 v0, vcc, s16, v4
	v_addc_co_u32_e32 v1, vcc, 0, v1, vcc
	v_cmp_gt_i64_e32 vcc, s[10:11], v[0:1]
	s_and_saveexec_b64 s[0:1], vcc
	s_cbranch_execz .LBB300_7
; %bb.3:
	s_load_dwordx2 s[18:19], s[4:5], 0x30
	s_load_dwordx2 s[20:21], s[4:5], 0x48
	s_load_dword s3, s[4:5], 0x0
	s_load_dwordx2 s[6:7], s[4:5], 0x20
	s_load_dwordx2 s[22:23], s[4:5], 0x58
	v_lshlrev_b64 v[2:3], 3, v[0:1]
	s_waitcnt lgkmcnt(0)
	v_mov_b32_e32 v7, s19
	s_cmp_eq_u32 s3, 0
	s_cselect_b64 s[0:1], -1, 0
	s_cmp_lg_u32 s3, 0
	s_cselect_b64 s[4:5], -1, 0
	s_add_u32 s16, s6, 32
	v_add_co_u32_e32 v2, vcc, s18, v2
	v_mul_lo_u32 v6, s2, v16
	s_addc_u32 s17, s7, 0
	v_addc_co_u32_e32 v3, vcc, v7, v3, vcc
	s_lshl_b64 s[2:3], s[8:9], 2
	v_mov_b32_e32 v7, s3
	v_add_co_u32_e32 v6, vcc, s2, v6
	v_addc_co_u32_e32 v5, vcc, v5, v7, vcc
	v_lshlrev_b32_e32 v4, 1, v4
	v_add_co_u32_e32 v4, vcc, v6, v4
	v_addc_co_u32_e32 v5, vcc, 0, v5, vcc
	s_lshl_b64 s[2:3], s[14:15], 2
	v_mov_b32_e32 v6, s3
	v_subrev_co_u32_e32 v10, vcc, s2, v4
	v_subb_co_u32_e32 v11, vcc, v5, v6, vcc
	v_lshlrev_b64 v[4:5], 4, v[10:11]
	v_mov_b32_e32 v6, s21
	v_add_co_u32_e32 v4, vcc, s20, v4
	v_addc_co_u32_e32 v5, vcc, v5, v6, vcc
	v_add_co_u32_e32 v4, vcc, 16, v4
	v_addc_co_u32_e32 v5, vcc, 0, v5, vcc
	v_lshlrev_b64 v[10:11], 3, v[10:11]
	v_mov_b32_e32 v12, s23
	v_add_co_u32_e32 v10, vcc, s22, v10
	v_addc_co_u32_e32 v11, vcc, v11, v12, vcc
	v_add_co_u32_e32 v10, vcc, 8, v10
	v_lshlrev_b64 v[12:13], 6, v[0:1]
	v_addc_co_u32_e32 v11, vcc, 0, v11, vcc
	v_lshl_or_b32 v12, v16, 5, v12
	v_mov_b32_e32 v17, s7
	v_add_co_u32_e32 v12, vcc, s6, v12
	v_addc_co_u32_e32 v13, vcc, v13, v17, vcc
	v_lshlrev_b64 v[6:7], 2, v[0:1]
	v_add_co_u32_e32 v12, vcc, 16, v12
	v_or_b32_e32 v8, v6, v16
	v_mov_b32_e32 v9, v7
	v_addc_co_u32_e32 v13, vcc, 0, v13, vcc
	v_lshl_or_b32 v6, v16, 1, v6
	s_mov_b64 s[8:9], 0
	v_mov_b32_e32 v18, s15
	v_mov_b32_e32 v19, s13
	s_branch .LBB300_5
.LBB300_4:                              ;   in Loop: Header=BB300_5 Depth=1
	global_load_dwordx4 v[20:23], v[14:15], off
	v_add_co_u32_e32 v0, vcc, 0x80, v0
	v_addc_co_u32_e32 v1, vcc, 0, v1, vcc
	v_add_co_u32_e32 v2, vcc, 0x400, v2
	v_addc_co_u32_e32 v3, vcc, 0, v3, vcc
	v_cmp_le_i64_e32 vcc, s[10:11], v[0:1]
	s_or_b64 s[8:9], vcc, s[8:9]
	s_waitcnt vmcnt(0)
	global_store_dwordx4 v[4:5], v[20:23], off
	v_add_co_u32_e32 v4, vcc, 0x1000, v4
	v_addc_co_u32_e32 v5, vcc, 0, v5, vcc
	v_add_co_u32_e32 v8, vcc, 0x200, v8
	v_addc_co_u32_e32 v9, vcc, 0, v9, vcc
	v_add_co_u32_e32 v10, vcc, 0x800, v10
	v_addc_co_u32_e32 v11, vcc, 0, v11, vcc
	v_add_co_u32_e32 v12, vcc, 0x2000, v12
	v_addc_co_u32_e32 v13, vcc, 0, v13, vcc
	v_add_co_u32_e32 v6, vcc, 0x200, v6
	v_addc_co_u32_e32 v7, vcc, 0, v7, vcc
	s_andn2_b64 exec, exec, s[8:9]
	s_cbranch_execz .LBB300_7
.LBB300_5:                              ; =>This Inner Loop Header: Depth=1
	global_load_dwordx2 v[14:15], v[2:3], off
	v_cndmask_b32_e64 v21, v9, v7, s[0:1]
	v_cndmask_b32_e64 v20, v8, v6, s[0:1]
	v_lshlrev_b64 v[20:21], 4, v[20:21]
	v_add_co_u32_e32 v20, vcc, s6, v20
	v_addc_co_u32_e32 v21, vcc, v17, v21, vcc
	global_load_dwordx4 v[20:23], v[20:21], off
	s_andn2_b64 vcc, exec, s[4:5]
	s_waitcnt vmcnt(1)
	v_subrev_co_u32_e64 v14, s[2:3], s14, v14
	v_subb_co_u32_e64 v15, s[2:3], v15, v18, s[2:3]
	v_lshlrev_b64 v[14:15], 1, v[14:15]
	v_add_co_u32_e64 v24, s[2:3], s12, v14
	v_addc_co_u32_e64 v25, s[2:3], v15, v19, s[2:3]
	v_add_co_u32_e64 v26, s[2:3], 1, v24
	v_addc_co_u32_e64 v27, s[2:3], 0, v25, s[2:3]
	v_pk_mov_b32 v[14:15], v[12:13], v[12:13] op_sel:[0,1]
	s_waitcnt vmcnt(0)
	global_store_dwordx4 v[4:5], v[20:23], off offset:-16
	global_store_dwordx4 v[10:11], v[24:27], off offset:-8
	s_cbranch_vccnz .LBB300_4
; %bb.6:                                ;   in Loop: Header=BB300_5 Depth=1
	v_lshlrev_b64 v[14:15], 6, v[0:1]
	v_lshl_or_b32 v14, v16, 4, v14
	v_mov_b32_e32 v20, s17
	v_add_co_u32_e32 v14, vcc, s16, v14
	v_addc_co_u32_e32 v15, vcc, v20, v15, vcc
	s_branch .LBB300_4
.LBB300_7:
	s_endpgm
	.section	.rodata,"a",@progbits
	.p2align	6, 0x0
	.amdhsa_kernel _ZN9rocsparseL32bsr2csr_block_per_row_2_7_kernelILj256ELj2E21rocsparse_complex_numIdEllEEv20rocsparse_direction_T3_S4_21rocsparse_index_base_PKT1_PKT2_PKS4_S4_S5_PS6_PS9_PS4_
		.amdhsa_group_segment_fixed_size 0
		.amdhsa_private_segment_fixed_size 0
		.amdhsa_kernarg_size 96
		.amdhsa_user_sgpr_count 6
		.amdhsa_user_sgpr_private_segment_buffer 1
		.amdhsa_user_sgpr_dispatch_ptr 0
		.amdhsa_user_sgpr_queue_ptr 0
		.amdhsa_user_sgpr_kernarg_segment_ptr 1
		.amdhsa_user_sgpr_dispatch_id 0
		.amdhsa_user_sgpr_flat_scratch_init 0
		.amdhsa_user_sgpr_kernarg_preload_length 0
		.amdhsa_user_sgpr_kernarg_preload_offset 0
		.amdhsa_user_sgpr_private_segment_size 0
		.amdhsa_uses_dynamic_stack 0
		.amdhsa_system_sgpr_private_segment_wavefront_offset 0
		.amdhsa_system_sgpr_workgroup_id_x 1
		.amdhsa_system_sgpr_workgroup_id_y 0
		.amdhsa_system_sgpr_workgroup_id_z 0
		.amdhsa_system_sgpr_workgroup_info 0
		.amdhsa_system_vgpr_workitem_id 0
		.amdhsa_next_free_vgpr 28
		.amdhsa_next_free_sgpr 24
		.amdhsa_accum_offset 28
		.amdhsa_reserve_vcc 1
		.amdhsa_reserve_flat_scratch 0
		.amdhsa_float_round_mode_32 0
		.amdhsa_float_round_mode_16_64 0
		.amdhsa_float_denorm_mode_32 3
		.amdhsa_float_denorm_mode_16_64 3
		.amdhsa_dx10_clamp 1
		.amdhsa_ieee_mode 1
		.amdhsa_fp16_overflow 0
		.amdhsa_tg_split 0
		.amdhsa_exception_fp_ieee_invalid_op 0
		.amdhsa_exception_fp_denorm_src 0
		.amdhsa_exception_fp_ieee_div_zero 0
		.amdhsa_exception_fp_ieee_overflow 0
		.amdhsa_exception_fp_ieee_underflow 0
		.amdhsa_exception_fp_ieee_inexact 0
		.amdhsa_exception_int_div_zero 0
	.end_amdhsa_kernel
	.section	.text._ZN9rocsparseL32bsr2csr_block_per_row_2_7_kernelILj256ELj2E21rocsparse_complex_numIdEllEEv20rocsparse_direction_T3_S4_21rocsparse_index_base_PKT1_PKT2_PKS4_S4_S5_PS6_PS9_PS4_,"axG",@progbits,_ZN9rocsparseL32bsr2csr_block_per_row_2_7_kernelILj256ELj2E21rocsparse_complex_numIdEllEEv20rocsparse_direction_T3_S4_21rocsparse_index_base_PKT1_PKT2_PKS4_S4_S5_PS6_PS9_PS4_,comdat
.Lfunc_end300:
	.size	_ZN9rocsparseL32bsr2csr_block_per_row_2_7_kernelILj256ELj2E21rocsparse_complex_numIdEllEEv20rocsparse_direction_T3_S4_21rocsparse_index_base_PKT1_PKT2_PKS4_S4_S5_PS6_PS9_PS4_, .Lfunc_end300-_ZN9rocsparseL32bsr2csr_block_per_row_2_7_kernelILj256ELj2E21rocsparse_complex_numIdEllEEv20rocsparse_direction_T3_S4_21rocsparse_index_base_PKT1_PKT2_PKS4_S4_S5_PS6_PS9_PS4_
                                        ; -- End function
	.section	.AMDGPU.csdata,"",@progbits
; Kernel info:
; codeLenInByte = 840
; NumSgprs: 28
; NumVgprs: 28
; NumAgprs: 0
; TotalNumVgprs: 28
; ScratchSize: 0
; MemoryBound: 0
; FloatMode: 240
; IeeeMode: 1
; LDSByteSize: 0 bytes/workgroup (compile time only)
; SGPRBlocks: 3
; VGPRBlocks: 3
; NumSGPRsForWavesPerEU: 28
; NumVGPRsForWavesPerEU: 28
; AccumOffset: 28
; Occupancy: 8
; WaveLimiterHint : 0
; COMPUTE_PGM_RSRC2:SCRATCH_EN: 0
; COMPUTE_PGM_RSRC2:USER_SGPR: 6
; COMPUTE_PGM_RSRC2:TRAP_HANDLER: 0
; COMPUTE_PGM_RSRC2:TGID_X_EN: 1
; COMPUTE_PGM_RSRC2:TGID_Y_EN: 0
; COMPUTE_PGM_RSRC2:TGID_Z_EN: 0
; COMPUTE_PGM_RSRC2:TIDIG_COMP_CNT: 0
; COMPUTE_PGM_RSRC3_GFX90A:ACCUM_OFFSET: 6
; COMPUTE_PGM_RSRC3_GFX90A:TG_SPLIT: 0
	.section	.text._ZN9rocsparseL32bsr2csr_block_per_row_2_7_kernelILj256ELj3E21rocsparse_complex_numIdEllEEv20rocsparse_direction_T3_S4_21rocsparse_index_base_PKT1_PKT2_PKS4_S4_S5_PS6_PS9_PS4_,"axG",@progbits,_ZN9rocsparseL32bsr2csr_block_per_row_2_7_kernelILj256ELj3E21rocsparse_complex_numIdEllEEv20rocsparse_direction_T3_S4_21rocsparse_index_base_PKT1_PKT2_PKS4_S4_S5_PS6_PS9_PS4_,comdat
	.globl	_ZN9rocsparseL32bsr2csr_block_per_row_2_7_kernelILj256ELj3E21rocsparse_complex_numIdEllEEv20rocsparse_direction_T3_S4_21rocsparse_index_base_PKT1_PKT2_PKS4_S4_S5_PS6_PS9_PS4_ ; -- Begin function _ZN9rocsparseL32bsr2csr_block_per_row_2_7_kernelILj256ELj3E21rocsparse_complex_numIdEllEEv20rocsparse_direction_T3_S4_21rocsparse_index_base_PKT1_PKT2_PKS4_S4_S5_PS6_PS9_PS4_
	.p2align	8
	.type	_ZN9rocsparseL32bsr2csr_block_per_row_2_7_kernelILj256ELj3E21rocsparse_complex_numIdEllEEv20rocsparse_direction_T3_S4_21rocsparse_index_base_PKT1_PKT2_PKS4_S4_S5_PS6_PS9_PS4_,@function
_ZN9rocsparseL32bsr2csr_block_per_row_2_7_kernelILj256ELj3E21rocsparse_complex_numIdEllEEv20rocsparse_direction_T3_S4_21rocsparse_index_base_PKT1_PKT2_PKS4_S4_S5_PS6_PS9_PS4_: ; @_ZN9rocsparseL32bsr2csr_block_per_row_2_7_kernelILj256ELj3E21rocsparse_complex_numIdEllEEv20rocsparse_direction_T3_S4_21rocsparse_index_base_PKT1_PKT2_PKS4_S4_S5_PS6_PS9_PS4_
; %bb.0:
	s_load_dwordx2 s[2:3], s[4:5], 0x28
	s_load_dword s12, s[4:5], 0x40
	s_load_dwordx2 s[0:1], s[4:5], 0x50
	s_mov_b32 s7, 0
	s_lshl_b64 s[8:9], s[6:7], 3
	s_waitcnt lgkmcnt(0)
	s_add_u32 s2, s2, s8
	v_or_b32_e32 v1, s6, v0
	s_addc_u32 s3, s3, s9
	v_cmp_eq_u32_e32 vcc, 0, v1
	s_and_saveexec_b64 s[8:9], vcc
	s_cbranch_execz .LBB301_2
; %bb.1:
	v_mov_b32_e32 v2, s12
	v_mov_b32_e32 v3, 0
	global_store_dwordx2 v3, v[2:3], s[0:1]
.LBB301_2:
	s_or_b64 exec, exec, s[8:9]
	v_and_b32_e32 v12, 3, v0
	v_cmp_ne_u32_e32 vcc, 3, v12
	s_and_saveexec_b64 s[8:9], vcc
	s_cbranch_execz .LBB301_6
; %bb.3:
	s_load_dwordx4 s[8:11], s[2:3], 0x0
	s_load_dword s7, s[4:5], 0x18
	v_lshrrev_b32_e32 v8, 2, v0
	v_lshlrev_b32_e32 v3, 3, v12
	s_mov_b32 s2, 0
	s_waitcnt lgkmcnt(0)
	s_sub_u32 s16, s8, s7
	s_subb_u32 s17, s9, 0
	s_sub_u32 s10, s10, s7
	s_mul_i32 s3, s17, 9
	s_mul_hi_u32 s13, s16, 9
	s_subb_u32 s11, s11, 0
	s_add_i32 s15, s13, s3
	s_sub_u32 s3, s10, s16
	s_subb_u32 s13, s11, s17
	s_mul_i32 s13, s13, 3
	s_mul_hi_u32 s18, s3, 3
	s_add_i32 s18, s18, s13
	s_mul_i32 s3, s3, 3
	s_add_u32 s19, s3, s12
	s_mul_i32 s14, s16, 9
	v_mul_lo_u32 v2, s18, v12
	s_addc_u32 s18, s18, 0
	s_add_u32 s14, s19, s14
	s_addc_u32 s15, s18, s15
	v_pk_mov_b32 v[0:1], s[14:15], s[14:15] op_sel:[0,1]
	v_mad_u64_u32 v[0:1], s[14:15], s3, v12, v[0:1]
	s_mul_hi_u32 s14, s6, 24
	s_mul_i32 s6, s6, 24
	s_add_u32 s0, s0, s6
	v_add_u32_e32 v1, v2, v1
	s_addc_u32 s1, s1, s14
	global_store_dwordx2 v3, v[0:1], s[0:1] offset:8
	v_mov_b32_e32 v1, s17
	v_add_co_u32_e32 v0, vcc, s16, v8
	v_addc_co_u32_e32 v1, vcc, 0, v1, vcc
	v_cmp_gt_i64_e32 vcc, s[10:11], v[0:1]
	s_and_b64 exec, exec, vcc
	s_cbranch_execz .LBB301_6
; %bb.4:
	s_load_dwordx2 s[14:15], s[4:5], 0x30
	s_load_dwordx2 s[16:17], s[4:5], 0x48
	;; [unrolled: 1-line block ×3, first 2 shown]
	s_load_dword s6, s[4:5], 0x0
	s_load_dwordx2 s[20:21], s[4:5], 0x58
	v_mad_u64_u32 v[10:11], s[0:1], s3, v12, 0
	s_movk_i32 s3, 0x90
	s_waitcnt lgkmcnt(0)
	v_pk_mov_b32 v[6:7], s[18:19], s[18:19] op_sel:[0,1]
	v_mad_u64_u32 v[6:7], s[4:5], v0, s3, v[6:7]
	v_add_u32_e32 v11, v11, v2
	v_mov_b32_e32 v14, v7
	v_mad_u64_u32 v[14:15], s[4:5], v1, s3, v[14:15]
	v_mad_u64_u32 v[10:11], s[4:5], s8, 9, v[10:11]
	v_mov_b32_e32 v5, v14
	v_mov_b32_e32 v14, v11
	v_mad_u64_u32 v[14:15], s[4:5], s9, 9, v[14:15]
	v_lshlrev_b64 v[2:3], 3, v[0:1]
	v_mov_b32_e32 v11, v14
	v_mov_b32_e32 v4, s15
	v_add_co_u32_e32 v2, vcc, s14, v2
	v_mad_u64_u32 v[8:9], s[4:5], v8, 3, v[10:11]
	v_addc_co_u32_e32 v3, vcc, v4, v3, vcc
	s_mul_hi_u32 s3, s7, 9
	s_mul_i32 s4, s7, 9
	v_mov_b32_e32 v7, s3
	v_subrev_co_u32_e32 v10, vcc, s4, v8
	v_subb_co_u32_e32 v11, vcc, v9, v7, vcc
	v_lshlrev_b64 v[8:9], 4, v[10:11]
	v_mov_b32_e32 v7, s17
	v_add_co_u32_e32 v8, vcc, s16, v8
	v_addc_co_u32_e32 v7, vcc, v9, v7, vcc
	v_add_co_u32_e32 v8, vcc, 16, v8
	v_addc_co_u32_e32 v9, vcc, 0, v7, vcc
	v_lshlrev_b64 v[10:11], 3, v[10:11]
	v_mov_b32_e32 v7, s21
	v_add_co_u32_e32 v10, vcc, s20, v10
	v_addc_co_u32_e32 v7, vcc, v11, v7, vcc
	s_cmp_eq_u32 s6, 0
	v_add_co_u32_e32 v10, vcc, 8, v10
	s_mov_b32 s13, s2
	s_cselect_b64 s[0:1], -1, 0
	v_lshlrev_b32_e32 v4, 4, v12
	v_addc_co_u32_e32 v11, vcc, 0, v7, vcc
	v_mul_hi_u32_u24_e32 v7, 48, v12
	v_mul_u32_u24_e32 v12, 48, v12
	s_mov_b64 s[4:5], 0
	v_mov_b32_e32 v13, s2
	s_movk_i32 s6, 0x60
	s_movk_i32 s8, 0x200
	;; [unrolled: 1-line block ×3, first 2 shown]
.LBB301_5:                              ; =>This Inner Loop Header: Depth=1
	v_add_co_u32_e32 v16, vcc, v6, v4
	v_addc_co_u32_e32 v17, vcc, 0, v5, vcc
	v_add_co_u32_e32 v18, vcc, v6, v12
	v_addc_co_u32_e32 v19, vcc, v5, v7, vcc
	v_add_co_u32_e32 v20, vcc, 16, v18
	v_addc_co_u32_e32 v21, vcc, 0, v19, vcc
	v_add_co_u32_e32 v22, vcc, 48, v16
	v_addc_co_u32_e32 v23, vcc, 0, v17, vcc
	v_cndmask_b32_e64 v14, v16, v18, s[0:1]
	v_add_co_u32_e32 v18, vcc, 32, v18
	v_cndmask_b32_e64 v15, v17, v19, s[0:1]
	v_addc_co_u32_e32 v19, vcc, 0, v19, vcc
	global_load_dwordx2 v[26:27], v[2:3], off
	v_add_co_u32_e32 v24, vcc, s6, v16
	v_addc_co_u32_e32 v25, vcc, 0, v17, vcc
	v_cndmask_b32_e64 v29, v23, v21, s[0:1]
	v_cndmask_b32_e64 v28, v22, v20, s[0:1]
	global_load_dwordx4 v[14:17], v[14:15], off
	v_cndmask_b32_e64 v31, v25, v19, s[0:1]
	v_cndmask_b32_e64 v30, v24, v18, s[0:1]
	global_load_dwordx4 v[18:21], v[28:29], off
	global_load_dwordx4 v[22:25], v[30:31], off
	v_add_co_u32_e32 v0, vcc, 64, v0
	v_addc_co_u32_e32 v1, vcc, 0, v1, vcc
	v_add_co_u32_e32 v2, vcc, s8, v2
	v_addc_co_u32_e32 v3, vcc, 0, v3, vcc
	;; [unrolled: 2-line block ×3, first 2 shown]
	v_cmp_le_i64_e64 s[2:3], s[10:11], v[0:1]
	s_or_b64 s[4:5], s[2:3], s[4:5]
	s_waitcnt vmcnt(3)
	v_subrev_co_u32_e32 v26, vcc, s7, v26
	v_subb_co_u32_e32 v29, vcc, v27, v13, vcc
	v_mad_u64_u32 v[26:27], s[2:3], v26, 3, s[12:13]
	v_mov_b32_e32 v28, v27
	s_waitcnt vmcnt(2)
	global_store_dwordx4 v[8:9], v[14:17], off offset:-16
	s_waitcnt vmcnt(2)
	global_store_dwordx4 v[8:9], v[18:21], off
	s_waitcnt vmcnt(2)
	global_store_dwordx4 v[8:9], v[22:25], off offset:16
	v_add_co_u32_e32 v8, vcc, 0xc00, v8
	v_mad_u64_u32 v[16:17], s[2:3], v29, 3, v[28:29]
	v_addc_co_u32_e32 v9, vcc, 0, v9, vcc
	v_mov_b32_e32 v19, v16
	v_mov_b32_e32 v15, v16
	v_add_co_u32_e64 v18, s[2:3], 2, v26
	v_add_co_u32_e32 v16, vcc, 1, v26
	v_mov_b32_e32 v14, v26
	v_addc_co_u32_e32 v17, vcc, 0, v19, vcc
	v_addc_co_u32_e64 v19, vcc, 0, v19, s[2:3]
	global_store_dwordx4 v[10:11], v[14:17], off offset:-8
	global_store_dwordx2 v[10:11], v[18:19], off offset:8
	v_add_co_u32_e32 v10, vcc, 0x600, v10
	v_addc_co_u32_e32 v11, vcc, 0, v11, vcc
	s_andn2_b64 exec, exec, s[4:5]
	s_cbranch_execnz .LBB301_5
.LBB301_6:
	s_endpgm
	.section	.rodata,"a",@progbits
	.p2align	6, 0x0
	.amdhsa_kernel _ZN9rocsparseL32bsr2csr_block_per_row_2_7_kernelILj256ELj3E21rocsparse_complex_numIdEllEEv20rocsparse_direction_T3_S4_21rocsparse_index_base_PKT1_PKT2_PKS4_S4_S5_PS6_PS9_PS4_
		.amdhsa_group_segment_fixed_size 0
		.amdhsa_private_segment_fixed_size 0
		.amdhsa_kernarg_size 96
		.amdhsa_user_sgpr_count 6
		.amdhsa_user_sgpr_private_segment_buffer 1
		.amdhsa_user_sgpr_dispatch_ptr 0
		.amdhsa_user_sgpr_queue_ptr 0
		.amdhsa_user_sgpr_kernarg_segment_ptr 1
		.amdhsa_user_sgpr_dispatch_id 0
		.amdhsa_user_sgpr_flat_scratch_init 0
		.amdhsa_user_sgpr_kernarg_preload_length 0
		.amdhsa_user_sgpr_kernarg_preload_offset 0
		.amdhsa_user_sgpr_private_segment_size 0
		.amdhsa_uses_dynamic_stack 0
		.amdhsa_system_sgpr_private_segment_wavefront_offset 0
		.amdhsa_system_sgpr_workgroup_id_x 1
		.amdhsa_system_sgpr_workgroup_id_y 0
		.amdhsa_system_sgpr_workgroup_id_z 0
		.amdhsa_system_sgpr_workgroup_info 0
		.amdhsa_system_vgpr_workitem_id 0
		.amdhsa_next_free_vgpr 32
		.amdhsa_next_free_sgpr 22
		.amdhsa_accum_offset 32
		.amdhsa_reserve_vcc 1
		.amdhsa_reserve_flat_scratch 0
		.amdhsa_float_round_mode_32 0
		.amdhsa_float_round_mode_16_64 0
		.amdhsa_float_denorm_mode_32 3
		.amdhsa_float_denorm_mode_16_64 3
		.amdhsa_dx10_clamp 1
		.amdhsa_ieee_mode 1
		.amdhsa_fp16_overflow 0
		.amdhsa_tg_split 0
		.amdhsa_exception_fp_ieee_invalid_op 0
		.amdhsa_exception_fp_denorm_src 0
		.amdhsa_exception_fp_ieee_div_zero 0
		.amdhsa_exception_fp_ieee_overflow 0
		.amdhsa_exception_fp_ieee_underflow 0
		.amdhsa_exception_fp_ieee_inexact 0
		.amdhsa_exception_int_div_zero 0
	.end_amdhsa_kernel
	.section	.text._ZN9rocsparseL32bsr2csr_block_per_row_2_7_kernelILj256ELj3E21rocsparse_complex_numIdEllEEv20rocsparse_direction_T3_S4_21rocsparse_index_base_PKT1_PKT2_PKS4_S4_S5_PS6_PS9_PS4_,"axG",@progbits,_ZN9rocsparseL32bsr2csr_block_per_row_2_7_kernelILj256ELj3E21rocsparse_complex_numIdEllEEv20rocsparse_direction_T3_S4_21rocsparse_index_base_PKT1_PKT2_PKS4_S4_S5_PS6_PS9_PS4_,comdat
.Lfunc_end301:
	.size	_ZN9rocsparseL32bsr2csr_block_per_row_2_7_kernelILj256ELj3E21rocsparse_complex_numIdEllEEv20rocsparse_direction_T3_S4_21rocsparse_index_base_PKT1_PKT2_PKS4_S4_S5_PS6_PS9_PS4_, .Lfunc_end301-_ZN9rocsparseL32bsr2csr_block_per_row_2_7_kernelILj256ELj3E21rocsparse_complex_numIdEllEEv20rocsparse_direction_T3_S4_21rocsparse_index_base_PKT1_PKT2_PKS4_S4_S5_PS6_PS9_PS4_
                                        ; -- End function
	.section	.AMDGPU.csdata,"",@progbits
; Kernel info:
; codeLenInByte = 860
; NumSgprs: 26
; NumVgprs: 32
; NumAgprs: 0
; TotalNumVgprs: 32
; ScratchSize: 0
; MemoryBound: 0
; FloatMode: 240
; IeeeMode: 1
; LDSByteSize: 0 bytes/workgroup (compile time only)
; SGPRBlocks: 3
; VGPRBlocks: 3
; NumSGPRsForWavesPerEU: 26
; NumVGPRsForWavesPerEU: 32
; AccumOffset: 32
; Occupancy: 8
; WaveLimiterHint : 0
; COMPUTE_PGM_RSRC2:SCRATCH_EN: 0
; COMPUTE_PGM_RSRC2:USER_SGPR: 6
; COMPUTE_PGM_RSRC2:TRAP_HANDLER: 0
; COMPUTE_PGM_RSRC2:TGID_X_EN: 1
; COMPUTE_PGM_RSRC2:TGID_Y_EN: 0
; COMPUTE_PGM_RSRC2:TGID_Z_EN: 0
; COMPUTE_PGM_RSRC2:TIDIG_COMP_CNT: 0
; COMPUTE_PGM_RSRC3_GFX90A:ACCUM_OFFSET: 7
; COMPUTE_PGM_RSRC3_GFX90A:TG_SPLIT: 0
	.section	.text._ZN9rocsparseL32bsr2csr_block_per_row_2_7_kernelILj256ELj4E21rocsparse_complex_numIdEllEEv20rocsparse_direction_T3_S4_21rocsparse_index_base_PKT1_PKT2_PKS4_S4_S5_PS6_PS9_PS4_,"axG",@progbits,_ZN9rocsparseL32bsr2csr_block_per_row_2_7_kernelILj256ELj4E21rocsparse_complex_numIdEllEEv20rocsparse_direction_T3_S4_21rocsparse_index_base_PKT1_PKT2_PKS4_S4_S5_PS6_PS9_PS4_,comdat
	.globl	_ZN9rocsparseL32bsr2csr_block_per_row_2_7_kernelILj256ELj4E21rocsparse_complex_numIdEllEEv20rocsparse_direction_T3_S4_21rocsparse_index_base_PKT1_PKT2_PKS4_S4_S5_PS6_PS9_PS4_ ; -- Begin function _ZN9rocsparseL32bsr2csr_block_per_row_2_7_kernelILj256ELj4E21rocsparse_complex_numIdEllEEv20rocsparse_direction_T3_S4_21rocsparse_index_base_PKT1_PKT2_PKS4_S4_S5_PS6_PS9_PS4_
	.p2align	8
	.type	_ZN9rocsparseL32bsr2csr_block_per_row_2_7_kernelILj256ELj4E21rocsparse_complex_numIdEllEEv20rocsparse_direction_T3_S4_21rocsparse_index_base_PKT1_PKT2_PKS4_S4_S5_PS6_PS9_PS4_,@function
_ZN9rocsparseL32bsr2csr_block_per_row_2_7_kernelILj256ELj4E21rocsparse_complex_numIdEllEEv20rocsparse_direction_T3_S4_21rocsparse_index_base_PKT1_PKT2_PKS4_S4_S5_PS6_PS9_PS4_: ; @_ZN9rocsparseL32bsr2csr_block_per_row_2_7_kernelILj256ELj4E21rocsparse_complex_numIdEllEEv20rocsparse_direction_T3_S4_21rocsparse_index_base_PKT1_PKT2_PKS4_S4_S5_PS6_PS9_PS4_
; %bb.0:
	s_load_dwordx2 s[2:3], s[4:5], 0x28
	s_load_dword s12, s[4:5], 0x40
	s_load_dwordx2 s[0:1], s[4:5], 0x50
	s_mov_b32 s15, 0
	s_mov_b32 s7, s15
	s_lshl_b64 s[8:9], s[6:7], 3
	s_waitcnt lgkmcnt(0)
	s_add_u32 s2, s2, s8
	s_addc_u32 s3, s3, s9
	s_load_dwordx4 s[8:11], s[2:3], 0x0
	v_or_b32_e32 v1, s6, v0
	s_mov_b32 s13, s15
	v_cmp_eq_u32_e32 vcc, 0, v1
	s_and_saveexec_b64 s[2:3], vcc
	s_cbranch_execz .LBB302_2
; %bb.1:
	v_mov_b32_e32 v1, 0
	v_pk_mov_b32 v[2:3], s[12:13], s[12:13] op_sel:[0,1]
	global_store_dwordx2 v1, v[2:3], s[0:1]
.LBB302_2:
	s_or_b64 exec, exec, s[2:3]
	s_load_dword s14, s[4:5], 0x18
	v_and_b32_e32 v20, 3, v0
	v_mov_b32_e32 v6, s1
	v_lshrrev_b32_e32 v0, 2, v0
	s_waitcnt lgkmcnt(0)
	s_sub_u32 s16, s8, s14
	s_subb_u32 s17, s9, 0
	s_sub_u32 s10, s10, s14
	s_subb_u32 s11, s11, 0
	s_lshl_b64 s[18:19], s[16:17], 4
	s_sub_u32 s20, s10, s16
	s_subb_u32 s21, s11, s17
	s_lshl_b64 s[2:3], s[20:21], 2
	v_mov_b32_e32 v1, s20
	s_add_u32 s20, s2, s12
	s_addc_u32 s3, s3, 0
	s_add_u32 s18, s20, s18
	s_addc_u32 s19, s3, s19
	s_lshl_b64 s[6:7], s[6:7], 5
	v_alignbit_b32 v1, s21, v1, 30
	v_pk_mov_b32 v[2:3], s[18:19], s[18:19] op_sel:[0,1]
	v_lshl_or_b32 v4, v20, 3, s6
	v_mul_lo_u32 v1, v1, v20
	v_mad_u64_u32 v[2:3], s[18:19], s2, v20, v[2:3]
	v_mov_b32_e32 v5, s7
	v_add_co_u32_e32 v4, vcc, s0, v4
	v_add_u32_e32 v3, v1, v3
	v_addc_co_u32_e32 v5, vcc, v6, v5, vcc
	global_store_dwordx2 v[4:5], v[2:3], off offset:8
	v_mov_b32_e32 v2, s17
	v_add_co_u32_e32 v4, vcc, s16, v0
	v_addc_co_u32_e32 v5, vcc, 0, v2, vcc
	v_cmp_gt_i64_e32 vcc, s[10:11], v[4:5]
	s_and_saveexec_b64 s[0:1], vcc
	s_cbranch_execz .LBB302_15
; %bb.3:
	s_load_dwordx2 s[24:25], s[4:5], 0x30
	s_load_dwordx2 s[26:27], s[4:5], 0x48
	;; [unrolled: 1-line block ×3, first 2 shown]
	s_load_dword s3, s[4:5], 0x0
	s_load_dwordx2 s[28:29], s[4:5], 0x58
	v_mad_u64_u32 v[2:3], s[0:1], s2, v20, 0
	v_lshlrev_b64 v[6:7], 3, v[4:5]
	s_waitcnt lgkmcnt(0)
	s_cmp_eq_u32 s3, 0
	s_cselect_b64 s[0:1], -1, 0
	s_cmp_lg_u32 s3, 0
	s_cselect_b64 s[16:17], -1, 0
	s_add_u32 s18, s6, 64
	s_addc_u32 s19, s7, 0
	s_add_u32 s20, s6, 0x80
	s_addc_u32 s21, s7, 0
	v_add_u32_e32 v1, v3, v1
	s_add_u32 s22, s6, 0xc0
	v_mov_b32_e32 v3, s25
	v_add_co_u32_e32 v6, vcc, s24, v6
	s_addc_u32 s23, s7, 0
	v_addc_co_u32_e32 v7, vcc, v3, v7, vcc
	s_lshl_b64 s[2:3], s[8:9], 4
	v_mov_b32_e32 v3, s3
	v_add_co_u32_e32 v2, vcc, s2, v2
	v_addc_co_u32_e32 v1, vcc, v1, v3, vcc
	v_lshlrev_b32_e32 v0, 2, v0
	v_add_co_u32_e32 v0, vcc, v2, v0
	v_addc_co_u32_e32 v1, vcc, 0, v1, vcc
	s_lshl_b64 s[2:3], s[14:15], 4
	v_mov_b32_e32 v2, s3
	v_subrev_co_u32_e32 v0, vcc, s2, v0
	v_subb_co_u32_e32 v1, vcc, v1, v2, vcc
	v_lshlrev_b64 v[2:3], 4, v[0:1]
	v_mov_b32_e32 v12, s27
	v_add_co_u32_e32 v2, vcc, s26, v2
	v_addc_co_u32_e32 v3, vcc, v3, v12, vcc
	v_add_co_u32_e32 v12, vcc, 32, v2
	v_addc_co_u32_e32 v13, vcc, 0, v3, vcc
	v_lshlrev_b64 v[2:3], 8, v[4:5]
	v_lshl_or_b32 v2, v20, 6, v2
	v_mov_b32_e32 v21, s7
	v_add_co_u32_e32 v2, vcc, s6, v2
	v_addc_co_u32_e32 v3, vcc, v3, v21, vcc
	v_add_co_u32_e32 v14, vcc, 48, v2
	v_addc_co_u32_e32 v15, vcc, 0, v3, vcc
	v_lshlrev_b64 v[0:1], 3, v[0:1]
	v_mov_b32_e32 v2, s29
	v_add_co_u32_e32 v0, vcc, s28, v0
	v_addc_co_u32_e32 v1, vcc, v1, v2, vcc
	v_lshlrev_b64 v[8:9], 4, v[4:5]
	v_add_co_u32_e32 v16, vcc, 16, v0
	v_or_b32_e32 v10, v8, v20
	v_mov_b32_e32 v11, v9
	v_lshl_or_b32 v8, v20, 2, v8
	v_addc_co_u32_e32 v17, vcc, 0, v1, vcc
	s_mov_b64 s[8:9], 0
	v_mov_b32_e32 v22, s15
	v_mov_b32_e32 v23, s13
	v_cndmask_b32_e64 v24, 0, 1, s[16:17]
	s_branch .LBB302_5
.LBB302_4:                              ;   in Loop: Header=BB302_5 Depth=1
	global_load_dwordx4 v[0:3], v[0:1], off
	v_add_co_u32_e32 v4, vcc, 64, v4
	v_addc_co_u32_e32 v5, vcc, 0, v5, vcc
	v_add_co_u32_e32 v6, vcc, 0x200, v6
	v_addc_co_u32_e32 v7, vcc, 0, v7, vcc
	;; [unrolled: 2-line block ×4, first 2 shown]
	v_cmp_le_i64_e64 s[2:3], s[10:11], v[4:5]
	s_or_b64 s[8:9], s[2:3], s[8:9]
	s_waitcnt vmcnt(0)
	global_store_dwordx4 v[12:13], v[0:3], off offset:16
	v_add_co_u32_e32 v12, vcc, 0x1000, v12
	v_addc_co_u32_e32 v13, vcc, 0, v13, vcc
	v_add_co_u32_e32 v14, vcc, 0x4000, v14
	v_addc_co_u32_e32 v15, vcc, 0, v15, vcc
	;; [unrolled: 2-line block ×3, first 2 shown]
	s_andn2_b64 exec, exec, s[8:9]
	s_cbranch_execz .LBB302_15
.LBB302_5:                              ; =>This Inner Loop Header: Depth=1
	global_load_dwordx2 v[0:1], v[6:7], off
	v_cndmask_b32_e64 v3, v11, v9, s[0:1]
	v_cndmask_b32_e64 v2, v10, v8, s[0:1]
	v_lshlrev_b64 v[2:3], 4, v[2:3]
	v_add_co_u32_e32 v2, vcc, s6, v2
	v_addc_co_u32_e32 v3, vcc, v21, v3, vcc
	global_load_dwordx4 v[26:29], v[2:3], off
	v_lshlrev_b64 v[18:19], 4, v[4:5]
	v_or_b32_e32 v18, v18, v20
	v_cmp_ne_u32_e64 s[2:3], 1, v24
	s_andn2_b64 vcc, exec, s[16:17]
	s_waitcnt vmcnt(1)
	v_subrev_co_u32_e64 v0, s[4:5], s14, v0
	v_subb_co_u32_e64 v1, s[4:5], v1, v22, s[4:5]
	v_lshlrev_b64 v[0:1], 2, v[0:1]
	v_add_co_u32_e64 v0, s[4:5], s12, v0
	v_addc_co_u32_e64 v1, s[4:5], v1, v23, s[4:5]
	v_add_co_u32_e64 v2, s[4:5], 1, v0
	v_addc_co_u32_e64 v3, s[4:5], 0, v1, s[4:5]
	global_store_dwordx4 v[16:17], v[0:3], off offset:-16
	s_waitcnt vmcnt(1)
	global_store_dwordx4 v[12:13], v[26:29], off offset:-32
	v_lshlrev_b64 v[2:3], 4, v[18:19]
	s_cbranch_vccnz .LBB302_7
; %bb.6:                                ;   in Loop: Header=BB302_5 Depth=1
	v_mov_b32_e32 v19, s19
	v_add_co_u32_e32 v18, vcc, s18, v2
	v_addc_co_u32_e32 v19, vcc, v19, v3, vcc
	s_cbranch_execz .LBB302_8
	s_branch .LBB302_9
.LBB302_7:                              ;   in Loop: Header=BB302_5 Depth=1
                                        ; implicit-def: $vgpr18_vgpr19
.LBB302_8:                              ;   in Loop: Header=BB302_5 Depth=1
	v_add_co_u32_e32 v18, vcc, 0xffffffe0, v14
	v_addc_co_u32_e32 v19, vcc, -1, v15, vcc
.LBB302_9:                              ;   in Loop: Header=BB302_5 Depth=1
	global_load_dwordx4 v[26:29], v[18:19], off
	v_add_co_u32_e32 v18, vcc, 2, v0
	v_addc_co_u32_e32 v19, vcc, 0, v1, vcc
	s_and_b64 vcc, exec, s[2:3]
	s_waitcnt vmcnt(0)
	global_store_dwordx4 v[12:13], v[26:29], off offset:-16
	global_store_dwordx2 v[16:17], v[18:19], off
	s_cbranch_vccnz .LBB302_11
; %bb.10:                               ;   in Loop: Header=BB302_5 Depth=1
	v_mov_b32_e32 v19, s21
	v_add_co_u32_e32 v18, vcc, s20, v2
	v_addc_co_u32_e32 v19, vcc, v19, v3, vcc
	s_cbranch_execz .LBB302_12
	s_branch .LBB302_13
.LBB302_11:                             ;   in Loop: Header=BB302_5 Depth=1
                                        ; implicit-def: $vgpr18_vgpr19
.LBB302_12:                             ;   in Loop: Header=BB302_5 Depth=1
	v_add_co_u32_e32 v18, vcc, -16, v14
	v_addc_co_u32_e32 v19, vcc, -1, v15, vcc
.LBB302_13:                             ;   in Loop: Header=BB302_5 Depth=1
	global_load_dwordx4 v[26:29], v[18:19], off
	v_add_co_u32_e32 v0, vcc, 3, v0
	v_addc_co_u32_e32 v1, vcc, 0, v1, vcc
	s_and_b64 vcc, exec, s[2:3]
	global_store_dwordx2 v[16:17], v[0:1], off offset:8
	s_waitcnt vmcnt(1)
	global_store_dwordx4 v[12:13], v[26:29], off
	v_pk_mov_b32 v[0:1], v[14:15], v[14:15] op_sel:[0,1]
	s_cbranch_vccnz .LBB302_4
; %bb.14:                               ;   in Loop: Header=BB302_5 Depth=1
	v_mov_b32_e32 v1, s23
	v_add_co_u32_e32 v0, vcc, s22, v2
	v_addc_co_u32_e32 v1, vcc, v1, v3, vcc
	s_branch .LBB302_4
.LBB302_15:
	s_endpgm
	.section	.rodata,"a",@progbits
	.p2align	6, 0x0
	.amdhsa_kernel _ZN9rocsparseL32bsr2csr_block_per_row_2_7_kernelILj256ELj4E21rocsparse_complex_numIdEllEEv20rocsparse_direction_T3_S4_21rocsparse_index_base_PKT1_PKT2_PKS4_S4_S5_PS6_PS9_PS4_
		.amdhsa_group_segment_fixed_size 0
		.amdhsa_private_segment_fixed_size 0
		.amdhsa_kernarg_size 96
		.amdhsa_user_sgpr_count 6
		.amdhsa_user_sgpr_private_segment_buffer 1
		.amdhsa_user_sgpr_dispatch_ptr 0
		.amdhsa_user_sgpr_queue_ptr 0
		.amdhsa_user_sgpr_kernarg_segment_ptr 1
		.amdhsa_user_sgpr_dispatch_id 0
		.amdhsa_user_sgpr_flat_scratch_init 0
		.amdhsa_user_sgpr_kernarg_preload_length 0
		.amdhsa_user_sgpr_kernarg_preload_offset 0
		.amdhsa_user_sgpr_private_segment_size 0
		.amdhsa_uses_dynamic_stack 0
		.amdhsa_system_sgpr_private_segment_wavefront_offset 0
		.amdhsa_system_sgpr_workgroup_id_x 1
		.amdhsa_system_sgpr_workgroup_id_y 0
		.amdhsa_system_sgpr_workgroup_id_z 0
		.amdhsa_system_sgpr_workgroup_info 0
		.amdhsa_system_vgpr_workitem_id 0
		.amdhsa_next_free_vgpr 30
		.amdhsa_next_free_sgpr 30
		.amdhsa_accum_offset 32
		.amdhsa_reserve_vcc 1
		.amdhsa_reserve_flat_scratch 0
		.amdhsa_float_round_mode_32 0
		.amdhsa_float_round_mode_16_64 0
		.amdhsa_float_denorm_mode_32 3
		.amdhsa_float_denorm_mode_16_64 3
		.amdhsa_dx10_clamp 1
		.amdhsa_ieee_mode 1
		.amdhsa_fp16_overflow 0
		.amdhsa_tg_split 0
		.amdhsa_exception_fp_ieee_invalid_op 0
		.amdhsa_exception_fp_denorm_src 0
		.amdhsa_exception_fp_ieee_div_zero 0
		.amdhsa_exception_fp_ieee_overflow 0
		.amdhsa_exception_fp_ieee_underflow 0
		.amdhsa_exception_fp_ieee_inexact 0
		.amdhsa_exception_int_div_zero 0
	.end_amdhsa_kernel
	.section	.text._ZN9rocsparseL32bsr2csr_block_per_row_2_7_kernelILj256ELj4E21rocsparse_complex_numIdEllEEv20rocsparse_direction_T3_S4_21rocsparse_index_base_PKT1_PKT2_PKS4_S4_S5_PS6_PS9_PS4_,"axG",@progbits,_ZN9rocsparseL32bsr2csr_block_per_row_2_7_kernelILj256ELj4E21rocsparse_complex_numIdEllEEv20rocsparse_direction_T3_S4_21rocsparse_index_base_PKT1_PKT2_PKS4_S4_S5_PS6_PS9_PS4_,comdat
.Lfunc_end302:
	.size	_ZN9rocsparseL32bsr2csr_block_per_row_2_7_kernelILj256ELj4E21rocsparse_complex_numIdEllEEv20rocsparse_direction_T3_S4_21rocsparse_index_base_PKT1_PKT2_PKS4_S4_S5_PS6_PS9_PS4_, .Lfunc_end302-_ZN9rocsparseL32bsr2csr_block_per_row_2_7_kernelILj256ELj4E21rocsparse_complex_numIdEllEEv20rocsparse_direction_T3_S4_21rocsparse_index_base_PKT1_PKT2_PKS4_S4_S5_PS6_PS9_PS4_
                                        ; -- End function
	.section	.AMDGPU.csdata,"",@progbits
; Kernel info:
; codeLenInByte = 1036
; NumSgprs: 34
; NumVgprs: 30
; NumAgprs: 0
; TotalNumVgprs: 30
; ScratchSize: 0
; MemoryBound: 0
; FloatMode: 240
; IeeeMode: 1
; LDSByteSize: 0 bytes/workgroup (compile time only)
; SGPRBlocks: 4
; VGPRBlocks: 3
; NumSGPRsForWavesPerEU: 34
; NumVGPRsForWavesPerEU: 30
; AccumOffset: 32
; Occupancy: 8
; WaveLimiterHint : 0
; COMPUTE_PGM_RSRC2:SCRATCH_EN: 0
; COMPUTE_PGM_RSRC2:USER_SGPR: 6
; COMPUTE_PGM_RSRC2:TRAP_HANDLER: 0
; COMPUTE_PGM_RSRC2:TGID_X_EN: 1
; COMPUTE_PGM_RSRC2:TGID_Y_EN: 0
; COMPUTE_PGM_RSRC2:TGID_Z_EN: 0
; COMPUTE_PGM_RSRC2:TIDIG_COMP_CNT: 0
; COMPUTE_PGM_RSRC3_GFX90A:ACCUM_OFFSET: 7
; COMPUTE_PGM_RSRC3_GFX90A:TG_SPLIT: 0
	.section	.text._ZN9rocsparseL32bsr2csr_block_per_row_2_7_kernelILj256ELj5E21rocsparse_complex_numIdEllEEv20rocsparse_direction_T3_S4_21rocsparse_index_base_PKT1_PKT2_PKS4_S4_S5_PS6_PS9_PS4_,"axG",@progbits,_ZN9rocsparseL32bsr2csr_block_per_row_2_7_kernelILj256ELj5E21rocsparse_complex_numIdEllEEv20rocsparse_direction_T3_S4_21rocsparse_index_base_PKT1_PKT2_PKS4_S4_S5_PS6_PS9_PS4_,comdat
	.globl	_ZN9rocsparseL32bsr2csr_block_per_row_2_7_kernelILj256ELj5E21rocsparse_complex_numIdEllEEv20rocsparse_direction_T3_S4_21rocsparse_index_base_PKT1_PKT2_PKS4_S4_S5_PS6_PS9_PS4_ ; -- Begin function _ZN9rocsparseL32bsr2csr_block_per_row_2_7_kernelILj256ELj5E21rocsparse_complex_numIdEllEEv20rocsparse_direction_T3_S4_21rocsparse_index_base_PKT1_PKT2_PKS4_S4_S5_PS6_PS9_PS4_
	.p2align	8
	.type	_ZN9rocsparseL32bsr2csr_block_per_row_2_7_kernelILj256ELj5E21rocsparse_complex_numIdEllEEv20rocsparse_direction_T3_S4_21rocsparse_index_base_PKT1_PKT2_PKS4_S4_S5_PS6_PS9_PS4_,@function
_ZN9rocsparseL32bsr2csr_block_per_row_2_7_kernelILj256ELj5E21rocsparse_complex_numIdEllEEv20rocsparse_direction_T3_S4_21rocsparse_index_base_PKT1_PKT2_PKS4_S4_S5_PS6_PS9_PS4_: ; @_ZN9rocsparseL32bsr2csr_block_per_row_2_7_kernelILj256ELj5E21rocsparse_complex_numIdEllEEv20rocsparse_direction_T3_S4_21rocsparse_index_base_PKT1_PKT2_PKS4_S4_S5_PS6_PS9_PS4_
; %bb.0:
	s_load_dwordx2 s[2:3], s[4:5], 0x28
	s_load_dword s12, s[4:5], 0x40
	s_load_dwordx2 s[0:1], s[4:5], 0x50
	s_mov_b32 s7, 0
	s_lshl_b64 s[8:9], s[6:7], 3
	s_waitcnt lgkmcnt(0)
	s_add_u32 s2, s2, s8
	v_or_b32_e32 v1, s6, v0
	s_addc_u32 s3, s3, s9
	v_cmp_eq_u32_e32 vcc, 0, v1
	s_and_saveexec_b64 s[8:9], vcc
	s_cbranch_execz .LBB303_2
; %bb.1:
	v_mov_b32_e32 v2, s12
	v_mov_b32_e32 v3, 0
	global_store_dwordx2 v3, v[2:3], s[0:1]
.LBB303_2:
	s_or_b64 exec, exec, s[8:9]
	v_and_b32_e32 v10, 7, v0
	v_cmp_gt_u32_e32 vcc, 5, v10
	s_and_saveexec_b64 s[8:9], vcc
	s_cbranch_execz .LBB303_6
; %bb.3:
	s_load_dwordx4 s[8:11], s[2:3], 0x0
	s_load_dword s14, s[4:5], 0x18
	v_lshrrev_b32_e32 v8, 3, v0
	v_lshlrev_b32_e32 v3, 3, v10
	s_mov_b32 s2, 0
	s_waitcnt lgkmcnt(0)
	s_sub_u32 s7, s8, s14
	s_subb_u32 s15, s9, 0
	s_sub_u32 s10, s10, s14
	s_mul_i32 s3, s15, 25
	s_mul_hi_u32 s13, s7, 25
	s_subb_u32 s11, s11, 0
	s_add_i32 s17, s13, s3
	s_sub_u32 s3, s10, s7
	s_subb_u32 s13, s11, s15
	s_mul_i32 s13, s13, 5
	s_mul_hi_u32 s18, s3, 5
	s_add_i32 s18, s18, s13
	s_mul_i32 s3, s3, 5
	s_add_u32 s19, s3, s12
	s_mul_i32 s16, s7, 25
	v_mul_lo_u32 v2, s18, v10
	s_addc_u32 s18, s18, 0
	s_add_u32 s16, s19, s16
	s_addc_u32 s17, s18, s17
	v_pk_mov_b32 v[0:1], s[16:17], s[16:17] op_sel:[0,1]
	v_mad_u64_u32 v[0:1], s[16:17], s3, v10, v[0:1]
	s_mul_hi_u32 s16, s6, 40
	s_mul_i32 s6, s6, 40
	s_add_u32 s0, s0, s6
	v_add_u32_e32 v1, v2, v1
	s_addc_u32 s1, s1, s16
	global_store_dwordx2 v3, v[0:1], s[0:1] offset:8
	v_mov_b32_e32 v1, s15
	v_add_co_u32_e32 v0, vcc, s7, v8
	v_addc_co_u32_e32 v1, vcc, 0, v1, vcc
	v_cmp_gt_i64_e32 vcc, s[10:11], v[0:1]
	s_and_b64 exec, exec, vcc
	s_cbranch_execz .LBB303_6
; %bb.4:
	s_load_dwordx2 s[6:7], s[4:5], 0x30
	s_load_dwordx2 s[16:17], s[4:5], 0x48
	;; [unrolled: 1-line block ×3, first 2 shown]
	s_load_dword s15, s[4:5], 0x0
	s_load_dwordx2 s[20:21], s[4:5], 0x58
	v_mad_u64_u32 v[12:13], s[0:1], s3, v10, 0
	s_movk_i32 s3, 0x190
	s_waitcnt lgkmcnt(0)
	v_pk_mov_b32 v[6:7], s[18:19], s[18:19] op_sel:[0,1]
	v_mad_u64_u32 v[6:7], s[4:5], v0, s3, v[6:7]
	v_add_u32_e32 v13, v13, v2
	v_mov_b32_e32 v14, v7
	v_mad_u64_u32 v[14:15], s[4:5], v1, s3, v[14:15]
	v_mad_u64_u32 v[12:13], s[4:5], s8, 25, v[12:13]
	v_mov_b32_e32 v5, v14
	v_mov_b32_e32 v14, v13
	v_mad_u64_u32 v[14:15], s[4:5], s9, 25, v[14:15]
	v_lshlrev_b64 v[2:3], 3, v[0:1]
	v_mov_b32_e32 v13, v14
	v_mov_b32_e32 v4, s7
	v_add_co_u32_e32 v2, vcc, s6, v2
	v_mad_u64_u32 v[8:9], s[4:5], v8, 5, v[12:13]
	v_addc_co_u32_e32 v3, vcc, v4, v3, vcc
	s_mul_hi_u32 s3, s14, 25
	s_mul_i32 s4, s14, 25
	v_mov_b32_e32 v7, s3
	v_subrev_co_u32_e32 v12, vcc, s4, v8
	v_subb_co_u32_e32 v13, vcc, v9, v7, vcc
	v_lshlrev_b64 v[8:9], 4, v[12:13]
	v_mov_b32_e32 v7, s17
	v_add_co_u32_e32 v8, vcc, s16, v8
	v_addc_co_u32_e32 v7, vcc, v9, v7, vcc
	v_add_co_u32_e32 v8, vcc, 32, v8
	v_addc_co_u32_e32 v9, vcc, 0, v7, vcc
	v_lshlrev_b64 v[12:13], 3, v[12:13]
	v_mov_b32_e32 v11, s21
	v_add_co_u32_e32 v12, vcc, s20, v12
	v_addc_co_u32_e32 v11, vcc, v13, v11, vcc
	s_cmp_eq_u32 s15, 0
	v_add_co_u32_e32 v12, vcc, 16, v12
	s_mov_b32 s13, s2
	s_cselect_b64 s[0:1], -1, 0
	v_lshlrev_b32_e32 v4, 4, v10
	s_movk_i32 s15, 0x50
	v_mul_hi_u32_u24_e32 v7, 0x50, v10
	v_mul_u32_u24_e32 v10, 0x50, v10
	v_addc_co_u32_e32 v13, vcc, 0, v11, vcc
	s_mov_b64 s[8:9], 0
	v_mov_b32_e32 v11, s2
	s_movk_i32 s16, 0xa0
	s_movk_i32 s17, 0xf0
	;; [unrolled: 1-line block ×5, first 2 shown]
.LBB303_5:                              ; =>This Inner Loop Header: Depth=1
	v_add_co_u32_e32 v16, vcc, v6, v4
	v_addc_co_u32_e32 v17, vcc, 0, v5, vcc
	v_add_co_u32_e32 v18, vcc, v6, v10
	v_addc_co_u32_e32 v19, vcc, v5, v7, vcc
	;; [unrolled: 2-line block ×8, first 2 shown]
	v_cndmask_b32_e64 v14, v16, v18, s[0:1]
	v_add_co_u32_e32 v18, vcc, 64, v18
	v_cndmask_b32_e64 v15, v17, v19, s[0:1]
	v_addc_co_u32_e32 v19, vcc, 0, v19, vcc
	global_load_dwordx2 v[34:35], v[2:3], off
	v_add_co_u32_e32 v32, vcc, s18, v16
	v_addc_co_u32_e32 v33, vcc, 0, v17, vcc
	v_cndmask_b32_e64 v37, v23, v21, s[0:1]
	v_cndmask_b32_e64 v36, v22, v20, s[0:1]
	global_load_dwordx4 v[14:17], v[14:15], off
	v_cndmask_b32_e64 v39, v27, v25, s[0:1]
	v_cndmask_b32_e64 v38, v26, v24, s[0:1]
	;; [unrolled: 1-line block ×6, first 2 shown]
	global_load_dwordx4 v[18:21], v[36:37], off
	global_load_dwordx4 v[22:25], v[38:39], off
	;; [unrolled: 1-line block ×4, first 2 shown]
	v_add_co_u32_e32 v0, vcc, 32, v0
	v_addc_co_u32_e32 v1, vcc, 0, v1, vcc
	v_add_co_u32_e32 v2, vcc, s19, v2
	v_addc_co_u32_e32 v3, vcc, 0, v3, vcc
	;; [unrolled: 2-line block ×3, first 2 shown]
	v_cmp_le_i64_e64 s[2:3], s[10:11], v[0:1]
	s_or_b64 s[8:9], s[2:3], s[8:9]
	s_waitcnt vmcnt(5)
	v_subrev_co_u32_e32 v34, vcc, s14, v34
	v_subb_co_u32_e32 v37, vcc, v35, v11, vcc
	v_mad_u64_u32 v[34:35], s[2:3], v34, 5, s[12:13]
	v_mov_b32_e32 v36, v35
	s_waitcnt vmcnt(4)
	global_store_dwordx4 v[8:9], v[14:17], off offset:-32
	s_waitcnt vmcnt(4)
	global_store_dwordx4 v[8:9], v[18:21], off offset:-16
	s_waitcnt vmcnt(4)
	global_store_dwordx4 v[8:9], v[22:25], off
	s_waitcnt vmcnt(4)
	global_store_dwordx4 v[8:9], v[26:29], off offset:16
	s_waitcnt vmcnt(4)
	global_store_dwordx4 v[8:9], v[30:33], off offset:32
	v_add_co_u32_e32 v8, vcc, 0xa00, v8
	v_mad_u64_u32 v[16:17], s[2:3], v37, 5, v[36:37]
	v_addc_co_u32_e32 v9, vcc, 0, v9, vcc
	v_mov_b32_e32 v23, v16
	v_mov_b32_e32 v15, v16
	v_add_co_u32_e64 v18, s[2:3], 2, v34
	v_add_co_u32_e64 v20, s[4:5], 3, v34
	;; [unrolled: 1-line block ×3, first 2 shown]
	v_add_co_u32_e32 v16, vcc, 1, v34
	v_mov_b32_e32 v14, v34
	v_addc_co_u32_e32 v17, vcc, 0, v23, vcc
	v_addc_co_u32_e64 v19, vcc, 0, v23, s[2:3]
	v_addc_co_u32_e64 v21, vcc, 0, v23, s[4:5]
	;; [unrolled: 1-line block ×3, first 2 shown]
	global_store_dwordx4 v[12:13], v[14:17], off offset:-16
	global_store_dwordx4 v[12:13], v[18:21], off
	global_store_dwordx2 v[12:13], v[22:23], off offset:16
	v_add_co_u32_e32 v12, vcc, 0x500, v12
	v_addc_co_u32_e32 v13, vcc, 0, v13, vcc
	s_andn2_b64 exec, exec, s[8:9]
	s_cbranch_execnz .LBB303_5
.LBB303_6:
	s_endpgm
	.section	.rodata,"a",@progbits
	.p2align	6, 0x0
	.amdhsa_kernel _ZN9rocsparseL32bsr2csr_block_per_row_2_7_kernelILj256ELj5E21rocsparse_complex_numIdEllEEv20rocsparse_direction_T3_S4_21rocsparse_index_base_PKT1_PKT2_PKS4_S4_S5_PS6_PS9_PS4_
		.amdhsa_group_segment_fixed_size 0
		.amdhsa_private_segment_fixed_size 0
		.amdhsa_kernarg_size 96
		.amdhsa_user_sgpr_count 6
		.amdhsa_user_sgpr_private_segment_buffer 1
		.amdhsa_user_sgpr_dispatch_ptr 0
		.amdhsa_user_sgpr_queue_ptr 0
		.amdhsa_user_sgpr_kernarg_segment_ptr 1
		.amdhsa_user_sgpr_dispatch_id 0
		.amdhsa_user_sgpr_flat_scratch_init 0
		.amdhsa_user_sgpr_kernarg_preload_length 0
		.amdhsa_user_sgpr_kernarg_preload_offset 0
		.amdhsa_user_sgpr_private_segment_size 0
		.amdhsa_uses_dynamic_stack 0
		.amdhsa_system_sgpr_private_segment_wavefront_offset 0
		.amdhsa_system_sgpr_workgroup_id_x 1
		.amdhsa_system_sgpr_workgroup_id_y 0
		.amdhsa_system_sgpr_workgroup_id_z 0
		.amdhsa_system_sgpr_workgroup_info 0
		.amdhsa_system_vgpr_workitem_id 0
		.amdhsa_next_free_vgpr 44
		.amdhsa_next_free_sgpr 22
		.amdhsa_accum_offset 44
		.amdhsa_reserve_vcc 1
		.amdhsa_reserve_flat_scratch 0
		.amdhsa_float_round_mode_32 0
		.amdhsa_float_round_mode_16_64 0
		.amdhsa_float_denorm_mode_32 3
		.amdhsa_float_denorm_mode_16_64 3
		.amdhsa_dx10_clamp 1
		.amdhsa_ieee_mode 1
		.amdhsa_fp16_overflow 0
		.amdhsa_tg_split 0
		.amdhsa_exception_fp_ieee_invalid_op 0
		.amdhsa_exception_fp_denorm_src 0
		.amdhsa_exception_fp_ieee_div_zero 0
		.amdhsa_exception_fp_ieee_overflow 0
		.amdhsa_exception_fp_ieee_underflow 0
		.amdhsa_exception_fp_ieee_inexact 0
		.amdhsa_exception_int_div_zero 0
	.end_amdhsa_kernel
	.section	.text._ZN9rocsparseL32bsr2csr_block_per_row_2_7_kernelILj256ELj5E21rocsparse_complex_numIdEllEEv20rocsparse_direction_T3_S4_21rocsparse_index_base_PKT1_PKT2_PKS4_S4_S5_PS6_PS9_PS4_,"axG",@progbits,_ZN9rocsparseL32bsr2csr_block_per_row_2_7_kernelILj256ELj5E21rocsparse_complex_numIdEllEEv20rocsparse_direction_T3_S4_21rocsparse_index_base_PKT1_PKT2_PKS4_S4_S5_PS6_PS9_PS4_,comdat
.Lfunc_end303:
	.size	_ZN9rocsparseL32bsr2csr_block_per_row_2_7_kernelILj256ELj5E21rocsparse_complex_numIdEllEEv20rocsparse_direction_T3_S4_21rocsparse_index_base_PKT1_PKT2_PKS4_S4_S5_PS6_PS9_PS4_, .Lfunc_end303-_ZN9rocsparseL32bsr2csr_block_per_row_2_7_kernelILj256ELj5E21rocsparse_complex_numIdEllEEv20rocsparse_direction_T3_S4_21rocsparse_index_base_PKT1_PKT2_PKS4_S4_S5_PS6_PS9_PS4_
                                        ; -- End function
	.section	.AMDGPU.csdata,"",@progbits
; Kernel info:
; codeLenInByte = 1024
; NumSgprs: 26
; NumVgprs: 44
; NumAgprs: 0
; TotalNumVgprs: 44
; ScratchSize: 0
; MemoryBound: 0
; FloatMode: 240
; IeeeMode: 1
; LDSByteSize: 0 bytes/workgroup (compile time only)
; SGPRBlocks: 3
; VGPRBlocks: 5
; NumSGPRsForWavesPerEU: 26
; NumVGPRsForWavesPerEU: 44
; AccumOffset: 44
; Occupancy: 8
; WaveLimiterHint : 0
; COMPUTE_PGM_RSRC2:SCRATCH_EN: 0
; COMPUTE_PGM_RSRC2:USER_SGPR: 6
; COMPUTE_PGM_RSRC2:TRAP_HANDLER: 0
; COMPUTE_PGM_RSRC2:TGID_X_EN: 1
; COMPUTE_PGM_RSRC2:TGID_Y_EN: 0
; COMPUTE_PGM_RSRC2:TGID_Z_EN: 0
; COMPUTE_PGM_RSRC2:TIDIG_COMP_CNT: 0
; COMPUTE_PGM_RSRC3_GFX90A:ACCUM_OFFSET: 10
; COMPUTE_PGM_RSRC3_GFX90A:TG_SPLIT: 0
	.section	.text._ZN9rocsparseL32bsr2csr_block_per_row_2_7_kernelILj256ELj6E21rocsparse_complex_numIdEllEEv20rocsparse_direction_T3_S4_21rocsparse_index_base_PKT1_PKT2_PKS4_S4_S5_PS6_PS9_PS4_,"axG",@progbits,_ZN9rocsparseL32bsr2csr_block_per_row_2_7_kernelILj256ELj6E21rocsparse_complex_numIdEllEEv20rocsparse_direction_T3_S4_21rocsparse_index_base_PKT1_PKT2_PKS4_S4_S5_PS6_PS9_PS4_,comdat
	.globl	_ZN9rocsparseL32bsr2csr_block_per_row_2_7_kernelILj256ELj6E21rocsparse_complex_numIdEllEEv20rocsparse_direction_T3_S4_21rocsparse_index_base_PKT1_PKT2_PKS4_S4_S5_PS6_PS9_PS4_ ; -- Begin function _ZN9rocsparseL32bsr2csr_block_per_row_2_7_kernelILj256ELj6E21rocsparse_complex_numIdEllEEv20rocsparse_direction_T3_S4_21rocsparse_index_base_PKT1_PKT2_PKS4_S4_S5_PS6_PS9_PS4_
	.p2align	8
	.type	_ZN9rocsparseL32bsr2csr_block_per_row_2_7_kernelILj256ELj6E21rocsparse_complex_numIdEllEEv20rocsparse_direction_T3_S4_21rocsparse_index_base_PKT1_PKT2_PKS4_S4_S5_PS6_PS9_PS4_,@function
_ZN9rocsparseL32bsr2csr_block_per_row_2_7_kernelILj256ELj6E21rocsparse_complex_numIdEllEEv20rocsparse_direction_T3_S4_21rocsparse_index_base_PKT1_PKT2_PKS4_S4_S5_PS6_PS9_PS4_: ; @_ZN9rocsparseL32bsr2csr_block_per_row_2_7_kernelILj256ELj6E21rocsparse_complex_numIdEllEEv20rocsparse_direction_T3_S4_21rocsparse_index_base_PKT1_PKT2_PKS4_S4_S5_PS6_PS9_PS4_
; %bb.0:
	s_load_dwordx2 s[2:3], s[4:5], 0x28
	s_load_dword s12, s[4:5], 0x40
	s_load_dwordx2 s[0:1], s[4:5], 0x50
	s_mov_b32 s7, 0
	s_lshl_b64 s[8:9], s[6:7], 3
	s_waitcnt lgkmcnt(0)
	s_add_u32 s2, s2, s8
	v_or_b32_e32 v1, s6, v0
	s_addc_u32 s3, s3, s9
	v_cmp_eq_u32_e32 vcc, 0, v1
	s_and_saveexec_b64 s[8:9], vcc
	s_cbranch_execz .LBB304_2
; %bb.1:
	v_mov_b32_e32 v2, s12
	v_mov_b32_e32 v3, 0
	global_store_dwordx2 v3, v[2:3], s[0:1]
.LBB304_2:
	s_or_b64 exec, exec, s[8:9]
	v_and_b32_e32 v6, 7, v0
	v_cmp_gt_u32_e32 vcc, 6, v6
	s_and_saveexec_b64 s[8:9], vcc
	s_cbranch_execz .LBB304_6
; %bb.3:
	s_load_dwordx4 s[8:11], s[2:3], 0x0
	s_load_dword s16, s[4:5], 0x18
	v_lshrrev_b32_e32 v8, 3, v0
	v_lshlrev_b32_e32 v3, 3, v6
	s_mov_b32 s2, 0
	v_mov_b32_e32 v7, 0
	s_waitcnt lgkmcnt(0)
	s_sub_u32 s7, s8, s16
	s_subb_u32 s17, s9, 0
	s_sub_u32 s10, s10, s16
	s_mul_i32 s3, s17, 36
	s_mul_hi_u32 s13, s7, 36
	s_subb_u32 s11, s11, 0
	s_add_i32 s15, s13, s3
	s_sub_u32 s3, s10, s7
	s_subb_u32 s13, s11, s17
	s_mul_i32 s13, s13, 6
	s_mul_hi_u32 s18, s3, 6
	s_add_i32 s18, s18, s13
	s_mul_i32 s3, s3, 6
	s_add_u32 s19, s3, s12
	s_mul_i32 s14, s7, 36
	v_mul_lo_u32 v2, s18, v6
	s_addc_u32 s18, s18, 0
	s_add_u32 s14, s19, s14
	s_addc_u32 s15, s18, s15
	v_pk_mov_b32 v[0:1], s[14:15], s[14:15] op_sel:[0,1]
	v_mad_u64_u32 v[0:1], s[14:15], s3, v6, v[0:1]
	s_mul_hi_u32 s14, s6, 48
	s_mul_i32 s6, s6, 48
	s_add_u32 s0, s0, s6
	v_add_u32_e32 v1, v2, v1
	s_addc_u32 s1, s1, s14
	global_store_dwordx2 v3, v[0:1], s[0:1] offset:8
	v_mov_b32_e32 v1, s17
	v_add_co_u32_e32 v0, vcc, s7, v8
	v_addc_co_u32_e32 v1, vcc, 0, v1, vcc
	v_cmp_gt_i64_e32 vcc, s[10:11], v[0:1]
	s_and_b64 exec, exec, vcc
	s_cbranch_execz .LBB304_6
; %bb.4:
	v_mad_u64_u32 v[10:11], s[0:1], s3, v6, 0
	v_add_u32_e32 v11, v11, v2
	v_mul_hi_u32_u24_e32 v3, 0x50, v6
	v_mul_u32_u24_e32 v2, 0x50, v6
	v_lshlrev_b32_e32 v6, 4, v6
	s_movk_i32 s3, 0x240
	s_load_dwordx2 s[6:7], s[4:5], 0x30
	s_load_dwordx2 s[14:15], s[4:5], 0x48
	;; [unrolled: 1-line block ×3, first 2 shown]
	s_load_dword s17, s[4:5], 0x0
	s_load_dwordx2 s[20:21], s[4:5], 0x58
	v_mad_u64_u32 v[6:7], s[4:5], v0, s3, v[6:7]
	v_mov_b32_e32 v12, v7
	v_lshlrev_b64 v[4:5], 3, v[0:1]
	v_mad_u64_u32 v[12:13], s[4:5], v1, s3, v[12:13]
	v_mad_u64_u32 v[10:11], s[4:5], s8, 36, v[10:11]
	s_waitcnt lgkmcnt(0)
	v_mov_b32_e32 v9, s7
	v_add_co_u32_e32 v4, vcc, s6, v4
	v_mov_b32_e32 v7, v12
	v_mov_b32_e32 v12, v11
	v_addc_co_u32_e32 v5, vcc, v9, v5, vcc
	v_mad_u64_u32 v[12:13], s[4:5], s9, 36, v[12:13]
	v_mov_b32_e32 v9, s19
	v_add_co_u32_e32 v6, vcc, s18, v6
	v_mov_b32_e32 v11, v12
	v_addc_co_u32_e32 v7, vcc, v9, v7, vcc
	v_mad_u64_u32 v[8:9], s[4:5], v8, 6, v[10:11]
	s_mul_hi_u32 s3, s16, 36
	s_mul_i32 s4, s16, 36
	v_mov_b32_e32 v11, s3
	v_subrev_co_u32_e32 v10, vcc, s4, v8
	v_subb_co_u32_e32 v11, vcc, v9, v11, vcc
	v_lshlrev_b64 v[8:9], 4, v[10:11]
	v_mov_b32_e32 v12, s15
	v_add_co_u32_e32 v8, vcc, s14, v8
	v_addc_co_u32_e32 v9, vcc, v9, v12, vcc
	v_add_co_u32_e32 v8, vcc, 48, v8
	v_addc_co_u32_e32 v9, vcc, 0, v9, vcc
	v_lshlrev_b64 v[10:11], 3, v[10:11]
	v_mov_b32_e32 v12, s21
	v_add_co_u32_e32 v10, vcc, s20, v10
	v_addc_co_u32_e32 v11, vcc, v11, v12, vcc
	s_cmp_eq_u32 s17, 0
	v_add_co_u32_e32 v10, vcc, 24, v10
	s_mov_b32 s13, s2
	s_cselect_b64 s[0:1], -1, 0
	s_movk_i32 s17, 0x50
	v_addc_co_u32_e32 v11, vcc, 0, v11, vcc
	s_mov_b64 s[14:15], 0
	v_mov_b32_e32 v12, s2
	s_movk_i32 s18, 0x60
	s_movk_i32 s19, 0xc0
	;; [unrolled: 1-line block ×7, first 2 shown]
.LBB304_5:                              ; =>This Inner Loop Header: Depth=1
	v_add_co_u32_e32 v13, vcc, v6, v2
	v_addc_co_u32_e32 v16, vcc, v7, v3, vcc
	v_add_co_u32_e32 v18, vcc, s18, v6
	v_addc_co_u32_e32 v19, vcc, 0, v7, vcc
	;; [unrolled: 2-line block ×10, first 2 shown]
	global_load_dwordx2 v[38:39], v[4:5], off
	v_cndmask_b32_e64 v14, v6, v13, s[0:1]
	v_add_co_u32_e32 v13, vcc, s17, v13
	v_cndmask_b32_e64 v15, v7, v16, s[0:1]
	v_addc_co_u32_e32 v36, vcc, 0, v16, vcc
	v_cndmask_b32_e64 v41, v19, v29, s[0:1]
	v_cndmask_b32_e64 v40, v18, v28, s[0:1]
	global_load_dwordx4 v[14:17], v[14:15], off
	v_cndmask_b32_e64 v43, v21, v31, s[0:1]
	v_cndmask_b32_e64 v42, v20, v30, s[0:1]
	v_cndmask_b32_e64 v45, v23, v33, s[0:1]
	v_cndmask_b32_e64 v44, v22, v32, s[0:1]
	v_cndmask_b32_e64 v47, v25, v35, s[0:1]
	v_cndmask_b32_e64 v46, v24, v34, s[0:1]
	v_cndmask_b32_e64 v49, v27, v36, s[0:1]
	v_cndmask_b32_e64 v48, v26, v13, s[0:1]
	global_load_dwordx4 v[18:21], v[40:41], off
	global_load_dwordx4 v[22:25], v[42:43], off
	;; [unrolled: 1-line block ×5, first 2 shown]
	v_add_co_u32_e32 v0, vcc, 32, v0
	v_addc_co_u32_e32 v1, vcc, 0, v1, vcc
	v_add_co_u32_e32 v4, vcc, s23, v4
	v_addc_co_u32_e32 v5, vcc, 0, v5, vcc
	;; [unrolled: 2-line block ×3, first 2 shown]
	v_cmp_le_i64_e64 s[2:3], s[10:11], v[0:1]
	s_or_b64 s[14:15], s[2:3], s[14:15]
	s_waitcnt vmcnt(6)
	v_subrev_co_u32_e32 v13, vcc, s16, v38
	v_subb_co_u32_e32 v41, vcc, v39, v12, vcc
	v_mad_u64_u32 v[38:39], s[2:3], v13, 6, s[12:13]
	v_mov_b32_e32 v40, v39
	s_waitcnt vmcnt(5)
	global_store_dwordx4 v[8:9], v[14:17], off offset:-48
	s_waitcnt vmcnt(5)
	global_store_dwordx4 v[8:9], v[18:21], off offset:-32
	;; [unrolled: 2-line block ×3, first 2 shown]
	s_waitcnt vmcnt(5)
	global_store_dwordx4 v[8:9], v[26:29], off
	s_waitcnt vmcnt(5)
	global_store_dwordx4 v[8:9], v[30:33], off offset:16
	s_waitcnt vmcnt(5)
	global_store_dwordx4 v[8:9], v[34:37], off offset:32
	v_add_co_u32_e32 v8, vcc, 0xc00, v8
	v_mad_u64_u32 v[16:17], s[2:3], v41, 6, v[40:41]
	v_addc_co_u32_e32 v9, vcc, 0, v9, vcc
	v_mov_b32_e32 v13, v16
	v_mov_b32_e32 v15, v16
	v_add_co_u32_e64 v18, s[2:3], 2, v38
	v_add_co_u32_e64 v20, s[4:5], 3, v38
	;; [unrolled: 1-line block ×4, first 2 shown]
	v_add_co_u32_e32 v16, vcc, 1, v38
	v_mov_b32_e32 v14, v38
	v_addc_co_u32_e32 v17, vcc, 0, v13, vcc
	v_addc_co_u32_e64 v19, vcc, 0, v13, s[2:3]
	v_addc_co_u32_e64 v21, vcc, 0, v13, s[4:5]
	;; [unrolled: 1-line block ×4, first 2 shown]
	global_store_dwordx4 v[10:11], v[14:17], off offset:-24
	global_store_dwordx4 v[10:11], v[18:21], off offset:-8
	global_store_dwordx4 v[10:11], v[22:25], off offset:8
	v_add_co_u32_e32 v10, vcc, 0x600, v10
	v_addc_co_u32_e32 v11, vcc, 0, v11, vcc
	s_andn2_b64 exec, exec, s[14:15]
	s_cbranch_execnz .LBB304_5
.LBB304_6:
	s_endpgm
	.section	.rodata,"a",@progbits
	.p2align	6, 0x0
	.amdhsa_kernel _ZN9rocsparseL32bsr2csr_block_per_row_2_7_kernelILj256ELj6E21rocsparse_complex_numIdEllEEv20rocsparse_direction_T3_S4_21rocsparse_index_base_PKT1_PKT2_PKS4_S4_S5_PS6_PS9_PS4_
		.amdhsa_group_segment_fixed_size 0
		.amdhsa_private_segment_fixed_size 0
		.amdhsa_kernarg_size 96
		.amdhsa_user_sgpr_count 6
		.amdhsa_user_sgpr_private_segment_buffer 1
		.amdhsa_user_sgpr_dispatch_ptr 0
		.amdhsa_user_sgpr_queue_ptr 0
		.amdhsa_user_sgpr_kernarg_segment_ptr 1
		.amdhsa_user_sgpr_dispatch_id 0
		.amdhsa_user_sgpr_flat_scratch_init 0
		.amdhsa_user_sgpr_kernarg_preload_length 0
		.amdhsa_user_sgpr_kernarg_preload_offset 0
		.amdhsa_user_sgpr_private_segment_size 0
		.amdhsa_uses_dynamic_stack 0
		.amdhsa_system_sgpr_private_segment_wavefront_offset 0
		.amdhsa_system_sgpr_workgroup_id_x 1
		.amdhsa_system_sgpr_workgroup_id_y 0
		.amdhsa_system_sgpr_workgroup_id_z 0
		.amdhsa_system_sgpr_workgroup_info 0
		.amdhsa_system_vgpr_workitem_id 0
		.amdhsa_next_free_vgpr 50
		.amdhsa_next_free_sgpr 25
		.amdhsa_accum_offset 52
		.amdhsa_reserve_vcc 1
		.amdhsa_reserve_flat_scratch 0
		.amdhsa_float_round_mode_32 0
		.amdhsa_float_round_mode_16_64 0
		.amdhsa_float_denorm_mode_32 3
		.amdhsa_float_denorm_mode_16_64 3
		.amdhsa_dx10_clamp 1
		.amdhsa_ieee_mode 1
		.amdhsa_fp16_overflow 0
		.amdhsa_tg_split 0
		.amdhsa_exception_fp_ieee_invalid_op 0
		.amdhsa_exception_fp_denorm_src 0
		.amdhsa_exception_fp_ieee_div_zero 0
		.amdhsa_exception_fp_ieee_overflow 0
		.amdhsa_exception_fp_ieee_underflow 0
		.amdhsa_exception_fp_ieee_inexact 0
		.amdhsa_exception_int_div_zero 0
	.end_amdhsa_kernel
	.section	.text._ZN9rocsparseL32bsr2csr_block_per_row_2_7_kernelILj256ELj6E21rocsparse_complex_numIdEllEEv20rocsparse_direction_T3_S4_21rocsparse_index_base_PKT1_PKT2_PKS4_S4_S5_PS6_PS9_PS4_,"axG",@progbits,_ZN9rocsparseL32bsr2csr_block_per_row_2_7_kernelILj256ELj6E21rocsparse_complex_numIdEllEEv20rocsparse_direction_T3_S4_21rocsparse_index_base_PKT1_PKT2_PKS4_S4_S5_PS6_PS9_PS4_,comdat
.Lfunc_end304:
	.size	_ZN9rocsparseL32bsr2csr_block_per_row_2_7_kernelILj256ELj6E21rocsparse_complex_numIdEllEEv20rocsparse_direction_T3_S4_21rocsparse_index_base_PKT1_PKT2_PKS4_S4_S5_PS6_PS9_PS4_, .Lfunc_end304-_ZN9rocsparseL32bsr2csr_block_per_row_2_7_kernelILj256ELj6E21rocsparse_complex_numIdEllEEv20rocsparse_direction_T3_S4_21rocsparse_index_base_PKT1_PKT2_PKS4_S4_S5_PS6_PS9_PS4_
                                        ; -- End function
	.section	.AMDGPU.csdata,"",@progbits
; Kernel info:
; codeLenInByte = 1100
; NumSgprs: 29
; NumVgprs: 50
; NumAgprs: 0
; TotalNumVgprs: 50
; ScratchSize: 0
; MemoryBound: 0
; FloatMode: 240
; IeeeMode: 1
; LDSByteSize: 0 bytes/workgroup (compile time only)
; SGPRBlocks: 3
; VGPRBlocks: 6
; NumSGPRsForWavesPerEU: 29
; NumVGPRsForWavesPerEU: 50
; AccumOffset: 52
; Occupancy: 8
; WaveLimiterHint : 0
; COMPUTE_PGM_RSRC2:SCRATCH_EN: 0
; COMPUTE_PGM_RSRC2:USER_SGPR: 6
; COMPUTE_PGM_RSRC2:TRAP_HANDLER: 0
; COMPUTE_PGM_RSRC2:TGID_X_EN: 1
; COMPUTE_PGM_RSRC2:TGID_Y_EN: 0
; COMPUTE_PGM_RSRC2:TGID_Z_EN: 0
; COMPUTE_PGM_RSRC2:TIDIG_COMP_CNT: 0
; COMPUTE_PGM_RSRC3_GFX90A:ACCUM_OFFSET: 12
; COMPUTE_PGM_RSRC3_GFX90A:TG_SPLIT: 0
	.section	.text._ZN9rocsparseL32bsr2csr_block_per_row_2_7_kernelILj256ELj7E21rocsparse_complex_numIdEllEEv20rocsparse_direction_T3_S4_21rocsparse_index_base_PKT1_PKT2_PKS4_S4_S5_PS6_PS9_PS4_,"axG",@progbits,_ZN9rocsparseL32bsr2csr_block_per_row_2_7_kernelILj256ELj7E21rocsparse_complex_numIdEllEEv20rocsparse_direction_T3_S4_21rocsparse_index_base_PKT1_PKT2_PKS4_S4_S5_PS6_PS9_PS4_,comdat
	.globl	_ZN9rocsparseL32bsr2csr_block_per_row_2_7_kernelILj256ELj7E21rocsparse_complex_numIdEllEEv20rocsparse_direction_T3_S4_21rocsparse_index_base_PKT1_PKT2_PKS4_S4_S5_PS6_PS9_PS4_ ; -- Begin function _ZN9rocsparseL32bsr2csr_block_per_row_2_7_kernelILj256ELj7E21rocsparse_complex_numIdEllEEv20rocsparse_direction_T3_S4_21rocsparse_index_base_PKT1_PKT2_PKS4_S4_S5_PS6_PS9_PS4_
	.p2align	8
	.type	_ZN9rocsparseL32bsr2csr_block_per_row_2_7_kernelILj256ELj7E21rocsparse_complex_numIdEllEEv20rocsparse_direction_T3_S4_21rocsparse_index_base_PKT1_PKT2_PKS4_S4_S5_PS6_PS9_PS4_,@function
_ZN9rocsparseL32bsr2csr_block_per_row_2_7_kernelILj256ELj7E21rocsparse_complex_numIdEllEEv20rocsparse_direction_T3_S4_21rocsparse_index_base_PKT1_PKT2_PKS4_S4_S5_PS6_PS9_PS4_: ; @_ZN9rocsparseL32bsr2csr_block_per_row_2_7_kernelILj256ELj7E21rocsparse_complex_numIdEllEEv20rocsparse_direction_T3_S4_21rocsparse_index_base_PKT1_PKT2_PKS4_S4_S5_PS6_PS9_PS4_
; %bb.0:
	s_load_dwordx2 s[2:3], s[4:5], 0x28
	s_load_dword s12, s[4:5], 0x40
	s_load_dwordx2 s[0:1], s[4:5], 0x50
	s_mov_b32 s7, 0
	s_lshl_b64 s[8:9], s[6:7], 3
	s_waitcnt lgkmcnt(0)
	s_add_u32 s2, s2, s8
	v_or_b32_e32 v1, s6, v0
	s_addc_u32 s3, s3, s9
	v_cmp_eq_u32_e32 vcc, 0, v1
	s_and_saveexec_b64 s[8:9], vcc
	s_cbranch_execz .LBB305_2
; %bb.1:
	v_mov_b32_e32 v2, s12
	v_mov_b32_e32 v3, 0
	global_store_dwordx2 v3, v[2:3], s[0:1]
.LBB305_2:
	s_or_b64 exec, exec, s[8:9]
	v_and_b32_e32 v6, 7, v0
	v_cmp_ne_u32_e32 vcc, 7, v6
	s_and_saveexec_b64 s[8:9], vcc
	s_cbranch_execz .LBB305_6
; %bb.3:
	s_load_dwordx4 s[8:11], s[2:3], 0x0
	s_load_dword s18, s[4:5], 0x18
	v_lshrrev_b32_e32 v8, 3, v0
	v_lshlrev_b32_e32 v3, 3, v6
	s_mov_b32 s2, 0
	v_mov_b32_e32 v7, 0
	s_waitcnt lgkmcnt(0)
	s_sub_u32 s7, s8, s18
	s_subb_u32 s16, s9, 0
	s_sub_u32 s14, s10, s18
	s_mul_i32 s3, s16, 49
	s_mul_hi_u32 s10, s7, 49
	s_subb_u32 s15, s11, 0
	s_add_i32 s11, s10, s3
	s_sub_u32 s3, s14, s7
	s_subb_u32 s13, s15, s16
	s_mul_i32 s13, s13, 7
	s_mul_hi_u32 s17, s3, 7
	s_add_i32 s17, s17, s13
	s_mul_i32 s3, s3, 7
	s_add_u32 s19, s3, s12
	s_mul_i32 s10, s7, 49
	v_mul_lo_u32 v2, s17, v6
	s_addc_u32 s17, s17, 0
	s_add_u32 s10, s19, s10
	s_addc_u32 s11, s17, s11
	v_pk_mov_b32 v[0:1], s[10:11], s[10:11] op_sel:[0,1]
	v_mad_u64_u32 v[0:1], s[10:11], s3, v6, v[0:1]
	s_mul_hi_u32 s10, s6, 56
	s_mul_i32 s6, s6, 56
	s_add_u32 s0, s0, s6
	v_add_u32_e32 v1, v2, v1
	s_addc_u32 s1, s1, s10
	global_store_dwordx2 v3, v[0:1], s[0:1] offset:8
	v_mov_b32_e32 v1, s16
	v_add_co_u32_e32 v0, vcc, s7, v8
	v_addc_co_u32_e32 v1, vcc, 0, v1, vcc
	v_cmp_gt_i64_e32 vcc, s[14:15], v[0:1]
	s_and_b64 exec, exec, vcc
	s_cbranch_execz .LBB305_6
; %bb.4:
	v_mad_u64_u32 v[10:11], s[0:1], s3, v6, 0
	v_add_u32_e32 v11, v11, v2
	v_mul_hi_u32_u24_e32 v3, 0x60, v6
	v_mul_u32_u24_e32 v2, 0x60, v6
	v_lshlrev_b32_e32 v6, 4, v6
	s_movk_i32 s3, 0x310
	s_load_dwordx2 s[6:7], s[4:5], 0x30
	s_load_dwordx2 s[10:11], s[4:5], 0x48
	;; [unrolled: 1-line block ×3, first 2 shown]
	s_load_dword s19, s[4:5], 0x0
	s_load_dwordx2 s[20:21], s[4:5], 0x58
	v_mad_u64_u32 v[6:7], s[4:5], v0, s3, v[6:7]
	v_mov_b32_e32 v12, v7
	v_lshlrev_b64 v[4:5], 3, v[0:1]
	v_mad_u64_u32 v[12:13], s[4:5], v1, s3, v[12:13]
	v_mad_u64_u32 v[10:11], s[4:5], s8, 49, v[10:11]
	s_waitcnt lgkmcnt(0)
	v_mov_b32_e32 v9, s7
	v_add_co_u32_e32 v4, vcc, s6, v4
	v_mov_b32_e32 v7, v12
	v_mov_b32_e32 v12, v11
	v_addc_co_u32_e32 v5, vcc, v9, v5, vcc
	v_mad_u64_u32 v[12:13], s[4:5], s9, 49, v[12:13]
	v_mov_b32_e32 v9, s17
	v_add_co_u32_e32 v6, vcc, s16, v6
	v_mov_b32_e32 v11, v12
	v_addc_co_u32_e32 v7, vcc, v9, v7, vcc
	v_mad_u64_u32 v[8:9], s[4:5], v8, 7, v[10:11]
	s_mul_hi_u32 s3, s18, 49
	s_mul_i32 s4, s18, 49
	v_mov_b32_e32 v11, s3
	v_subrev_co_u32_e32 v10, vcc, s4, v8
	v_subb_co_u32_e32 v11, vcc, v9, v11, vcc
	v_lshlrev_b64 v[8:9], 4, v[10:11]
	v_mov_b32_e32 v12, s11
	v_add_co_u32_e32 v8, vcc, s10, v8
	v_addc_co_u32_e32 v9, vcc, v9, v12, vcc
	v_add_co_u32_e32 v8, vcc, 48, v8
	v_addc_co_u32_e32 v9, vcc, 0, v9, vcc
	v_lshlrev_b64 v[10:11], 3, v[10:11]
	v_mov_b32_e32 v12, s21
	v_add_co_u32_e32 v10, vcc, s20, v10
	v_addc_co_u32_e32 v11, vcc, v11, v12, vcc
	s_cmp_eq_u32 s19, 0
	v_add_co_u32_e32 v10, vcc, 24, v10
	s_mov_b32 s13, s2
	s_cselect_b64 s[0:1], -1, 0
	s_movk_i32 s19, 0x60
	v_addc_co_u32_e32 v11, vcc, 0, v11, vcc
	s_mov_b64 s[16:17], 0
	v_mov_b32_e32 v12, s2
	s_movk_i32 s20, 0x70
	s_movk_i32 s21, 0xe0
	;; [unrolled: 1-line block ×9, first 2 shown]
.LBB305_5:                              ; =>This Inner Loop Header: Depth=1
	v_add_co_u32_e32 v13, vcc, v6, v2
	v_addc_co_u32_e32 v16, vcc, v7, v3, vcc
	v_add_co_u32_e32 v18, vcc, s20, v6
	v_addc_co_u32_e32 v19, vcc, 0, v7, vcc
	;; [unrolled: 2-line block ×12, first 2 shown]
	global_load_dwordx2 v[42:43], v[4:5], off
	v_cndmask_b32_e64 v14, v6, v13, s[0:1]
	v_add_co_u32_e32 v13, vcc, s19, v13
	v_cndmask_b32_e64 v15, v7, v16, s[0:1]
	v_addc_co_u32_e32 v40, vcc, 0, v16, vcc
	v_cndmask_b32_e64 v45, v19, v31, s[0:1]
	v_cndmask_b32_e64 v44, v18, v30, s[0:1]
	global_load_dwordx4 v[14:17], v[14:15], off
	v_cndmask_b32_e64 v47, v21, v33, s[0:1]
	v_cndmask_b32_e64 v46, v20, v32, s[0:1]
	;; [unrolled: 1-line block ×10, first 2 shown]
	global_load_dwordx4 v[18:21], v[44:45], off
	global_load_dwordx4 v[22:25], v[46:47], off
	;; [unrolled: 1-line block ×6, first 2 shown]
	v_add_co_u32_e32 v0, vcc, 32, v0
	v_addc_co_u32_e32 v1, vcc, 0, v1, vcc
	v_add_co_u32_e32 v4, vcc, s27, v4
	v_addc_co_u32_e32 v5, vcc, 0, v5, vcc
	;; [unrolled: 2-line block ×3, first 2 shown]
	v_cmp_le_i64_e64 s[2:3], s[14:15], v[0:1]
	s_or_b64 s[16:17], s[2:3], s[16:17]
	s_waitcnt vmcnt(7)
	v_subrev_co_u32_e32 v13, vcc, s18, v42
	v_subb_co_u32_e32 v45, vcc, v43, v12, vcc
	v_mad_u64_u32 v[42:43], s[2:3], v13, 7, s[12:13]
	v_mov_b32_e32 v44, v43
	s_waitcnt vmcnt(6)
	global_store_dwordx4 v[8:9], v[14:17], off offset:-48
	s_waitcnt vmcnt(6)
	global_store_dwordx4 v[8:9], v[18:21], off offset:-32
	;; [unrolled: 2-line block ×3, first 2 shown]
	s_waitcnt vmcnt(6)
	global_store_dwordx4 v[8:9], v[26:29], off
	s_waitcnt vmcnt(6)
	global_store_dwordx4 v[8:9], v[30:33], off offset:16
	s_waitcnt vmcnt(6)
	global_store_dwordx4 v[8:9], v[34:37], off offset:32
	s_waitcnt vmcnt(6)
	global_store_dwordx4 v[8:9], v[38:41], off offset:48
	v_add_co_u32_e32 v8, vcc, 0xe00, v8
	v_mad_u64_u32 v[16:17], s[2:3], v45, 7, v[44:45]
	v_addc_co_u32_e32 v9, vcc, 0, v9, vcc
	v_mov_b32_e32 v13, v16
	v_mov_b32_e32 v15, v16
	v_add_co_u32_e64 v18, s[2:3], 2, v42
	v_add_co_u32_e64 v20, s[4:5], 3, v42
	;; [unrolled: 1-line block ×5, first 2 shown]
	v_add_co_u32_e32 v16, vcc, 1, v42
	v_mov_b32_e32 v14, v42
	v_addc_co_u32_e32 v17, vcc, 0, v13, vcc
	v_addc_co_u32_e64 v19, vcc, 0, v13, s[2:3]
	v_addc_co_u32_e64 v21, vcc, 0, v13, s[4:5]
	;; [unrolled: 1-line block ×5, first 2 shown]
	global_store_dwordx4 v[10:11], v[14:17], off offset:-24
	global_store_dwordx4 v[10:11], v[18:21], off offset:-8
	global_store_dwordx4 v[10:11], v[22:25], off offset:8
	global_store_dwordx2 v[10:11], v[26:27], off offset:24
	v_add_co_u32_e32 v10, vcc, 0x700, v10
	v_addc_co_u32_e32 v11, vcc, 0, v11, vcc
	s_andn2_b64 exec, exec, s[16:17]
	s_cbranch_execnz .LBB305_5
.LBB305_6:
	s_endpgm
	.section	.rodata,"a",@progbits
	.p2align	6, 0x0
	.amdhsa_kernel _ZN9rocsparseL32bsr2csr_block_per_row_2_7_kernelILj256ELj7E21rocsparse_complex_numIdEllEEv20rocsparse_direction_T3_S4_21rocsparse_index_base_PKT1_PKT2_PKS4_S4_S5_PS6_PS9_PS4_
		.amdhsa_group_segment_fixed_size 0
		.amdhsa_private_segment_fixed_size 0
		.amdhsa_kernarg_size 96
		.amdhsa_user_sgpr_count 6
		.amdhsa_user_sgpr_private_segment_buffer 1
		.amdhsa_user_sgpr_dispatch_ptr 0
		.amdhsa_user_sgpr_queue_ptr 0
		.amdhsa_user_sgpr_kernarg_segment_ptr 1
		.amdhsa_user_sgpr_dispatch_id 0
		.amdhsa_user_sgpr_flat_scratch_init 0
		.amdhsa_user_sgpr_kernarg_preload_length 0
		.amdhsa_user_sgpr_kernarg_preload_offset 0
		.amdhsa_user_sgpr_private_segment_size 0
		.amdhsa_uses_dynamic_stack 0
		.amdhsa_system_sgpr_private_segment_wavefront_offset 0
		.amdhsa_system_sgpr_workgroup_id_x 1
		.amdhsa_system_sgpr_workgroup_id_y 0
		.amdhsa_system_sgpr_workgroup_id_z 0
		.amdhsa_system_sgpr_workgroup_info 0
		.amdhsa_system_vgpr_workitem_id 0
		.amdhsa_next_free_vgpr 56
		.amdhsa_next_free_sgpr 29
		.amdhsa_accum_offset 56
		.amdhsa_reserve_vcc 1
		.amdhsa_reserve_flat_scratch 0
		.amdhsa_float_round_mode_32 0
		.amdhsa_float_round_mode_16_64 0
		.amdhsa_float_denorm_mode_32 3
		.amdhsa_float_denorm_mode_16_64 3
		.amdhsa_dx10_clamp 1
		.amdhsa_ieee_mode 1
		.amdhsa_fp16_overflow 0
		.amdhsa_tg_split 0
		.amdhsa_exception_fp_ieee_invalid_op 0
		.amdhsa_exception_fp_denorm_src 0
		.amdhsa_exception_fp_ieee_div_zero 0
		.amdhsa_exception_fp_ieee_overflow 0
		.amdhsa_exception_fp_ieee_underflow 0
		.amdhsa_exception_fp_ieee_inexact 0
		.amdhsa_exception_int_div_zero 0
	.end_amdhsa_kernel
	.section	.text._ZN9rocsparseL32bsr2csr_block_per_row_2_7_kernelILj256ELj7E21rocsparse_complex_numIdEllEEv20rocsparse_direction_T3_S4_21rocsparse_index_base_PKT1_PKT2_PKS4_S4_S5_PS6_PS9_PS4_,"axG",@progbits,_ZN9rocsparseL32bsr2csr_block_per_row_2_7_kernelILj256ELj7E21rocsparse_complex_numIdEllEEv20rocsparse_direction_T3_S4_21rocsparse_index_base_PKT1_PKT2_PKS4_S4_S5_PS6_PS9_PS4_,comdat
.Lfunc_end305:
	.size	_ZN9rocsparseL32bsr2csr_block_per_row_2_7_kernelILj256ELj7E21rocsparse_complex_numIdEllEEv20rocsparse_direction_T3_S4_21rocsparse_index_base_PKT1_PKT2_PKS4_S4_S5_PS6_PS9_PS4_, .Lfunc_end305-_ZN9rocsparseL32bsr2csr_block_per_row_2_7_kernelILj256ELj7E21rocsparse_complex_numIdEllEEv20rocsparse_direction_T3_S4_21rocsparse_index_base_PKT1_PKT2_PKS4_S4_S5_PS6_PS9_PS4_
                                        ; -- End function
	.section	.AMDGPU.csdata,"",@progbits
; Kernel info:
; codeLenInByte = 1184
; NumSgprs: 33
; NumVgprs: 56
; NumAgprs: 0
; TotalNumVgprs: 56
; ScratchSize: 0
; MemoryBound: 0
; FloatMode: 240
; IeeeMode: 1
; LDSByteSize: 0 bytes/workgroup (compile time only)
; SGPRBlocks: 4
; VGPRBlocks: 6
; NumSGPRsForWavesPerEU: 33
; NumVGPRsForWavesPerEU: 56
; AccumOffset: 56
; Occupancy: 8
; WaveLimiterHint : 0
; COMPUTE_PGM_RSRC2:SCRATCH_EN: 0
; COMPUTE_PGM_RSRC2:USER_SGPR: 6
; COMPUTE_PGM_RSRC2:TRAP_HANDLER: 0
; COMPUTE_PGM_RSRC2:TGID_X_EN: 1
; COMPUTE_PGM_RSRC2:TGID_Y_EN: 0
; COMPUTE_PGM_RSRC2:TGID_Z_EN: 0
; COMPUTE_PGM_RSRC2:TIDIG_COMP_CNT: 0
; COMPUTE_PGM_RSRC3_GFX90A:ACCUM_OFFSET: 13
; COMPUTE_PGM_RSRC3_GFX90A:TG_SPLIT: 0
	.section	.text._ZN9rocsparseL33bsr2csr_block_per_row_8_32_kernelILj1024ELj8E21rocsparse_complex_numIdEllEEv20rocsparse_direction_T3_S4_21rocsparse_index_base_PKT1_PKT2_PKS4_S4_S5_PS6_PS9_PS4_,"axG",@progbits,_ZN9rocsparseL33bsr2csr_block_per_row_8_32_kernelILj1024ELj8E21rocsparse_complex_numIdEllEEv20rocsparse_direction_T3_S4_21rocsparse_index_base_PKT1_PKT2_PKS4_S4_S5_PS6_PS9_PS4_,comdat
	.globl	_ZN9rocsparseL33bsr2csr_block_per_row_8_32_kernelILj1024ELj8E21rocsparse_complex_numIdEllEEv20rocsparse_direction_T3_S4_21rocsparse_index_base_PKT1_PKT2_PKS4_S4_S5_PS6_PS9_PS4_ ; -- Begin function _ZN9rocsparseL33bsr2csr_block_per_row_8_32_kernelILj1024ELj8E21rocsparse_complex_numIdEllEEv20rocsparse_direction_T3_S4_21rocsparse_index_base_PKT1_PKT2_PKS4_S4_S5_PS6_PS9_PS4_
	.p2align	8
	.type	_ZN9rocsparseL33bsr2csr_block_per_row_8_32_kernelILj1024ELj8E21rocsparse_complex_numIdEllEEv20rocsparse_direction_T3_S4_21rocsparse_index_base_PKT1_PKT2_PKS4_S4_S5_PS6_PS9_PS4_,@function
_ZN9rocsparseL33bsr2csr_block_per_row_8_32_kernelILj1024ELj8E21rocsparse_complex_numIdEllEEv20rocsparse_direction_T3_S4_21rocsparse_index_base_PKT1_PKT2_PKS4_S4_S5_PS6_PS9_PS4_: ; @_ZN9rocsparseL33bsr2csr_block_per_row_8_32_kernelILj1024ELj8E21rocsparse_complex_numIdEllEEv20rocsparse_direction_T3_S4_21rocsparse_index_base_PKT1_PKT2_PKS4_S4_S5_PS6_PS9_PS4_
; %bb.0:
	s_load_dwordx2 s[0:1], s[4:5], 0x28
	s_load_dword s12, s[4:5], 0x40
	s_load_dwordx2 s[10:11], s[4:5], 0x50
	s_mov_b32 s14, 0
	s_mov_b32 s7, s14
	s_lshl_b64 s[2:3], s[6:7], 3
	s_waitcnt lgkmcnt(0)
	s_add_u32 s8, s0, s2
	v_or_b32_e32 v1, s6, v0
	s_addc_u32 s9, s1, s3
	v_cmp_eq_u32_e32 vcc, 0, v1
	s_and_saveexec_b64 s[0:1], vcc
	s_cbranch_execz .LBB306_2
; %bb.1:
	v_mov_b32_e32 v2, s12
	v_mov_b32_e32 v3, 0
	global_store_dwordx2 v3, v[2:3], s[10:11]
.LBB306_2:
	s_or_b64 exec, exec, s[0:1]
	s_load_dwordx2 s[2:3], s[4:5], 0x38
	v_mov_b32_e32 v3, 0
	v_and_b32_e32 v2, 7, v0
	v_bfe_u32 v6, v0, 3, 3
	v_mov_b32_e32 v7, v3
	s_waitcnt lgkmcnt(0)
	v_cmp_gt_i64_e32 vcc, s[2:3], v[6:7]
	v_cmp_gt_i64_e64 s[0:1], s[2:3], v[2:3]
	s_and_b64 s[0:1], vcc, s[0:1]
	s_and_saveexec_b64 s[16:17], s[0:1]
	s_cbranch_execz .LBB306_6
; %bb.3:
	s_load_dwordx4 s[16:19], s[8:9], 0x0
	s_load_dword s15, s[4:5], 0x18
	s_mul_i32 s0, s2, s3
	s_mul_hi_u32 s1, s2, s2
	v_lshrrev_b32_e32 v8, 6, v0
	v_mov_b32_e32 v9, v3
	s_waitcnt lgkmcnt(0)
	s_sub_u32 s13, s16, s15
	s_subb_u32 s16, s17, 0
	s_sub_u32 s8, s18, s15
	s_subb_u32 s9, s19, 0
	s_add_i32 s1, s1, s0
	s_add_i32 s1, s1, s0
	s_mul_i32 s0, s2, s2
	s_mul_i32 s7, s13, s1
	s_mul_hi_u32 s17, s13, s0
	s_add_i32 s7, s17, s7
	s_mul_i32 s17, s16, s0
	s_add_i32 s7, s7, s17
	s_sub_u32 s18, s8, s13
	s_subb_u32 s17, s9, s16
	s_mul_i32 s19, s18, s3
	s_mul_hi_u32 s21, s18, s2
	s_add_i32 s19, s21, s19
	s_mul_i32 s21, s17, s2
	s_add_i32 s22, s19, s21
	s_mul_i32 s23, s18, s2
	s_add_u32 s21, s23, s12
	s_mul_i32 s20, s13, s0
	s_addc_u32 s24, s22, 0
	s_add_u32 s20, s21, s20
	s_addc_u32 s21, s24, s7
	v_pk_mov_b32 v[0:1], s[20:21], s[20:21] op_sel:[0,1]
	v_mad_u64_u32 v[0:1], s[20:21], s23, v6, v[0:1]
	v_mov_b32_e32 v4, v1
	v_mad_u64_u32 v[4:5], s[20:21], s22, v6, v[4:5]
	s_mul_i32 s7, s6, s3
	s_mul_hi_u32 s20, s6, s2
	s_add_i32 s7, s20, s7
	s_mul_i32 s6, s6, s2
	s_lshl_b64 s[6:7], s[6:7], 3
	s_add_u32 s6, s10, s6
	v_mov_b32_e32 v1, v4
	s_addc_u32 s7, s11, s7
	v_lshlrev_b32_e32 v3, 3, v6
	global_store_dwordx2 v3, v[0:1], s[6:7] offset:8
	v_mov_b32_e32 v1, s16
	v_add_co_u32_e32 v0, vcc, s13, v8
	v_addc_co_u32_e32 v1, vcc, 0, v1, vcc
	v_cmp_gt_i64_e32 vcc, s[8:9], v[0:1]
	s_and_b64 exec, exec, vcc
	s_cbranch_execz .LBB306_6
; %bb.4:
	s_load_dwordx2 s[6:7], s[4:5], 0x30
	s_load_dwordx2 s[20:21], s[4:5], 0x48
	;; [unrolled: 1-line block ×4, first 2 shown]
	s_load_dword s24, s[4:5], 0x0
	v_mad_u64_u32 v[10:11], s[4:5], v2, s2, 0
	v_mov_b32_e32 v12, v11
	v_mad_u64_u32 v[12:13], s[4:5], v2, s3, v[12:13]
	v_mov_b32_e32 v3, s14
	v_add_co_u32_e32 v4, vcc, s12, v2
	v_mov_b32_e32 v11, v12
	v_addc_co_u32_e32 v5, vcc, 0, v3, vcc
	v_lshlrev_b64 v[10:11], 4, v[10:11]
	s_waitcnt lgkmcnt(0)
	v_mov_b32_e32 v3, s23
	v_add_co_u32_e32 v7, vcc, s22, v10
	v_addc_co_u32_e32 v10, vcc, v3, v11, vcc
	v_lshlrev_b32_e32 v11, 4, v6
	v_add_co_u32_e32 v7, vcc, v7, v11
	v_addc_co_u32_e32 v14, vcc, 0, v10, vcc
	v_mad_u64_u32 v[10:11], s[4:5], v6, s2, 0
	v_mov_b32_e32 v12, v11
	v_mad_u64_u32 v[12:13], s[4:5], v6, s3, v[12:13]
	v_mov_b32_e32 v11, v12
	v_lshlrev_b64 v[10:11], 4, v[10:11]
	v_add_co_u32_e32 v10, vcc, s22, v10
	v_addc_co_u32_e32 v3, vcc, v3, v11, vcc
	v_lshlrev_b32_e32 v13, 4, v2
	v_add_co_u32_e32 v10, vcc, v10, v13
	s_cmp_eq_u32 s24, 0
	v_addc_co_u32_e32 v3, vcc, 0, v3, vcc
	s_cselect_b64 vcc, -1, 0
	v_cndmask_b32_e32 v3, v14, v3, vcc
	v_cndmask_b32_e32 v7, v7, v10, vcc
	v_mul_lo_u32 v12, s1, v0
	v_mul_lo_u32 v14, s0, v1
	v_mad_u64_u32 v[10:11], s[4:5], s0, v0, 0
	v_add3_u32 v11, v11, v14, v12
	v_lshlrev_b64 v[10:11], 4, v[10:11]
	v_add_co_u32_e32 v10, vcc, v7, v10
	v_addc_co_u32_e32 v11, vcc, v3, v11, vcc
	s_lshl_b64 s[4:5], s[0:1], 8
	s_mul_i32 s0, s3, s13
	s_mul_i32 s1, s2, s16
	v_mov_b32_e32 v3, s13
	s_add_i32 s12, s1, s0
	v_mad_u64_u32 v[8:9], s[0:1], s2, v3, v[8:9]
	v_add_u32_e32 v9, s12, v9
	v_mad_u64_u32 v[8:9], s[0:1], s18, v6, v[8:9]
	v_mov_b32_e32 v12, v9
	v_mad_u64_u32 v[6:7], s[0:1], s17, v6, v[12:13]
	v_mul_lo_u32 v3, s3, v8
	v_mul_lo_u32 v9, s2, v6
	v_mad_u64_u32 v[6:7], s[0:1], s2, v8, 0
	v_add3_u32 v7, v7, v9, v3
	v_lshlrev_b64 v[8:9], 3, v[6:7]
	v_lshlrev_b32_e32 v2, 3, v2
	v_add_co_u32_e32 v2, vcc, v8, v2
	v_addc_co_u32_e32 v3, vcc, 0, v9, vcc
	v_mov_b32_e32 v8, s11
	v_add_co_u32_e32 v2, vcc, s10, v2
	v_addc_co_u32_e32 v3, vcc, v8, v3, vcc
	v_lshlrev_b64 v[6:7], 4, v[6:7]
	v_add_co_u32_e32 v6, vcc, v6, v13
	v_addc_co_u32_e32 v7, vcc, 0, v7, vcc
	v_mov_b32_e32 v8, s21
	v_add_co_u32_e32 v6, vcc, s20, v6
	v_addc_co_u32_e32 v7, vcc, v8, v7, vcc
	v_lshlrev_b64 v[8:9], 3, v[0:1]
	v_mov_b32_e32 v12, s7
	v_add_co_u32_e32 v8, vcc, s6, v8
	s_lshl_b64 s[10:11], s[2:3], 7
	s_lshl_b64 s[12:13], s[2:3], 8
	v_addc_co_u32_e32 v9, vcc, v12, v9, vcc
	s_mov_b64 s[6:7], 0
.LBB306_5:                              ; =>This Inner Loop Header: Depth=1
	global_load_dwordx2 v[16:17], v[8:9], off
	global_load_dwordx4 v[12:15], v[10:11], off
	v_add_co_u32_e32 v0, vcc, 16, v0
	v_addc_co_u32_e32 v1, vcc, 0, v1, vcc
	v_add_co_u32_e32 v8, vcc, 0x80, v8
	v_addc_co_u32_e32 v9, vcc, 0, v9, vcc
	v_cmp_le_i64_e32 vcc, s[8:9], v[0:1]
	v_mov_b32_e32 v18, s14
	s_or_b64 s[6:7], vcc, s[6:7]
	v_mov_b32_e32 v19, s5
	v_add_co_u32_e64 v10, s[0:1], s4, v10
	v_mov_b32_e32 v21, s13
	v_addc_co_u32_e64 v11, s[0:1], v11, v19, s[0:1]
	v_mov_b32_e32 v20, s11
	s_waitcnt vmcnt(1)
	v_subrev_co_u32_e32 v16, vcc, s15, v16
	v_subb_co_u32_e32 v17, vcc, v17, v18, vcc
	s_waitcnt vmcnt(0)
	global_store_dwordx4 v[6:7], v[12:15], off
	v_add_co_u32_e32 v6, vcc, s12, v6
	v_mul_lo_u32 v14, v16, s3
	v_mul_lo_u32 v15, v17, s2
	v_mad_u64_u32 v[12:13], s[0:1], v16, s2, v[4:5]
	v_addc_co_u32_e32 v7, vcc, v7, v21, vcc
	v_add3_u32 v13, v15, v13, v14
	global_store_dwordx2 v[2:3], v[12:13], off
	v_add_co_u32_e32 v2, vcc, s10, v2
	v_addc_co_u32_e32 v3, vcc, v3, v20, vcc
	s_andn2_b64 exec, exec, s[6:7]
	s_cbranch_execnz .LBB306_5
.LBB306_6:
	s_endpgm
	.section	.rodata,"a",@progbits
	.p2align	6, 0x0
	.amdhsa_kernel _ZN9rocsparseL33bsr2csr_block_per_row_8_32_kernelILj1024ELj8E21rocsparse_complex_numIdEllEEv20rocsparse_direction_T3_S4_21rocsparse_index_base_PKT1_PKT2_PKS4_S4_S5_PS6_PS9_PS4_
		.amdhsa_group_segment_fixed_size 0
		.amdhsa_private_segment_fixed_size 0
		.amdhsa_kernarg_size 96
		.amdhsa_user_sgpr_count 6
		.amdhsa_user_sgpr_private_segment_buffer 1
		.amdhsa_user_sgpr_dispatch_ptr 0
		.amdhsa_user_sgpr_queue_ptr 0
		.amdhsa_user_sgpr_kernarg_segment_ptr 1
		.amdhsa_user_sgpr_dispatch_id 0
		.amdhsa_user_sgpr_flat_scratch_init 0
		.amdhsa_user_sgpr_kernarg_preload_length 0
		.amdhsa_user_sgpr_kernarg_preload_offset 0
		.amdhsa_user_sgpr_private_segment_size 0
		.amdhsa_uses_dynamic_stack 0
		.amdhsa_system_sgpr_private_segment_wavefront_offset 0
		.amdhsa_system_sgpr_workgroup_id_x 1
		.amdhsa_system_sgpr_workgroup_id_y 0
		.amdhsa_system_sgpr_workgroup_id_z 0
		.amdhsa_system_sgpr_workgroup_info 0
		.amdhsa_system_vgpr_workitem_id 0
		.amdhsa_next_free_vgpr 22
		.amdhsa_next_free_sgpr 25
		.amdhsa_accum_offset 24
		.amdhsa_reserve_vcc 1
		.amdhsa_reserve_flat_scratch 0
		.amdhsa_float_round_mode_32 0
		.amdhsa_float_round_mode_16_64 0
		.amdhsa_float_denorm_mode_32 3
		.amdhsa_float_denorm_mode_16_64 3
		.amdhsa_dx10_clamp 1
		.amdhsa_ieee_mode 1
		.amdhsa_fp16_overflow 0
		.amdhsa_tg_split 0
		.amdhsa_exception_fp_ieee_invalid_op 0
		.amdhsa_exception_fp_denorm_src 0
		.amdhsa_exception_fp_ieee_div_zero 0
		.amdhsa_exception_fp_ieee_overflow 0
		.amdhsa_exception_fp_ieee_underflow 0
		.amdhsa_exception_fp_ieee_inexact 0
		.amdhsa_exception_int_div_zero 0
	.end_amdhsa_kernel
	.section	.text._ZN9rocsparseL33bsr2csr_block_per_row_8_32_kernelILj1024ELj8E21rocsparse_complex_numIdEllEEv20rocsparse_direction_T3_S4_21rocsparse_index_base_PKT1_PKT2_PKS4_S4_S5_PS6_PS9_PS4_,"axG",@progbits,_ZN9rocsparseL33bsr2csr_block_per_row_8_32_kernelILj1024ELj8E21rocsparse_complex_numIdEllEEv20rocsparse_direction_T3_S4_21rocsparse_index_base_PKT1_PKT2_PKS4_S4_S5_PS6_PS9_PS4_,comdat
.Lfunc_end306:
	.size	_ZN9rocsparseL33bsr2csr_block_per_row_8_32_kernelILj1024ELj8E21rocsparse_complex_numIdEllEEv20rocsparse_direction_T3_S4_21rocsparse_index_base_PKT1_PKT2_PKS4_S4_S5_PS6_PS9_PS4_, .Lfunc_end306-_ZN9rocsparseL33bsr2csr_block_per_row_8_32_kernelILj1024ELj8E21rocsparse_complex_numIdEllEEv20rocsparse_direction_T3_S4_21rocsparse_index_base_PKT1_PKT2_PKS4_S4_S5_PS6_PS9_PS4_
                                        ; -- End function
	.section	.AMDGPU.csdata,"",@progbits
; Kernel info:
; codeLenInByte = 944
; NumSgprs: 29
; NumVgprs: 22
; NumAgprs: 0
; TotalNumVgprs: 22
; ScratchSize: 0
; MemoryBound: 0
; FloatMode: 240
; IeeeMode: 1
; LDSByteSize: 0 bytes/workgroup (compile time only)
; SGPRBlocks: 3
; VGPRBlocks: 2
; NumSGPRsForWavesPerEU: 29
; NumVGPRsForWavesPerEU: 22
; AccumOffset: 24
; Occupancy: 8
; WaveLimiterHint : 0
; COMPUTE_PGM_RSRC2:SCRATCH_EN: 0
; COMPUTE_PGM_RSRC2:USER_SGPR: 6
; COMPUTE_PGM_RSRC2:TRAP_HANDLER: 0
; COMPUTE_PGM_RSRC2:TGID_X_EN: 1
; COMPUTE_PGM_RSRC2:TGID_Y_EN: 0
; COMPUTE_PGM_RSRC2:TGID_Z_EN: 0
; COMPUTE_PGM_RSRC2:TIDIG_COMP_CNT: 0
; COMPUTE_PGM_RSRC3_GFX90A:ACCUM_OFFSET: 5
; COMPUTE_PGM_RSRC3_GFX90A:TG_SPLIT: 0
	.section	.text._ZN9rocsparseL33bsr2csr_block_per_row_8_32_kernelILj1024ELj16E21rocsparse_complex_numIdEllEEv20rocsparse_direction_T3_S4_21rocsparse_index_base_PKT1_PKT2_PKS4_S4_S5_PS6_PS9_PS4_,"axG",@progbits,_ZN9rocsparseL33bsr2csr_block_per_row_8_32_kernelILj1024ELj16E21rocsparse_complex_numIdEllEEv20rocsparse_direction_T3_S4_21rocsparse_index_base_PKT1_PKT2_PKS4_S4_S5_PS6_PS9_PS4_,comdat
	.globl	_ZN9rocsparseL33bsr2csr_block_per_row_8_32_kernelILj1024ELj16E21rocsparse_complex_numIdEllEEv20rocsparse_direction_T3_S4_21rocsparse_index_base_PKT1_PKT2_PKS4_S4_S5_PS6_PS9_PS4_ ; -- Begin function _ZN9rocsparseL33bsr2csr_block_per_row_8_32_kernelILj1024ELj16E21rocsparse_complex_numIdEllEEv20rocsparse_direction_T3_S4_21rocsparse_index_base_PKT1_PKT2_PKS4_S4_S5_PS6_PS9_PS4_
	.p2align	8
	.type	_ZN9rocsparseL33bsr2csr_block_per_row_8_32_kernelILj1024ELj16E21rocsparse_complex_numIdEllEEv20rocsparse_direction_T3_S4_21rocsparse_index_base_PKT1_PKT2_PKS4_S4_S5_PS6_PS9_PS4_,@function
_ZN9rocsparseL33bsr2csr_block_per_row_8_32_kernelILj1024ELj16E21rocsparse_complex_numIdEllEEv20rocsparse_direction_T3_S4_21rocsparse_index_base_PKT1_PKT2_PKS4_S4_S5_PS6_PS9_PS4_: ; @_ZN9rocsparseL33bsr2csr_block_per_row_8_32_kernelILj1024ELj16E21rocsparse_complex_numIdEllEEv20rocsparse_direction_T3_S4_21rocsparse_index_base_PKT1_PKT2_PKS4_S4_S5_PS6_PS9_PS4_
; %bb.0:
	s_load_dwordx2 s[0:1], s[4:5], 0x28
	s_load_dword s14, s[4:5], 0x40
	s_load_dwordx2 s[10:11], s[4:5], 0x50
	s_mov_b32 s12, 0
	s_mov_b32 s7, s12
	s_lshl_b64 s[2:3], s[6:7], 3
	s_waitcnt lgkmcnt(0)
	s_add_u32 s8, s0, s2
	v_or_b32_e32 v1, s6, v0
	s_addc_u32 s9, s1, s3
	v_cmp_eq_u32_e32 vcc, 0, v1
	s_and_saveexec_b64 s[0:1], vcc
	s_cbranch_execz .LBB307_2
; %bb.1:
	v_mov_b32_e32 v2, s14
	v_mov_b32_e32 v3, 0
	global_store_dwordx2 v3, v[2:3], s[10:11]
.LBB307_2:
	s_or_b64 exec, exec, s[0:1]
	s_load_dwordx2 s[2:3], s[4:5], 0x38
	v_mov_b32_e32 v3, 0
	v_and_b32_e32 v2, 15, v0
	v_bfe_u32 v6, v0, 4, 4
	v_mov_b32_e32 v7, v3
	s_waitcnt lgkmcnt(0)
	v_cmp_gt_i64_e32 vcc, s[2:3], v[6:7]
	v_cmp_gt_i64_e64 s[0:1], s[2:3], v[2:3]
	s_and_b64 s[0:1], vcc, s[0:1]
	s_and_saveexec_b64 s[16:17], s[0:1]
	s_cbranch_execz .LBB307_6
; %bb.3:
	s_load_dwordx4 s[16:19], s[8:9], 0x0
	s_load_dword s13, s[4:5], 0x18
	s_mul_i32 s7, s2, s3
	s_mul_hi_u32 s8, s2, s2
	v_lshrrev_b32_e32 v8, 8, v0
	v_mov_b32_e32 v9, v3
	s_waitcnt lgkmcnt(0)
	s_sub_u32 s15, s16, s13
	s_subb_u32 s16, s17, 0
	s_sub_u32 s0, s18, s13
	s_subb_u32 s1, s19, 0
	s_add_i32 s8, s8, s7
	s_add_i32 s9, s8, s7
	s_mul_i32 s8, s2, s2
	s_mul_i32 s7, s15, s9
	s_mul_hi_u32 s17, s15, s8
	s_add_i32 s7, s17, s7
	s_mul_i32 s17, s16, s8
	s_add_i32 s7, s7, s17
	s_sub_u32 s18, s0, s15
	s_subb_u32 s17, s1, s16
	s_mul_i32 s19, s18, s3
	s_mul_hi_u32 s21, s18, s2
	s_add_i32 s19, s21, s19
	s_mul_i32 s21, s17, s2
	s_add_i32 s22, s19, s21
	s_mul_i32 s23, s18, s2
	s_add_u32 s21, s23, s14
	s_mul_i32 s20, s15, s8
	s_addc_u32 s24, s22, 0
	s_add_u32 s20, s21, s20
	s_addc_u32 s21, s24, s7
	v_pk_mov_b32 v[0:1], s[20:21], s[20:21] op_sel:[0,1]
	v_mad_u64_u32 v[0:1], s[20:21], s23, v6, v[0:1]
	v_mov_b32_e32 v4, v1
	v_mad_u64_u32 v[4:5], s[20:21], s22, v6, v[4:5]
	s_mul_i32 s7, s6, s3
	s_mul_hi_u32 s20, s6, s2
	s_add_i32 s7, s20, s7
	s_mul_i32 s6, s6, s2
	s_lshl_b64 s[6:7], s[6:7], 3
	s_add_u32 s6, s10, s6
	v_mov_b32_e32 v1, v4
	s_addc_u32 s7, s11, s7
	v_lshlrev_b32_e32 v3, 3, v6
	global_store_dwordx2 v3, v[0:1], s[6:7] offset:8
	v_mov_b32_e32 v1, s16
	v_add_co_u32_e32 v0, vcc, s15, v8
	v_addc_co_u32_e32 v1, vcc, 0, v1, vcc
	v_cmp_gt_i64_e32 vcc, s[0:1], v[0:1]
	s_and_b64 exec, exec, vcc
	s_cbranch_execz .LBB307_6
; %bb.4:
	s_load_dwordx2 s[6:7], s[4:5], 0x30
	s_load_dwordx2 s[10:11], s[4:5], 0x48
	;; [unrolled: 1-line block ×4, first 2 shown]
	s_load_dword s24, s[4:5], 0x0
	v_mad_u64_u32 v[10:11], s[4:5], v2, s2, 0
	v_mov_b32_e32 v12, v11
	v_mad_u64_u32 v[12:13], s[4:5], v2, s3, v[12:13]
	v_mov_b32_e32 v3, s12
	v_add_co_u32_e32 v4, vcc, s14, v2
	v_mov_b32_e32 v11, v12
	v_addc_co_u32_e32 v5, vcc, 0, v3, vcc
	v_lshlrev_b64 v[10:11], 4, v[10:11]
	s_waitcnt lgkmcnt(0)
	v_mov_b32_e32 v3, s23
	v_add_co_u32_e32 v7, vcc, s22, v10
	v_addc_co_u32_e32 v10, vcc, v3, v11, vcc
	v_lshlrev_b32_e32 v11, 4, v6
	v_add_co_u32_e32 v7, vcc, v7, v11
	v_addc_co_u32_e32 v14, vcc, 0, v10, vcc
	v_mad_u64_u32 v[10:11], s[4:5], v6, s2, 0
	v_mov_b32_e32 v12, v11
	v_mad_u64_u32 v[12:13], s[4:5], v6, s3, v[12:13]
	v_mov_b32_e32 v11, v12
	v_lshlrev_b64 v[10:11], 4, v[10:11]
	v_add_co_u32_e32 v10, vcc, s22, v10
	v_addc_co_u32_e32 v3, vcc, v3, v11, vcc
	v_lshlrev_b32_e32 v13, 4, v2
	v_add_co_u32_e32 v10, vcc, v10, v13
	s_cmp_eq_u32 s24, 0
	v_addc_co_u32_e32 v3, vcc, 0, v3, vcc
	s_cselect_b64 vcc, -1, 0
	v_cndmask_b32_e32 v3, v14, v3, vcc
	v_cndmask_b32_e32 v7, v7, v10, vcc
	v_mul_lo_u32 v12, s9, v0
	v_mul_lo_u32 v14, s8, v1
	v_mad_u64_u32 v[10:11], s[4:5], s8, v0, 0
	v_add3_u32 v11, v11, v14, v12
	v_lshlrev_b64 v[10:11], 4, v[10:11]
	v_add_co_u32_e32 v10, vcc, v7, v10
	v_addc_co_u32_e32 v11, vcc, v3, v11, vcc
	s_lshl_b64 s[4:5], s[8:9], 6
	s_mul_i32 s8, s3, s15
	s_mul_i32 s9, s2, s16
	v_mov_b32_e32 v3, s15
	s_add_i32 s14, s9, s8
	v_mad_u64_u32 v[8:9], s[8:9], s2, v3, v[8:9]
	v_add_u32_e32 v9, s14, v9
	v_mad_u64_u32 v[8:9], s[8:9], s18, v6, v[8:9]
	v_mov_b32_e32 v12, v9
	v_mad_u64_u32 v[6:7], s[8:9], s17, v6, v[12:13]
	v_mul_lo_u32 v3, s3, v8
	v_mul_lo_u32 v9, s2, v6
	v_mad_u64_u32 v[6:7], s[8:9], s2, v8, 0
	v_add3_u32 v7, v7, v9, v3
	v_lshlrev_b64 v[8:9], 3, v[6:7]
	v_lshlrev_b32_e32 v2, 3, v2
	v_add_co_u32_e32 v2, vcc, v8, v2
	v_addc_co_u32_e32 v3, vcc, 0, v9, vcc
	v_mov_b32_e32 v8, s21
	v_add_co_u32_e32 v2, vcc, s20, v2
	v_addc_co_u32_e32 v3, vcc, v8, v3, vcc
	v_lshlrev_b64 v[6:7], 4, v[6:7]
	v_add_co_u32_e32 v6, vcc, v6, v13
	v_addc_co_u32_e32 v7, vcc, 0, v7, vcc
	v_mov_b32_e32 v8, s11
	v_add_co_u32_e32 v6, vcc, s10, v6
	v_addc_co_u32_e32 v7, vcc, v8, v7, vcc
	v_lshlrev_b64 v[8:9], 3, v[0:1]
	v_mov_b32_e32 v12, s7
	v_add_co_u32_e32 v8, vcc, s6, v8
	s_lshl_b64 s[8:9], s[2:3], 5
	s_lshl_b64 s[10:11], s[2:3], 6
	v_addc_co_u32_e32 v9, vcc, v12, v9, vcc
	s_mov_b64 s[6:7], 0
.LBB307_5:                              ; =>This Inner Loop Header: Depth=1
	global_load_dwordx2 v[16:17], v[8:9], off
	global_load_dwordx4 v[12:15], v[10:11], off
	v_add_co_u32_e32 v0, vcc, 4, v0
	v_addc_co_u32_e32 v1, vcc, 0, v1, vcc
	v_add_co_u32_e32 v8, vcc, 32, v8
	v_addc_co_u32_e32 v9, vcc, 0, v9, vcc
	v_mov_b32_e32 v19, s5
	v_add_co_u32_e32 v10, vcc, s4, v10
	v_addc_co_u32_e32 v11, vcc, v11, v19, vcc
	v_cmp_le_i64_e32 vcc, s[0:1], v[0:1]
	v_mov_b32_e32 v18, s12
	s_or_b64 s[6:7], vcc, s[6:7]
	v_mov_b32_e32 v21, s11
	v_mov_b32_e32 v20, s9
	s_waitcnt vmcnt(1)
	v_subrev_co_u32_e32 v16, vcc, s13, v16
	v_subb_co_u32_e32 v17, vcc, v17, v18, vcc
	s_waitcnt vmcnt(0)
	global_store_dwordx4 v[6:7], v[12:15], off
	v_add_co_u32_e32 v6, vcc, s10, v6
	v_mul_lo_u32 v14, v16, s3
	v_mul_lo_u32 v15, v17, s2
	v_mad_u64_u32 v[12:13], s[14:15], v16, s2, v[4:5]
	v_addc_co_u32_e32 v7, vcc, v7, v21, vcc
	v_add3_u32 v13, v15, v13, v14
	global_store_dwordx2 v[2:3], v[12:13], off
	v_add_co_u32_e32 v2, vcc, s8, v2
	v_addc_co_u32_e32 v3, vcc, v3, v20, vcc
	s_andn2_b64 exec, exec, s[6:7]
	s_cbranch_execnz .LBB307_5
.LBB307_6:
	s_endpgm
	.section	.rodata,"a",@progbits
	.p2align	6, 0x0
	.amdhsa_kernel _ZN9rocsparseL33bsr2csr_block_per_row_8_32_kernelILj1024ELj16E21rocsparse_complex_numIdEllEEv20rocsparse_direction_T3_S4_21rocsparse_index_base_PKT1_PKT2_PKS4_S4_S5_PS6_PS9_PS4_
		.amdhsa_group_segment_fixed_size 0
		.amdhsa_private_segment_fixed_size 0
		.amdhsa_kernarg_size 96
		.amdhsa_user_sgpr_count 6
		.amdhsa_user_sgpr_private_segment_buffer 1
		.amdhsa_user_sgpr_dispatch_ptr 0
		.amdhsa_user_sgpr_queue_ptr 0
		.amdhsa_user_sgpr_kernarg_segment_ptr 1
		.amdhsa_user_sgpr_dispatch_id 0
		.amdhsa_user_sgpr_flat_scratch_init 0
		.amdhsa_user_sgpr_kernarg_preload_length 0
		.amdhsa_user_sgpr_kernarg_preload_offset 0
		.amdhsa_user_sgpr_private_segment_size 0
		.amdhsa_uses_dynamic_stack 0
		.amdhsa_system_sgpr_private_segment_wavefront_offset 0
		.amdhsa_system_sgpr_workgroup_id_x 1
		.amdhsa_system_sgpr_workgroup_id_y 0
		.amdhsa_system_sgpr_workgroup_id_z 0
		.amdhsa_system_sgpr_workgroup_info 0
		.amdhsa_system_vgpr_workitem_id 0
		.amdhsa_next_free_vgpr 22
		.amdhsa_next_free_sgpr 25
		.amdhsa_accum_offset 24
		.amdhsa_reserve_vcc 1
		.amdhsa_reserve_flat_scratch 0
		.amdhsa_float_round_mode_32 0
		.amdhsa_float_round_mode_16_64 0
		.amdhsa_float_denorm_mode_32 3
		.amdhsa_float_denorm_mode_16_64 3
		.amdhsa_dx10_clamp 1
		.amdhsa_ieee_mode 1
		.amdhsa_fp16_overflow 0
		.amdhsa_tg_split 0
		.amdhsa_exception_fp_ieee_invalid_op 0
		.amdhsa_exception_fp_denorm_src 0
		.amdhsa_exception_fp_ieee_div_zero 0
		.amdhsa_exception_fp_ieee_overflow 0
		.amdhsa_exception_fp_ieee_underflow 0
		.amdhsa_exception_fp_ieee_inexact 0
		.amdhsa_exception_int_div_zero 0
	.end_amdhsa_kernel
	.section	.text._ZN9rocsparseL33bsr2csr_block_per_row_8_32_kernelILj1024ELj16E21rocsparse_complex_numIdEllEEv20rocsparse_direction_T3_S4_21rocsparse_index_base_PKT1_PKT2_PKS4_S4_S5_PS6_PS9_PS4_,"axG",@progbits,_ZN9rocsparseL33bsr2csr_block_per_row_8_32_kernelILj1024ELj16E21rocsparse_complex_numIdEllEEv20rocsparse_direction_T3_S4_21rocsparse_index_base_PKT1_PKT2_PKS4_S4_S5_PS6_PS9_PS4_,comdat
.Lfunc_end307:
	.size	_ZN9rocsparseL33bsr2csr_block_per_row_8_32_kernelILj1024ELj16E21rocsparse_complex_numIdEllEEv20rocsparse_direction_T3_S4_21rocsparse_index_base_PKT1_PKT2_PKS4_S4_S5_PS6_PS9_PS4_, .Lfunc_end307-_ZN9rocsparseL33bsr2csr_block_per_row_8_32_kernelILj1024ELj16E21rocsparse_complex_numIdEllEEv20rocsparse_direction_T3_S4_21rocsparse_index_base_PKT1_PKT2_PKS4_S4_S5_PS6_PS9_PS4_
                                        ; -- End function
	.section	.AMDGPU.csdata,"",@progbits
; Kernel info:
; codeLenInByte = 932
; NumSgprs: 29
; NumVgprs: 22
; NumAgprs: 0
; TotalNumVgprs: 22
; ScratchSize: 0
; MemoryBound: 0
; FloatMode: 240
; IeeeMode: 1
; LDSByteSize: 0 bytes/workgroup (compile time only)
; SGPRBlocks: 3
; VGPRBlocks: 2
; NumSGPRsForWavesPerEU: 29
; NumVGPRsForWavesPerEU: 22
; AccumOffset: 24
; Occupancy: 8
; WaveLimiterHint : 0
; COMPUTE_PGM_RSRC2:SCRATCH_EN: 0
; COMPUTE_PGM_RSRC2:USER_SGPR: 6
; COMPUTE_PGM_RSRC2:TRAP_HANDLER: 0
; COMPUTE_PGM_RSRC2:TGID_X_EN: 1
; COMPUTE_PGM_RSRC2:TGID_Y_EN: 0
; COMPUTE_PGM_RSRC2:TGID_Z_EN: 0
; COMPUTE_PGM_RSRC2:TIDIG_COMP_CNT: 0
; COMPUTE_PGM_RSRC3_GFX90A:ACCUM_OFFSET: 5
; COMPUTE_PGM_RSRC3_GFX90A:TG_SPLIT: 0
	.section	.text._ZN9rocsparseL33bsr2csr_block_per_row_8_32_kernelILj1024ELj32E21rocsparse_complex_numIdEllEEv20rocsparse_direction_T3_S4_21rocsparse_index_base_PKT1_PKT2_PKS4_S4_S5_PS6_PS9_PS4_,"axG",@progbits,_ZN9rocsparseL33bsr2csr_block_per_row_8_32_kernelILj1024ELj32E21rocsparse_complex_numIdEllEEv20rocsparse_direction_T3_S4_21rocsparse_index_base_PKT1_PKT2_PKS4_S4_S5_PS6_PS9_PS4_,comdat
	.globl	_ZN9rocsparseL33bsr2csr_block_per_row_8_32_kernelILj1024ELj32E21rocsparse_complex_numIdEllEEv20rocsparse_direction_T3_S4_21rocsparse_index_base_PKT1_PKT2_PKS4_S4_S5_PS6_PS9_PS4_ ; -- Begin function _ZN9rocsparseL33bsr2csr_block_per_row_8_32_kernelILj1024ELj32E21rocsparse_complex_numIdEllEEv20rocsparse_direction_T3_S4_21rocsparse_index_base_PKT1_PKT2_PKS4_S4_S5_PS6_PS9_PS4_
	.p2align	8
	.type	_ZN9rocsparseL33bsr2csr_block_per_row_8_32_kernelILj1024ELj32E21rocsparse_complex_numIdEllEEv20rocsparse_direction_T3_S4_21rocsparse_index_base_PKT1_PKT2_PKS4_S4_S5_PS6_PS9_PS4_,@function
_ZN9rocsparseL33bsr2csr_block_per_row_8_32_kernelILj1024ELj32E21rocsparse_complex_numIdEllEEv20rocsparse_direction_T3_S4_21rocsparse_index_base_PKT1_PKT2_PKS4_S4_S5_PS6_PS9_PS4_: ; @_ZN9rocsparseL33bsr2csr_block_per_row_8_32_kernelILj1024ELj32E21rocsparse_complex_numIdEllEEv20rocsparse_direction_T3_S4_21rocsparse_index_base_PKT1_PKT2_PKS4_S4_S5_PS6_PS9_PS4_
; %bb.0:
	s_load_dwordx2 s[0:1], s[4:5], 0x28
	s_load_dword s22, s[4:5], 0x40
	s_load_dwordx2 s[16:17], s[4:5], 0x50
	s_mov_b32 s9, 0
	s_mov_b32 s7, s9
	s_lshl_b64 s[2:3], s[6:7], 3
	s_waitcnt lgkmcnt(0)
	s_add_u32 s12, s0, s2
	v_or_b32_e32 v1, s6, v0
	s_addc_u32 s13, s1, s3
	v_cmp_eq_u32_e32 vcc, 0, v1
	s_and_saveexec_b64 s[0:1], vcc
	s_cbranch_execz .LBB308_2
; %bb.1:
	v_mov_b32_e32 v2, s22
	v_mov_b32_e32 v3, 0
	global_store_dwordx2 v3, v[2:3], s[16:17]
.LBB308_2:
	s_or_b64 exec, exec, s[0:1]
	s_load_dwordx2 s[10:11], s[4:5], 0x38
	v_mov_b32_e32 v3, 0
	v_and_b32_e32 v2, 31, v0
	v_lshrrev_b32_e32 v4, 5, v0
	v_mov_b32_e32 v5, v3
	s_waitcnt lgkmcnt(0)
	v_cmp_gt_i64_e32 vcc, s[10:11], v[4:5]
	v_cmp_gt_i64_e64 s[0:1], s[10:11], v[2:3]
	s_and_b64 s[0:1], vcc, s[0:1]
	s_and_saveexec_b64 s[2:3], s[0:1]
	s_cbranch_execz .LBB308_6
; %bb.3:
	s_load_dwordx4 s[0:3], s[12:13], 0x0
	s_load_dword s8, s[4:5], 0x18
	s_mul_i32 s7, s10, s11
	s_mul_hi_u32 s18, s10, s10
	v_lshlrev_b32_e32 v3, 3, v4
	s_waitcnt lgkmcnt(0)
	s_sub_u32 s12, s0, s8
	s_subb_u32 s13, s1, 0
	s_sub_u32 s14, s2, s8
	s_subb_u32 s15, s3, 0
	s_add_i32 s18, s18, s7
	s_add_i32 s19, s18, s7
	s_mul_i32 s18, s10, s10
	s_mul_i32 s7, s12, s19
	s_mul_hi_u32 s20, s12, s18
	s_add_i32 s7, s20, s7
	s_mul_i32 s20, s13, s18
	s_add_i32 s21, s7, s20
	s_sub_u32 s24, s14, s12
	s_subb_u32 s23, s15, s13
	s_mul_i32 s7, s24, s11
	s_mul_hi_u32 s25, s24, s10
	s_add_i32 s7, s25, s7
	s_mul_i32 s25, s23, s10
	s_add_i32 s7, s7, s25
	s_mul_i32 s28, s24, s10
	s_add_u32 s26, s28, s22
	s_mul_i32 s20, s12, s18
	s_addc_u32 s27, s7, 0
	s_add_u32 s26, s26, s20
	s_addc_u32 s27, s27, s21
	v_pk_mov_b32 v[0:1], s[26:27], s[26:27] op_sel:[0,1]
	v_mad_u64_u32 v[0:1], s[26:27], s28, v4, v[0:1]
	v_mov_b32_e32 v6, v1
	v_mad_u64_u32 v[6:7], s[26:27], s7, v4, v[6:7]
	s_mul_i32 s7, s6, s11
	s_mul_hi_u32 s26, s6, s10
	s_add_i32 s7, s26, s7
	s_mul_i32 s6, s6, s10
	s_lshl_b64 s[6:7], s[6:7], 3
	s_add_u32 s6, s16, s6
	v_mov_b32_e32 v1, v6
	s_addc_u32 s7, s17, s7
	global_store_dwordx2 v3, v[0:1], s[6:7] offset:8
	v_pk_mov_b32 v[0:1], s[2:3], s[2:3] op_sel:[0,1]
	v_cmp_ge_i64_e32 vcc, s[0:1], v[0:1]
	s_cbranch_vccnz .LBB308_6
; %bb.4:
	s_load_dwordx2 s[6:7], s[4:5], 0x30
	s_load_dwordx2 s[16:17], s[4:5], 0x48
	;; [unrolled: 1-line block ×4, first 2 shown]
	s_load_dword s28, s[4:5], 0x0
	v_mad_u64_u32 v[6:7], s[4:5], v2, s10, 0
	v_mov_b32_e32 v8, v7
	v_mad_u64_u32 v[8:9], s[4:5], v2, s11, v[8:9]
	v_mov_b32_e32 v1, s9
	v_add_co_u32_e32 v0, vcc, s22, v2
	v_mov_b32_e32 v7, v8
	v_addc_co_u32_e32 v1, vcc, 0, v1, vcc
	v_lshlrev_b64 v[6:7], 4, v[6:7]
	s_waitcnt lgkmcnt(0)
	v_mov_b32_e32 v3, s3
	v_add_co_u32_e32 v5, vcc, s2, v6
	v_addc_co_u32_e32 v6, vcc, v3, v7, vcc
	v_lshlrev_b32_e32 v7, 4, v4
	v_add_co_u32_e32 v5, vcc, v5, v7
	v_addc_co_u32_e32 v10, vcc, 0, v6, vcc
	v_mad_u64_u32 v[6:7], s[4:5], v4, s10, 0
	v_mov_b32_e32 v8, v7
	v_mad_u64_u32 v[8:9], s[4:5], v4, s11, v[8:9]
	v_mov_b32_e32 v7, v8
	v_lshlrev_b64 v[6:7], 4, v[6:7]
	v_add_co_u32_e32 v6, vcc, s2, v6
	v_addc_co_u32_e32 v3, vcc, v3, v7, vcc
	v_lshlrev_b32_e32 v11, 4, v2
	v_add_co_u32_e32 v6, vcc, v6, v11
	s_cmp_eq_u32 s28, 0
	v_addc_co_u32_e32 v3, vcc, 0, v3, vcc
	s_mul_i32 s4, s10, s13
	s_mul_hi_u32 s5, s10, s12
	s_cselect_b64 vcc, -1, 0
	s_add_i32 s4, s5, s4
	s_mul_i32 s5, s11, s12
	s_add_i32 s4, s4, s5
	s_mul_i32 s5, s10, s12
	v_mov_b32_e32 v8, s5
	v_mov_b32_e32 v9, s4
	v_mad_u64_u32 v[8:9], s[4:5], v4, s24, v[8:9]
	v_cndmask_b32_e32 v3, v10, v3, vcc
	v_cndmask_b32_e32 v5, v5, v6, vcc
	s_lshl_b64 s[2:3], s[20:21], 4
	v_mov_b32_e32 v10, v9
	v_mov_b32_e32 v7, s3
	v_add_co_u32_e32 v6, vcc, s2, v5
	v_mad_u64_u32 v[4:5], s[4:5], v4, s23, v[10:11]
	v_addc_co_u32_e32 v7, vcc, v3, v7, vcc
	v_mul_lo_u32 v3, s11, v8
	v_mul_lo_u32 v9, s10, v4
	v_mad_u64_u32 v[4:5], s[4:5], s10, v8, 0
	v_add3_u32 v5, v5, v9, v3
	v_lshlrev_b64 v[8:9], 3, v[4:5]
	v_lshlrev_b32_e32 v2, 3, v2
	v_add_co_u32_e32 v2, vcc, v8, v2
	v_addc_co_u32_e32 v3, vcc, 0, v9, vcc
	v_mov_b32_e32 v8, s27
	v_add_co_u32_e32 v2, vcc, s26, v2
	v_addc_co_u32_e32 v3, vcc, v8, v3, vcc
	v_lshlrev_b64 v[4:5], 4, v[4:5]
	v_add_co_u32_e32 v4, vcc, v4, v11
	v_addc_co_u32_e32 v5, vcc, 0, v5, vcc
	s_lshl_b64 s[2:3], s[18:19], 4
	s_lshl_b64 s[4:5], s[10:11], 3
	v_mov_b32_e32 v8, s17
	v_add_co_u32_e32 v4, vcc, s16, v4
	s_lshl_b64 s[16:17], s[10:11], 4
	s_lshl_b64 s[0:1], s[0:1], 3
	;; [unrolled: 1-line block ×3, first 2 shown]
	s_sub_u32 s0, s0, s18
	s_subb_u32 s1, s1, s19
	s_add_u32 s6, s6, s0
	v_addc_co_u32_e32 v5, vcc, v8, v5, vcc
	s_addc_u32 s7, s7, s1
	v_mov_b32_e32 v10, s10
	v_mov_b32_e32 v11, s3
	;; [unrolled: 1-line block ×4, first 2 shown]
	v_pk_mov_b32 v[8:9], s[14:15], s[14:15] op_sel:[0,1]
.LBB308_5:                              ; =>This Inner Loop Header: Depth=1
	global_load_dwordx4 v[14:17], v[6:7], off
	s_load_dwordx2 s[0:1], s[6:7], 0x0
	v_add_co_u32_e32 v6, vcc, s2, v6
	v_addc_co_u32_e32 v7, vcc, v7, v11, vcc
	s_waitcnt lgkmcnt(0)
	s_sub_u32 s0, s0, s8
	s_subb_u32 s3, s1, 0
	s_mul_i32 s5, s0, s11
	s_mul_i32 s3, s3, s10
	v_mad_u64_u32 v[18:19], s[0:1], s0, v10, v[0:1]
	s_add_i32 s5, s5, s3
	v_add_u32_e32 v19, s5, v19
	s_add_u32 s12, s12, 1
	global_store_dwordx2 v[2:3], v[18:19], off
	v_add_co_u32_e32 v2, vcc, s4, v2
	s_addc_u32 s13, s13, 0
	v_addc_co_u32_e32 v3, vcc, v3, v12, vcc
	s_add_u32 s6, s6, 8
	v_cmp_lt_i64_e32 vcc, s[12:13], v[8:9]
	s_addc_u32 s7, s7, 0
	s_and_b64 vcc, exec, vcc
	s_waitcnt vmcnt(1)
	global_store_dwordx4 v[4:5], v[14:17], off
	v_add_co_u32_e64 v4, s[0:1], s16, v4
	v_addc_co_u32_e64 v5, s[0:1], v5, v13, s[0:1]
	s_cbranch_vccnz .LBB308_5
.LBB308_6:
	s_endpgm
	.section	.rodata,"a",@progbits
	.p2align	6, 0x0
	.amdhsa_kernel _ZN9rocsparseL33bsr2csr_block_per_row_8_32_kernelILj1024ELj32E21rocsparse_complex_numIdEllEEv20rocsparse_direction_T3_S4_21rocsparse_index_base_PKT1_PKT2_PKS4_S4_S5_PS6_PS9_PS4_
		.amdhsa_group_segment_fixed_size 0
		.amdhsa_private_segment_fixed_size 0
		.amdhsa_kernarg_size 96
		.amdhsa_user_sgpr_count 6
		.amdhsa_user_sgpr_private_segment_buffer 1
		.amdhsa_user_sgpr_dispatch_ptr 0
		.amdhsa_user_sgpr_queue_ptr 0
		.amdhsa_user_sgpr_kernarg_segment_ptr 1
		.amdhsa_user_sgpr_dispatch_id 0
		.amdhsa_user_sgpr_flat_scratch_init 0
		.amdhsa_user_sgpr_kernarg_preload_length 0
		.amdhsa_user_sgpr_kernarg_preload_offset 0
		.amdhsa_user_sgpr_private_segment_size 0
		.amdhsa_uses_dynamic_stack 0
		.amdhsa_system_sgpr_private_segment_wavefront_offset 0
		.amdhsa_system_sgpr_workgroup_id_x 1
		.amdhsa_system_sgpr_workgroup_id_y 0
		.amdhsa_system_sgpr_workgroup_id_z 0
		.amdhsa_system_sgpr_workgroup_info 0
		.amdhsa_system_vgpr_workitem_id 0
		.amdhsa_next_free_vgpr 20
		.amdhsa_next_free_sgpr 29
		.amdhsa_accum_offset 20
		.amdhsa_reserve_vcc 1
		.amdhsa_reserve_flat_scratch 0
		.amdhsa_float_round_mode_32 0
		.amdhsa_float_round_mode_16_64 0
		.amdhsa_float_denorm_mode_32 3
		.amdhsa_float_denorm_mode_16_64 3
		.amdhsa_dx10_clamp 1
		.amdhsa_ieee_mode 1
		.amdhsa_fp16_overflow 0
		.amdhsa_tg_split 0
		.amdhsa_exception_fp_ieee_invalid_op 0
		.amdhsa_exception_fp_denorm_src 0
		.amdhsa_exception_fp_ieee_div_zero 0
		.amdhsa_exception_fp_ieee_overflow 0
		.amdhsa_exception_fp_ieee_underflow 0
		.amdhsa_exception_fp_ieee_inexact 0
		.amdhsa_exception_int_div_zero 0
	.end_amdhsa_kernel
	.section	.text._ZN9rocsparseL33bsr2csr_block_per_row_8_32_kernelILj1024ELj32E21rocsparse_complex_numIdEllEEv20rocsparse_direction_T3_S4_21rocsparse_index_base_PKT1_PKT2_PKS4_S4_S5_PS6_PS9_PS4_,"axG",@progbits,_ZN9rocsparseL33bsr2csr_block_per_row_8_32_kernelILj1024ELj32E21rocsparse_complex_numIdEllEEv20rocsparse_direction_T3_S4_21rocsparse_index_base_PKT1_PKT2_PKS4_S4_S5_PS6_PS9_PS4_,comdat
.Lfunc_end308:
	.size	_ZN9rocsparseL33bsr2csr_block_per_row_8_32_kernelILj1024ELj32E21rocsparse_complex_numIdEllEEv20rocsparse_direction_T3_S4_21rocsparse_index_base_PKT1_PKT2_PKS4_S4_S5_PS6_PS9_PS4_, .Lfunc_end308-_ZN9rocsparseL33bsr2csr_block_per_row_8_32_kernelILj1024ELj32E21rocsparse_complex_numIdEllEEv20rocsparse_direction_T3_S4_21rocsparse_index_base_PKT1_PKT2_PKS4_S4_S5_PS6_PS9_PS4_
                                        ; -- End function
	.section	.AMDGPU.csdata,"",@progbits
; Kernel info:
; codeLenInByte = 888
; NumSgprs: 33
; NumVgprs: 20
; NumAgprs: 0
; TotalNumVgprs: 20
; ScratchSize: 0
; MemoryBound: 0
; FloatMode: 240
; IeeeMode: 1
; LDSByteSize: 0 bytes/workgroup (compile time only)
; SGPRBlocks: 4
; VGPRBlocks: 2
; NumSGPRsForWavesPerEU: 33
; NumVGPRsForWavesPerEU: 20
; AccumOffset: 20
; Occupancy: 8
; WaveLimiterHint : 0
; COMPUTE_PGM_RSRC2:SCRATCH_EN: 0
; COMPUTE_PGM_RSRC2:USER_SGPR: 6
; COMPUTE_PGM_RSRC2:TRAP_HANDLER: 0
; COMPUTE_PGM_RSRC2:TGID_X_EN: 1
; COMPUTE_PGM_RSRC2:TGID_Y_EN: 0
; COMPUTE_PGM_RSRC2:TGID_Z_EN: 0
; COMPUTE_PGM_RSRC2:TIDIG_COMP_CNT: 0
; COMPUTE_PGM_RSRC3_GFX90A:ACCUM_OFFSET: 4
; COMPUTE_PGM_RSRC3_GFX90A:TG_SPLIT: 0
	.section	.text._ZN9rocsparseL35bsr2csr_block_per_row_33_256_kernelILj1024ELj64ELj32E21rocsparse_complex_numIdEllEEv20rocsparse_direction_T4_S4_21rocsparse_index_base_PKT2_PKT3_PKS4_S4_S5_PS6_PS9_PS4_,"axG",@progbits,_ZN9rocsparseL35bsr2csr_block_per_row_33_256_kernelILj1024ELj64ELj32E21rocsparse_complex_numIdEllEEv20rocsparse_direction_T4_S4_21rocsparse_index_base_PKT2_PKT3_PKS4_S4_S5_PS6_PS9_PS4_,comdat
	.globl	_ZN9rocsparseL35bsr2csr_block_per_row_33_256_kernelILj1024ELj64ELj32E21rocsparse_complex_numIdEllEEv20rocsparse_direction_T4_S4_21rocsparse_index_base_PKT2_PKT3_PKS4_S4_S5_PS6_PS9_PS4_ ; -- Begin function _ZN9rocsparseL35bsr2csr_block_per_row_33_256_kernelILj1024ELj64ELj32E21rocsparse_complex_numIdEllEEv20rocsparse_direction_T4_S4_21rocsparse_index_base_PKT2_PKT3_PKS4_S4_S5_PS6_PS9_PS4_
	.p2align	8
	.type	_ZN9rocsparseL35bsr2csr_block_per_row_33_256_kernelILj1024ELj64ELj32E21rocsparse_complex_numIdEllEEv20rocsparse_direction_T4_S4_21rocsparse_index_base_PKT2_PKT3_PKS4_S4_S5_PS6_PS9_PS4_,@function
_ZN9rocsparseL35bsr2csr_block_per_row_33_256_kernelILj1024ELj64ELj32E21rocsparse_complex_numIdEllEEv20rocsparse_direction_T4_S4_21rocsparse_index_base_PKT2_PKT3_PKS4_S4_S5_PS6_PS9_PS4_: ; @_ZN9rocsparseL35bsr2csr_block_per_row_33_256_kernelILj1024ELj64ELj32E21rocsparse_complex_numIdEllEEv20rocsparse_direction_T4_S4_21rocsparse_index_base_PKT2_PKT3_PKS4_S4_S5_PS6_PS9_PS4_
; %bb.0:
	s_load_dwordx2 s[2:3], s[4:5], 0x28
	s_load_dword s12, s[4:5], 0x40
	s_load_dwordx2 s[0:1], s[4:5], 0x50
	s_mov_b32 s15, 0
	s_mov_b32 s7, s15
	s_lshl_b64 s[8:9], s[6:7], 3
	s_waitcnt lgkmcnt(0)
	s_add_u32 s2, s2, s8
	s_addc_u32 s3, s3, s9
	s_load_dwordx4 s[8:11], s[2:3], 0x0
	v_or_b32_e32 v1, s6, v0
	v_cmp_eq_u32_e32 vcc, 0, v1
	s_and_saveexec_b64 s[2:3], vcc
	s_cbranch_execz .LBB309_2
; %bb.1:
	s_mov_b32 s13, s15
	v_mov_b32_e32 v1, 0
	v_pk_mov_b32 v[2:3], s[12:13], s[12:13] op_sel:[0,1]
	global_store_dwordx2 v1, v[2:3], s[0:1]
.LBB309_2:
	s_or_b64 exec, exec, s[2:3]
	s_load_dword s14, s[4:5], 0x18
	s_load_dwordx2 s[16:17], s[4:5], 0x38
	v_mov_b32_e32 v13, 0
	v_lshrrev_b32_e32 v12, 5, v0
	v_lshlrev_b32_e32 v1, 3, v12
	s_waitcnt lgkmcnt(0)
	s_sub_u32 s18, s8, s14
	s_subb_u32 s19, s9, 0
	s_mul_i32 s2, s18, s17
	s_sub_u32 s20, s10, s14
	s_mul_hi_u32 s3, s18, s16
	s_subb_u32 s21, s11, 0
	s_add_i32 s2, s3, s2
	s_mul_i32 s3, s19, s16
	s_mul_i32 s30, s18, s16
	s_add_i32 s31, s2, s3
	s_mul_i32 s2, s30, s17
	s_mul_hi_u32 s3, s30, s16
	s_add_i32 s2, s3, s2
	s_mul_i32 s3, s31, s16
	s_add_i32 s2, s2, s3
	s_sub_u32 s33, s20, s18
	s_subb_u32 s13, s21, s19
	s_mul_i32 s7, s33, s17
	s_mul_hi_u32 s22, s33, s16
	s_add_i32 s7, s22, s7
	s_mul_i32 s22, s13, s16
	s_mul_i32 s3, s30, s16
	s_add_i32 s26, s7, s22
	s_add_u32 s3, s3, s12
	s_mul_i32 s27, s33, s16
	s_addc_u32 s2, s2, 0
	s_add_u32 s22, s3, s27
	s_addc_u32 s23, s2, s26
	s_mul_i32 s2, s6, s17
	s_mul_hi_u32 s3, s6, s16
	s_add_i32 s3, s3, s2
	s_mul_i32 s2, s6, s16
	s_lshl_b64 s[2:3], s[2:3], 3
	s_add_u32 s0, s0, s2
	s_addc_u32 s1, s1, s3
	v_cmp_gt_i64_e64 s[2:3], s[16:17], v[12:13]
	s_and_saveexec_b64 s[6:7], s[2:3]
	s_cbranch_execz .LBB309_4
; %bb.3:
	v_pk_mov_b32 v[2:3], s[22:23], s[22:23] op_sel:[0,1]
	v_mad_u64_u32 v[2:3], s[24:25], v12, s27, v[2:3]
	v_mov_b32_e32 v4, v3
	v_mad_u64_u32 v[4:5], s[24:25], v12, s26, v[4:5]
	v_mov_b32_e32 v3, v4
	global_store_dwordx2 v1, v[2:3], s[0:1] offset:8
.LBB309_4:
	s_or_b64 exec, exec, s[6:7]
	v_or_b32_e32 v2, 32, v12
	v_mov_b32_e32 v3, v13
	v_cmp_gt_i64_e64 s[6:7], s[16:17], v[2:3]
	s_and_saveexec_b64 s[24:25], s[6:7]
	s_cbranch_execz .LBB309_6
; %bb.5:
	v_pk_mov_b32 v[4:5], s[22:23], s[22:23] op_sel:[0,1]
	v_mad_u64_u32 v[4:5], s[22:23], v2, s27, v[4:5]
	v_mov_b32_e32 v6, v5
	s_add_u32 s0, s0, 8
	v_mad_u64_u32 v[2:3], s[22:23], v2, s26, v[6:7]
	s_addc_u32 s1, s1, 0
	v_mov_b32_e32 v5, v2
	global_store_dwordx2 v1, v[4:5], s[0:1] offset:256
.LBB309_6:
	s_or_b64 exec, exec, s[24:25]
	v_pk_mov_b32 v[2:3], s[10:11], s[10:11] op_sel:[0,1]
	v_cmp_lt_i64_e32 vcc, s[8:9], v[2:3]
	s_cbranch_vccz .LBB309_17
; %bb.7:
	s_load_dwordx2 s[28:29], s[4:5], 0x30
	s_load_dwordx2 s[34:35], s[4:5], 0x48
	s_load_dword s0, s[4:5], 0x0
	s_load_dwordx2 s[22:23], s[4:5], 0x20
	s_load_dwordx2 s[36:37], s[4:5], 0x58
	v_and_b32_e32 v0, 31, v0
	v_mov_b32_e32 v1, 0
	s_waitcnt lgkmcnt(0)
	s_cmp_eq_u32 s0, 0
	s_cselect_b64 s[0:1], -1, 0
	v_cmp_gt_i64_e32 vcc, s[16:17], v[0:1]
	v_or_b32_e32 v2, 32, v0
	v_mov_b32_e32 v3, v1
	s_lshl_b64 s[38:39], s[30:31], 4
	v_lshlrev_b32_e32 v10, 4, v12
	s_and_b64 s[24:25], s[2:3], vcc
	v_cmp_gt_i64_e64 s[4:5], s[16:17], v[2:3]
	s_and_b64 s[26:27], s[6:7], vcc
	v_mov_b32_e32 v3, s39
	v_add_co_u32_e32 v6, vcc, s38, v10
	v_addc_co_u32_e32 v7, vcc, 0, v3, vcc
	s_movk_i32 s39, 0x200
	v_add_co_u32_e32 v4, vcc, s39, v6
	v_addc_co_u32_e32 v5, vcc, 0, v7, vcc
	v_lshlrev_b32_e32 v16, 4, v0
	v_mov_b32_e32 v17, v1
	s_and_b64 s[2:3], s[2:3], s[4:5]
	s_and_b64 s[4:5], s[6:7], s[4:5]
	v_mov_b32_e32 v11, v1
	v_mul_lo_u32 v1, s16, v5
	v_mul_lo_u32 v8, s17, v4
	v_mad_u64_u32 v[4:5], s[6:7], s16, v4, v[16:17]
	v_add3_u32 v5, v8, v5, v1
	v_mul_lo_u32 v1, s16, v7
	v_mul_lo_u32 v8, s17, v6
	v_mad_u64_u32 v[6:7], s[40:41], s16, v6, v[16:17]
	v_add3_u32 v7, v8, v7, v1
	v_add_co_u32_e32 v1, vcc, s38, v16
	v_addc_co_u32_e32 v3, vcc, 0, v3, vcc
	v_add_co_u32_e32 v8, vcc, s39, v1
	v_addc_co_u32_e32 v9, vcc, 0, v3, vcc
	v_mul_lo_u32 v13, s16, v9
	v_mul_lo_u32 v14, s17, v8
	v_mad_u64_u32 v[8:9], s[38:39], s16, v8, v[10:11]
	v_add3_u32 v9, v14, v9, v13
	v_pk_mov_b32 v[14:15], s[30:31], s[30:31] op_sel:[0,1]
	v_mad_u64_u32 v[14:15], s[30:31], v12, s33, v[14:15]
	v_mul_lo_u32 v3, s16, v3
	v_mul_lo_u32 v13, s17, v1
	v_mad_u64_u32 v[10:11], s[38:39], s16, v1, v[10:11]
	v_mov_b32_e32 v18, v15
	s_mul_i32 s6, s16, s17
	s_mul_hi_u32 s7, s16, s16
	v_add3_u32 v11, v13, v11, v3
	v_mad_u64_u32 v[12:13], s[30:31], v12, s13, v[18:19]
	s_add_i32 s7, s7, s6
	v_mov_b32_e32 v3, v12
	v_mul_lo_u32 v1, s17, v14
	v_mul_lo_u32 v12, s16, v12
	v_mad_u64_u32 v[20:21], s[30:31], s16, v14, 0
	s_add_i32 s7, s7, s6
	s_mul_i32 s6, s16, s16
	v_add3_u32 v21, v21, v12, v1
	s_lshl_b64 s[6:7], s[6:7], 4
	s_lshl_b64 s[38:39], s[8:9], 3
	;; [unrolled: 1-line block ×3, first 2 shown]
	v_lshlrev_b64 v[18:19], 3, v[20:21]
	s_movk_i32 s13, 0x100
	s_sub_u32 s15, s38, s40
	v_add_co_u32_e32 v13, vcc, s13, v18
	s_subb_u32 s38, s39, s41
	v_addc_co_u32_e32 v17, vcc, 0, v19, vcc
	v_lshlrev_b32_e32 v1, 3, v0
	s_add_u32 s28, s28, s15
	v_mov_b32_e32 v15, s37
	v_add_co_u32_e32 v12, vcc, s36, v1
	s_addc_u32 s29, s29, s38
	v_addc_co_u32_e32 v1, vcc, 0, v15, vcc
	s_lshl_b64 s[10:11], s[10:11], 5
	v_mov_b32_e32 v15, s11
	v_add_co_u32_e32 v14, vcc, s10, v14
	v_addc_co_u32_e32 v3, vcc, v3, v15, vcc
	s_lshl_b64 s[8:9], s[8:9], 5
	v_mov_b32_e32 v15, s9
	v_subrev_co_u32_e32 v14, vcc, s8, v14
	v_subb_co_u32_e32 v3, vcc, v3, v15, vcc
	v_mul_lo_u32 v15, s17, v14
	v_mul_lo_u32 v3, s16, v3
	v_mad_u64_u32 v[18:19], s[8:9], s16, v14, 0
	v_add3_u32 v19, v19, v3, v15
	v_mov_b32_e32 v3, s35
	v_add_co_u32_e32 v16, vcc, s34, v16
	v_addc_co_u32_e32 v3, vcc, 0, v3, vcc
	v_lshlrev_b64 v[20:21], 4, v[20:21]
	v_add_co_u32_e32 v20, vcc, 0x200, v20
	s_lshl_b64 s[30:31], s[16:17], 3
	v_lshlrev_b64 v[14:15], 4, v[18:19]
	s_lshl_b64 s[8:9], s[16:17], 4
	v_lshlrev_b64 v[18:19], 3, v[18:19]
	v_addc_co_u32_e32 v21, vcc, 0, v21, vcc
	s_branch .LBB309_9
.LBB309_8:                              ;   in Loop: Header=BB309_9 Depth=1
	s_or_b64 exec, exec, s[10:11]
	s_add_u32 s18, s18, 1
	v_mov_b32_e32 v22, s31
	v_add_co_u32_e32 v12, vcc, s30, v12
	s_addc_u32 s19, s19, 0
	v_addc_co_u32_e32 v1, vcc, v1, v22, vcc
	s_add_u32 s22, s22, s6
	v_mov_b32_e32 v22, s9
	v_add_co_u32_e32 v16, vcc, s8, v16
	s_addc_u32 s23, s23, s7
	v_addc_co_u32_e32 v3, vcc, v3, v22, vcc
	v_pk_mov_b32 v[22:23], s[20:21], s[20:21] op_sel:[0,1]
	s_add_u32 s28, s28, 8
	v_cmp_ge_i64_e32 vcc, s[18:19], v[22:23]
	s_addc_u32 s29, s29, 0
	s_cbranch_vccnz .LBB309_17
.LBB309_9:                              ; =>This Inner Loop Header: Depth=1
	s_load_dwordx2 s[10:11], s[28:29], 0x0
	s_waitcnt lgkmcnt(0)
	s_sub_u32 s10, s10, s14
	s_subb_u32 s11, s11, 0
	s_mul_i32 s13, s10, s17
	s_mul_hi_u32 s15, s10, s16
	s_add_i32 s13, s15, s13
	s_mul_i32 s11, s11, s16
	s_add_i32 s11, s13, s11
	s_mul_i32 s10, s10, s16
	s_add_u32 s13, s10, s12
	s_addc_u32 s15, s11, 0
	s_and_saveexec_b64 s[10:11], s[24:25]
	s_cbranch_execnz .LBB309_13
; %bb.10:                               ;   in Loop: Header=BB309_9 Depth=1
	s_or_b64 exec, exec, s[10:11]
	s_and_saveexec_b64 s[10:11], s[2:3]
	s_cbranch_execnz .LBB309_14
.LBB309_11:                             ;   in Loop: Header=BB309_9 Depth=1
	s_or_b64 exec, exec, s[10:11]
	s_and_saveexec_b64 s[10:11], s[26:27]
	s_cbranch_execnz .LBB309_15
.LBB309_12:                             ;   in Loop: Header=BB309_9 Depth=1
	s_or_b64 exec, exec, s[10:11]
	s_and_saveexec_b64 s[10:11], s[4:5]
	s_cbranch_execz .LBB309_8
	s_branch .LBB309_16
.LBB309_13:                             ;   in Loop: Header=BB309_9 Depth=1
	v_cndmask_b32_e64 v22, v10, v6, s[0:1]
	v_cndmask_b32_e64 v23, v11, v7, s[0:1]
	v_mov_b32_e32 v24, s23
	v_add_co_u32_e32 v22, vcc, s22, v22
	v_addc_co_u32_e32 v23, vcc, v24, v23, vcc
	global_load_dwordx4 v[22:25], v[22:23], off
	v_mov_b32_e32 v27, s15
	v_add_co_u32_e32 v26, vcc, s13, v0
	v_addc_co_u32_e32 v27, vcc, 0, v27, vcc
	v_add_co_u32_e32 v28, vcc, v12, v13
	v_addc_co_u32_e32 v29, vcc, v1, v17, vcc
	global_store_dwordx2 v[28:29], v[26:27], off offset:-256
	v_add_co_u32_e32 v26, vcc, v16, v20
	v_addc_co_u32_e32 v27, vcc, v3, v21, vcc
	s_waitcnt vmcnt(1)
	global_store_dwordx4 v[26:27], v[22:25], off offset:-512
	s_or_b64 exec, exec, s[10:11]
	s_and_saveexec_b64 s[10:11], s[2:3]
	s_cbranch_execz .LBB309_11
.LBB309_14:                             ;   in Loop: Header=BB309_9 Depth=1
	v_mov_b32_e32 v22, s23
	v_add_co_u32_e32 v23, vcc, s22, v6
	v_addc_co_u32_e32 v24, vcc, v22, v7, vcc
	v_add_co_u32_e32 v25, vcc, 0x200, v23
	v_addc_co_u32_e32 v23, vcc, 0, v24, vcc
	;; [unrolled: 2-line block ×3, first 2 shown]
	v_cndmask_b32_e64 v23, v22, v23, s[0:1]
	v_cndmask_b32_e64 v22, v24, v25, s[0:1]
	global_load_dwordx4 v[22:25], v[22:23], off
	v_mov_b32_e32 v27, s15
	v_add_co_u32_e32 v26, vcc, s13, v2
	v_addc_co_u32_e32 v27, vcc, 0, v27, vcc
	v_add_co_u32_e32 v28, vcc, v12, v13
	v_addc_co_u32_e32 v29, vcc, v1, v17, vcc
	global_store_dwordx2 v[28:29], v[26:27], off
	v_add_co_u32_e32 v26, vcc, v16, v20
	v_addc_co_u32_e32 v27, vcc, v3, v21, vcc
	s_waitcnt vmcnt(1)
	global_store_dwordx4 v[26:27], v[22:25], off
	s_or_b64 exec, exec, s[10:11]
	s_and_saveexec_b64 s[10:11], s[26:27]
	s_cbranch_execz .LBB309_12
.LBB309_15:                             ;   in Loop: Header=BB309_9 Depth=1
	v_mov_b32_e32 v22, s23
	v_add_co_u32_e32 v24, vcc, s22, v4
	v_addc_co_u32_e32 v23, vcc, v22, v5, vcc
	v_add_co_u32_e32 v25, vcc, s22, v10
	v_addc_co_u32_e32 v22, vcc, v22, v11, vcc
	;; [unrolled: 2-line block ×3, first 2 shown]
	v_cndmask_b32_e64 v23, v22, v23, s[0:1]
	v_cndmask_b32_e64 v22, v25, v24, s[0:1]
	global_load_dwordx4 v[22:25], v[22:23], off
	v_mov_b32_e32 v27, s15
	v_add_co_u32_e32 v26, vcc, s13, v0
	v_addc_co_u32_e32 v27, vcc, 0, v27, vcc
	v_add_co_u32_e32 v28, vcc, v12, v18
	v_addc_co_u32_e32 v29, vcc, v1, v19, vcc
	global_store_dwordx2 v[28:29], v[26:27], off
	v_add_co_u32_e32 v26, vcc, v16, v14
	v_addc_co_u32_e32 v27, vcc, v3, v15, vcc
	s_waitcnt vmcnt(1)
	global_store_dwordx4 v[26:27], v[22:25], off
	s_or_b64 exec, exec, s[10:11]
	s_and_saveexec_b64 s[10:11], s[4:5]
	s_cbranch_execz .LBB309_8
.LBB309_16:                             ;   in Loop: Header=BB309_9 Depth=1
	v_cndmask_b32_e64 v22, v8, v4, s[0:1]
	v_cndmask_b32_e64 v23, v9, v5, s[0:1]
	v_mov_b32_e32 v24, s23
	v_add_co_u32_e32 v22, vcc, s22, v22
	v_addc_co_u32_e32 v23, vcc, v24, v23, vcc
	global_load_dwordx4 v[22:25], v[22:23], off offset:512
	v_mov_b32_e32 v27, s15
	v_add_co_u32_e32 v26, vcc, s13, v2
	v_addc_co_u32_e32 v27, vcc, 0, v27, vcc
	v_add_co_u32_e32 v28, vcc, v12, v18
	v_addc_co_u32_e32 v29, vcc, v1, v19, vcc
	global_store_dwordx2 v[28:29], v[26:27], off offset:256
	v_add_co_u32_e32 v26, vcc, v16, v14
	v_addc_co_u32_e32 v27, vcc, v3, v15, vcc
	s_waitcnt vmcnt(1)
	global_store_dwordx4 v[26:27], v[22:25], off offset:512
	s_branch .LBB309_8
.LBB309_17:
	s_endpgm
	.section	.rodata,"a",@progbits
	.p2align	6, 0x0
	.amdhsa_kernel _ZN9rocsparseL35bsr2csr_block_per_row_33_256_kernelILj1024ELj64ELj32E21rocsparse_complex_numIdEllEEv20rocsparse_direction_T4_S4_21rocsparse_index_base_PKT2_PKT3_PKS4_S4_S5_PS6_PS9_PS4_
		.amdhsa_group_segment_fixed_size 0
		.amdhsa_private_segment_fixed_size 0
		.amdhsa_kernarg_size 96
		.amdhsa_user_sgpr_count 6
		.amdhsa_user_sgpr_private_segment_buffer 1
		.amdhsa_user_sgpr_dispatch_ptr 0
		.amdhsa_user_sgpr_queue_ptr 0
		.amdhsa_user_sgpr_kernarg_segment_ptr 1
		.amdhsa_user_sgpr_dispatch_id 0
		.amdhsa_user_sgpr_flat_scratch_init 0
		.amdhsa_user_sgpr_kernarg_preload_length 0
		.amdhsa_user_sgpr_kernarg_preload_offset 0
		.amdhsa_user_sgpr_private_segment_size 0
		.amdhsa_uses_dynamic_stack 0
		.amdhsa_system_sgpr_private_segment_wavefront_offset 0
		.amdhsa_system_sgpr_workgroup_id_x 1
		.amdhsa_system_sgpr_workgroup_id_y 0
		.amdhsa_system_sgpr_workgroup_id_z 0
		.amdhsa_system_sgpr_workgroup_info 0
		.amdhsa_system_vgpr_workitem_id 0
		.amdhsa_next_free_vgpr 30
		.amdhsa_next_free_sgpr 42
		.amdhsa_accum_offset 32
		.amdhsa_reserve_vcc 1
		.amdhsa_reserve_flat_scratch 0
		.amdhsa_float_round_mode_32 0
		.amdhsa_float_round_mode_16_64 0
		.amdhsa_float_denorm_mode_32 3
		.amdhsa_float_denorm_mode_16_64 3
		.amdhsa_dx10_clamp 1
		.amdhsa_ieee_mode 1
		.amdhsa_fp16_overflow 0
		.amdhsa_tg_split 0
		.amdhsa_exception_fp_ieee_invalid_op 0
		.amdhsa_exception_fp_denorm_src 0
		.amdhsa_exception_fp_ieee_div_zero 0
		.amdhsa_exception_fp_ieee_overflow 0
		.amdhsa_exception_fp_ieee_underflow 0
		.amdhsa_exception_fp_ieee_inexact 0
		.amdhsa_exception_int_div_zero 0
	.end_amdhsa_kernel
	.section	.text._ZN9rocsparseL35bsr2csr_block_per_row_33_256_kernelILj1024ELj64ELj32E21rocsparse_complex_numIdEllEEv20rocsparse_direction_T4_S4_21rocsparse_index_base_PKT2_PKT3_PKS4_S4_S5_PS6_PS9_PS4_,"axG",@progbits,_ZN9rocsparseL35bsr2csr_block_per_row_33_256_kernelILj1024ELj64ELj32E21rocsparse_complex_numIdEllEEv20rocsparse_direction_T4_S4_21rocsparse_index_base_PKT2_PKT3_PKS4_S4_S5_PS6_PS9_PS4_,comdat
.Lfunc_end309:
	.size	_ZN9rocsparseL35bsr2csr_block_per_row_33_256_kernelILj1024ELj64ELj32E21rocsparse_complex_numIdEllEEv20rocsparse_direction_T4_S4_21rocsparse_index_base_PKT2_PKT3_PKS4_S4_S5_PS6_PS9_PS4_, .Lfunc_end309-_ZN9rocsparseL35bsr2csr_block_per_row_33_256_kernelILj1024ELj64ELj32E21rocsparse_complex_numIdEllEEv20rocsparse_direction_T4_S4_21rocsparse_index_base_PKT2_PKT3_PKS4_S4_S5_PS6_PS9_PS4_
                                        ; -- End function
	.section	.AMDGPU.csdata,"",@progbits
; Kernel info:
; codeLenInByte = 1568
; NumSgprs: 46
; NumVgprs: 30
; NumAgprs: 0
; TotalNumVgprs: 30
; ScratchSize: 0
; MemoryBound: 0
; FloatMode: 240
; IeeeMode: 1
; LDSByteSize: 0 bytes/workgroup (compile time only)
; SGPRBlocks: 5
; VGPRBlocks: 3
; NumSGPRsForWavesPerEU: 46
; NumVGPRsForWavesPerEU: 30
; AccumOffset: 32
; Occupancy: 8
; WaveLimiterHint : 1
; COMPUTE_PGM_RSRC2:SCRATCH_EN: 0
; COMPUTE_PGM_RSRC2:USER_SGPR: 6
; COMPUTE_PGM_RSRC2:TRAP_HANDLER: 0
; COMPUTE_PGM_RSRC2:TGID_X_EN: 1
; COMPUTE_PGM_RSRC2:TGID_Y_EN: 0
; COMPUTE_PGM_RSRC2:TGID_Z_EN: 0
; COMPUTE_PGM_RSRC2:TIDIG_COMP_CNT: 0
; COMPUTE_PGM_RSRC3_GFX90A:ACCUM_OFFSET: 7
; COMPUTE_PGM_RSRC3_GFX90A:TG_SPLIT: 0
	.section	.text._ZN9rocsparseL35bsr2csr_block_per_row_33_256_kernelILj1024ELj128ELj32E21rocsparse_complex_numIdEllEEv20rocsparse_direction_T4_S4_21rocsparse_index_base_PKT2_PKT3_PKS4_S4_S5_PS6_PS9_PS4_,"axG",@progbits,_ZN9rocsparseL35bsr2csr_block_per_row_33_256_kernelILj1024ELj128ELj32E21rocsparse_complex_numIdEllEEv20rocsparse_direction_T4_S4_21rocsparse_index_base_PKT2_PKT3_PKS4_S4_S5_PS6_PS9_PS4_,comdat
	.globl	_ZN9rocsparseL35bsr2csr_block_per_row_33_256_kernelILj1024ELj128ELj32E21rocsparse_complex_numIdEllEEv20rocsparse_direction_T4_S4_21rocsparse_index_base_PKT2_PKT3_PKS4_S4_S5_PS6_PS9_PS4_ ; -- Begin function _ZN9rocsparseL35bsr2csr_block_per_row_33_256_kernelILj1024ELj128ELj32E21rocsparse_complex_numIdEllEEv20rocsparse_direction_T4_S4_21rocsparse_index_base_PKT2_PKT3_PKS4_S4_S5_PS6_PS9_PS4_
	.p2align	8
	.type	_ZN9rocsparseL35bsr2csr_block_per_row_33_256_kernelILj1024ELj128ELj32E21rocsparse_complex_numIdEllEEv20rocsparse_direction_T4_S4_21rocsparse_index_base_PKT2_PKT3_PKS4_S4_S5_PS6_PS9_PS4_,@function
_ZN9rocsparseL35bsr2csr_block_per_row_33_256_kernelILj1024ELj128ELj32E21rocsparse_complex_numIdEllEEv20rocsparse_direction_T4_S4_21rocsparse_index_base_PKT2_PKT3_PKS4_S4_S5_PS6_PS9_PS4_: ; @_ZN9rocsparseL35bsr2csr_block_per_row_33_256_kernelILj1024ELj128ELj32E21rocsparse_complex_numIdEllEEv20rocsparse_direction_T4_S4_21rocsparse_index_base_PKT2_PKT3_PKS4_S4_S5_PS6_PS9_PS4_
; %bb.0:
	s_load_dwordx2 s[2:3], s[4:5], 0x28
	s_load_dword s20, s[4:5], 0x40
	s_load_dwordx2 s[0:1], s[4:5], 0x50
	s_mov_b32 s23, 0
	s_mov_b32 s7, s23
	s_lshl_b64 s[8:9], s[6:7], 3
	s_waitcnt lgkmcnt(0)
	s_add_u32 s2, s2, s8
	s_addc_u32 s3, s3, s9
	s_load_dwordx4 s[16:19], s[2:3], 0x0
	v_or_b32_e32 v1, s6, v0
	v_cmp_eq_u32_e32 vcc, 0, v1
	s_and_saveexec_b64 s[2:3], vcc
	s_cbranch_execz .LBB310_2
; %bb.1:
	s_mov_b32 s21, s23
	v_mov_b32_e32 v1, 0
	v_pk_mov_b32 v[2:3], s[20:21], s[20:21] op_sel:[0,1]
	global_store_dwordx2 v1, v[2:3], s[0:1]
.LBB310_2:
	s_or_b64 exec, exec, s[2:3]
	s_load_dword s22, s[4:5], 0x18
	s_load_dwordx2 s[24:25], s[4:5], 0x38
	v_mov_b32_e32 v27, 0
	v_lshrrev_b32_e32 v26, 5, v0
	v_lshlrev_b32_e32 v1, 3, v26
	s_waitcnt lgkmcnt(0)
	s_sub_u32 s26, s16, s22
	s_subb_u32 s27, s17, 0
	s_mul_i32 s2, s26, s25
	s_sub_u32 s28, s18, s22
	s_mul_hi_u32 s3, s26, s24
	s_subb_u32 s29, s19, 0
	s_add_i32 s2, s3, s2
	s_mul_i32 s3, s27, s24
	s_mul_i32 s56, s26, s24
	s_add_i32 s57, s2, s3
	s_mul_i32 s2, s56, s25
	s_mul_hi_u32 s3, s56, s24
	s_add_i32 s2, s3, s2
	s_mul_i32 s3, s57, s24
	s_add_i32 s2, s2, s3
	s_sub_u32 s33, s28, s26
	s_subb_u32 s21, s29, s27
	s_mul_i32 s7, s33, s25
	s_mul_hi_u32 s8, s33, s24
	s_add_i32 s7, s8, s7
	s_mul_i32 s8, s21, s24
	s_mul_i32 s3, s56, s24
	s_add_i32 s30, s7, s8
	s_add_u32 s3, s3, s20
	s_mul_i32 s31, s33, s24
	s_addc_u32 s2, s2, 0
	s_add_u32 s12, s3, s31
	s_addc_u32 s13, s2, s30
	s_mul_i32 s2, s6, s25
	s_mul_hi_u32 s3, s6, s24
	s_add_i32 s3, s3, s2
	s_mul_i32 s2, s6, s24
	s_lshl_b64 s[2:3], s[2:3], 3
	s_add_u32 s0, s0, s2
	s_addc_u32 s1, s1, s3
	v_cmp_gt_i64_e64 s[2:3], s[24:25], v[26:27]
	s_and_saveexec_b64 s[6:7], s[2:3]
	s_cbranch_execz .LBB310_4
; %bb.3:
	v_pk_mov_b32 v[2:3], s[12:13], s[12:13] op_sel:[0,1]
	v_mad_u64_u32 v[2:3], s[8:9], v26, s31, v[2:3]
	v_mov_b32_e32 v4, v3
	v_mad_u64_u32 v[4:5], s[8:9], v26, s30, v[4:5]
	v_mov_b32_e32 v3, v4
	global_store_dwordx2 v1, v[2:3], s[0:1] offset:8
.LBB310_4:
	s_or_b64 exec, exec, s[6:7]
	s_add_u32 s0, s0, 8
	v_or_b32_e32 v2, 32, v26
	v_mov_b32_e32 v3, v27
	s_addc_u32 s1, s1, 0
	v_cmp_gt_i64_e64 s[6:7], s[24:25], v[2:3]
	s_and_saveexec_b64 s[8:9], s[6:7]
	s_cbranch_execz .LBB310_6
; %bb.5:
	v_pk_mov_b32 v[4:5], s[12:13], s[12:13] op_sel:[0,1]
	v_mad_u64_u32 v[4:5], s[10:11], v2, s31, v[4:5]
	v_mov_b32_e32 v6, v5
	v_mad_u64_u32 v[2:3], s[10:11], v2, s30, v[6:7]
	v_mov_b32_e32 v5, v2
	global_store_dwordx2 v1, v[4:5], s[0:1] offset:256
.LBB310_6:
	s_or_b64 exec, exec, s[8:9]
	v_or_b32_e32 v2, 64, v26
	v_mov_b32_e32 v3, v27
	v_cmp_gt_i64_e64 s[8:9], s[24:25], v[2:3]
	s_and_saveexec_b64 s[10:11], s[8:9]
	s_cbranch_execz .LBB310_8
; %bb.7:
	v_pk_mov_b32 v[4:5], s[12:13], s[12:13] op_sel:[0,1]
	v_mad_u64_u32 v[4:5], s[14:15], v2, s31, v[4:5]
	v_mov_b32_e32 v6, v5
	v_mad_u64_u32 v[2:3], s[14:15], v2, s30, v[6:7]
	v_mov_b32_e32 v5, v2
	global_store_dwordx2 v1, v[4:5], s[0:1] offset:512
.LBB310_8:
	s_or_b64 exec, exec, s[10:11]
	v_or_b32_e32 v2, 0x60, v26
	v_mov_b32_e32 v3, v27
	v_cmp_gt_i64_e64 s[10:11], s[24:25], v[2:3]
	s_and_saveexec_b64 s[14:15], s[10:11]
	s_cbranch_execz .LBB310_10
; %bb.9:
	v_pk_mov_b32 v[4:5], s[12:13], s[12:13] op_sel:[0,1]
	v_mad_u64_u32 v[4:5], s[12:13], v2, s31, v[4:5]
	v_mov_b32_e32 v6, v5
	v_mad_u64_u32 v[2:3], s[12:13], v2, s30, v[6:7]
	v_mov_b32_e32 v5, v2
	global_store_dwordx2 v1, v[4:5], s[0:1] offset:768
.LBB310_10:
	s_or_b64 exec, exec, s[14:15]
	v_pk_mov_b32 v[2:3], s[18:19], s[18:19] op_sel:[0,1]
	v_cmp_lt_i64_e32 vcc, s[16:17], v[2:3]
	s_cbranch_vccz .LBB310_45
; %bb.11:
	s_load_dwordx2 s[54:55], s[4:5], 0x30
	s_load_dwordx2 s[58:59], s[4:5], 0x48
	s_load_dword s0, s[4:5], 0x0
	s_load_dwordx2 s[30:31], s[4:5], 0x20
	s_load_dwordx2 s[60:61], s[4:5], 0x58
	v_and_b32_e32 v0, 31, v0
	v_mov_b32_e32 v1, 0
	s_waitcnt lgkmcnt(0)
	s_cmp_eq_u32 s0, 0
	s_cselect_b64 s[0:1], -1, 0
	v_cmp_gt_i64_e32 vcc, s[24:25], v[0:1]
	v_or_b32_e32 v2, 32, v0
	v_mov_b32_e32 v3, v1
	v_or_b32_e32 v4, 64, v0
	v_mov_b32_e32 v5, v1
	s_lshl_b64 s[62:63], s[56:57], 4
	v_lshlrev_b32_e32 v24, 4, v26
	s_and_b64 s[34:35], s[2:3], vcc
	v_cmp_gt_i64_e64 s[4:5], s[24:25], v[2:3]
	v_cmp_gt_i64_e64 s[12:13], s[24:25], v[4:5]
	v_or_b32_e32 v6, 0x60, v0
	v_mov_b32_e32 v7, v1
	s_and_b64 s[40:41], s[6:7], vcc
	s_and_b64 s[46:47], s[8:9], vcc
	;; [unrolled: 1-line block ×3, first 2 shown]
	v_mov_b32_e32 v3, s63
	v_add_co_u32_e32 v5, vcc, s62, v24
	v_cmp_gt_i64_e64 s[14:15], s[24:25], v[6:7]
	v_addc_co_u32_e32 v7, vcc, 0, v3, vcc
	s_movk_i32 s66, 0x600
	v_add_co_u32_e32 v10, vcc, s66, v5
	v_addc_co_u32_e32 v11, vcc, 0, v7, vcc
	v_lshlrev_b32_e32 v8, 4, v0
	v_mov_b32_e32 v9, v1
	s_and_b64 s[36:37], s[2:3], s[4:5]
	s_and_b64 s[38:39], s[2:3], s[12:13]
	;; [unrolled: 1-line block ×12, first 2 shown]
	v_mov_b32_e32 v25, v1
	v_mul_lo_u32 v1, s24, v11
	v_mul_lo_u32 v12, s25, v10
	v_mad_u64_u32 v[10:11], s[14:15], s24, v10, v[8:9]
	s_movk_i32 s67, 0x400
	v_add3_u32 v11, v12, v11, v1
	v_add_co_u32_e32 v1, vcc, s67, v5
	v_addc_co_u32_e32 v12, vcc, 0, v7, vcc
	s_movk_i32 s68, 0x200
	v_mul_lo_u32 v14, s24, v12
	v_mul_lo_u32 v15, s25, v1
	v_mad_u64_u32 v[12:13], s[64:65], s24, v1, v[8:9]
	v_add_co_u32_e32 v1, vcc, s68, v5
	v_add3_u32 v13, v15, v13, v14
	v_addc_co_u32_e32 v14, vcc, 0, v7, vcc
	v_mul_lo_u32 v16, s24, v14
	v_mul_lo_u32 v17, s25, v1
	v_mad_u64_u32 v[14:15], s[64:65], s24, v1, v[8:9]
	v_add3_u32 v15, v17, v15, v16
	v_mul_lo_u32 v1, s24, v7
	v_mul_lo_u32 v7, s25, v5
	v_mad_u64_u32 v[16:17], s[64:65], s24, v5, v[8:9]
	v_add3_u32 v17, v7, v17, v1
	v_add_co_u32_e32 v1, vcc, s62, v8
	v_addc_co_u32_e32 v3, vcc, 0, v3, vcc
	v_mul_lo_u32 v5, s24, v3
	v_mul_lo_u32 v7, s25, v1
	v_mad_u64_u32 v[18:19], s[62:63], s24, v1, v[24:25]
	v_add3_u32 v19, v7, v19, v5
	v_add_co_u32_e32 v5, vcc, s68, v1
	v_addc_co_u32_e32 v7, vcc, 0, v3, vcc
	v_mul_lo_u32 v7, s24, v7
	v_mul_lo_u32 v9, s25, v5
	v_mad_u64_u32 v[20:21], s[62:63], s24, v5, v[24:25]
	v_add_co_u32_e32 v5, vcc, s67, v1
	v_add3_u32 v21, v9, v21, v7
	v_addc_co_u32_e32 v7, vcc, 0, v3, vcc
	v_pk_mov_b32 v[28:29], s[56:57], s[56:57] op_sel:[0,1]
	v_add_co_u32_e32 v1, vcc, s66, v1
	v_mad_u64_u32 v[38:39], s[56:57], v26, s33, v[28:29]
	v_addc_co_u32_e32 v3, vcc, 0, v3, vcc
	v_mov_b32_e32 v28, v39
	s_mul_i32 s14, s24, s25
	s_mul_hi_u32 s15, s24, s24
	v_mul_lo_u32 v9, s25, v5
	v_mad_u64_u32 v[22:23], s[62:63], s24, v5, v[24:25]
	v_mul_lo_u32 v3, s24, v3
	v_mul_lo_u32 v5, s25, v1
	v_mad_u64_u32 v[24:25], s[62:63], s24, v1, v[24:25]
	v_mad_u64_u32 v[26:27], s[56:57], v26, s21, v[28:29]
	s_add_i32 s15, s15, s14
	v_add3_u32 v25, v5, v25, v3
	v_mul_lo_u32 v1, s25, v38
	v_mul_lo_u32 v3, s24, v26
	v_mad_u64_u32 v[28:29], s[56:57], s24, v38, 0
	s_add_i32 s15, s15, s14
	s_mul_i32 s14, s24, s24
	v_add3_u32 v29, v29, v3, v1
	s_lshl_b64 s[14:15], s[14:15], 4
	s_lshl_b64 s[62:63], s[16:17], 3
	;; [unrolled: 1-line block ×3, first 2 shown]
	v_mov_b32_e32 v39, v26
	v_lshlrev_b64 v[26:27], 3, v[28:29]
	s_sub_u32 s23, s62, s64
	v_mov_b32_e32 v42, s61
	v_add_co_u32_e32 v26, vcc, s60, v26
	s_subb_u32 s62, s63, s65
	v_addc_co_u32_e32 v1, vcc, v42, v27, vcc
	v_lshlrev_b64 v[28:29], 4, v[28:29]
	s_add_u32 s54, s54, s23
	v_mov_b32_e32 v43, s59
	v_add_co_u32_e32 v28, vcc, s58, v28
	v_mul_lo_u32 v7, s24, v7
	s_addc_u32 s55, s55, s62
	v_addc_co_u32_e32 v3, vcc, v43, v29, vcc
	s_lshl_b64 s[56:57], s[18:19], 5
	v_add3_u32 v23, v9, v23, v7
	v_mov_b32_e32 v5, s57
	v_add_co_u32_e32 v7, vcc, s56, v38
	v_addc_co_u32_e32 v5, vcc, v39, v5, vcc
	s_lshl_b64 s[56:57], s[16:17], 5
	v_mov_b32_e32 v9, s57
	v_subrev_co_u32_e32 v7, vcc, s56, v7
	v_subb_co_u32_e32 v5, vcc, v5, v9, vcc
	v_mul_lo_u32 v9, s25, v7
	v_mul_lo_u32 v5, s24, v5
	v_mad_u64_u32 v[32:33], s[56:57], s24, v7, 0
	v_add3_u32 v33, v33, v5, v9
	v_lshlrev_b64 v[30:31], 4, v[32:33]
	v_add_co_u32_e32 v30, vcc, s58, v30
	v_mov_b32_e32 v9, 0x60
	v_addc_co_u32_e32 v5, vcc, v43, v31, vcc
	v_lshlrev_b64 v[32:33], 3, v[32:33]
	v_mad_u64_u32 v[34:35], s[56:57], s18, v9, v[38:39]
	s_mul_i32 s21, s19, 0x60
	v_add_co_u32_e32 v32, vcc, s60, v32
	v_add_u32_e32 v9, s21, v35
	s_mul_i32 s21, s17, 0x60
	s_mul_hi_u32 s23, s16, 0x60
	v_addc_co_u32_e32 v7, vcc, v42, v33, vcc
	s_add_i32 s21, s23, s21
	s_mul_i32 s23, s16, 0x60
	v_mov_b32_e32 v27, s21
	v_subrev_co_u32_e32 v29, vcc, s23, v34
	v_subb_co_u32_e32 v9, vcc, v9, v27, vcc
	v_mul_lo_u32 v27, s25, v29
	v_mul_lo_u32 v9, s24, v9
	v_mad_u64_u32 v[36:37], s[56:57], s24, v29, 0
	v_add3_u32 v37, v37, v9, v27
	v_lshlrev_b64 v[34:35], 3, v[36:37]
	v_add_co_u32_e32 v34, vcc, s60, v34
	v_addc_co_u32_e32 v9, vcc, v42, v35, vcc
	v_lshlrev_b64 v[36:37], 4, v[36:37]
	v_add_co_u32_e32 v36, vcc, s58, v36
	v_addc_co_u32_e32 v27, vcc, v43, v37, vcc
	s_lshl_b64 s[18:19], s[18:19], 6
	v_mov_b32_e32 v29, s19
	v_add_co_u32_e32 v31, vcc, s18, v38
	v_addc_co_u32_e32 v29, vcc, v39, v29, vcc
	s_lshl_b64 s[16:17], s[16:17], 6
	v_mov_b32_e32 v33, s17
	v_subrev_co_u32_e32 v31, vcc, s16, v31
	v_subb_co_u32_e32 v29, vcc, v29, v33, vcc
	v_mul_lo_u32 v33, s25, v31
	v_mul_lo_u32 v29, s24, v29
	v_mad_u64_u32 v[40:41], s[16:17], s24, v31, 0
	v_add3_u32 v41, v41, v29, v33
	v_lshlrev_b64 v[38:39], 4, v[40:41]
	v_add_co_u32_e32 v38, vcc, s58, v38
	v_addc_co_u32_e32 v29, vcc, v43, v39, vcc
	v_lshlrev_b64 v[40:41], 3, v[40:41]
	v_add_co_u32_e32 v40, vcc, s60, v40
	v_addc_co_u32_e32 v31, vcc, v42, v41, vcc
	v_lshlrev_b32_e32 v42, 3, v0
	s_lshl_b64 s[16:17], s[24:25], 3
	s_lshl_b64 s[18:19], s[24:25], 4
	s_branch .LBB310_13
.LBB310_12:                             ;   in Loop: Header=BB310_13 Depth=1
	s_or_b64 exec, exec, s[56:57]
	v_mov_b32_e32 v33, s17
	v_add_co_u32_e32 v26, vcc, s16, v26
	v_addc_co_u32_e32 v1, vcc, v1, v33, vcc
	v_mov_b32_e32 v35, s19
	v_add_co_u32_e32 v28, vcc, s18, v28
	v_addc_co_u32_e32 v3, vcc, v3, v35, vcc
	v_add_co_u32_e32 v30, vcc, s18, v30
	v_addc_co_u32_e32 v5, vcc, v5, v35, vcc
	;; [unrolled: 2-line block ×5, first 2 shown]
	s_add_u32 s26, s26, 1
	v_add_co_u32_e32 v38, vcc, s18, v38
	s_addc_u32 s27, s27, 0
	v_addc_co_u32_e32 v29, vcc, v29, v35, vcc
	s_add_u32 s30, s30, s14
	v_add_co_u32_e32 v40, vcc, s16, v40
	s_addc_u32 s31, s31, s15
	v_addc_co_u32_e32 v31, vcc, v31, v33, vcc
	v_pk_mov_b32 v[44:45], s[28:29], s[28:29] op_sel:[0,1]
	s_add_u32 s54, s54, 8
	v_cmp_ge_i64_e32 vcc, s[26:27], v[44:45]
	s_addc_u32 s55, s55, 0
	s_cbranch_vccnz .LBB310_45
.LBB310_13:                             ; =>This Inner Loop Header: Depth=1
	s_load_dwordx2 s[56:57], s[54:55], 0x0
	s_waitcnt lgkmcnt(0)
	s_sub_u32 s21, s56, s22
	s_subb_u32 s23, s57, 0
	s_mul_i32 s33, s21, s25
	s_mul_hi_u32 s56, s21, s24
	s_add_i32 s33, s56, s33
	s_mul_i32 s23, s23, s24
	s_add_i32 s33, s33, s23
	s_mul_i32 s21, s21, s24
	s_add_u32 s21, s21, s20
	s_addc_u32 s23, s33, 0
	s_and_saveexec_b64 s[56:57], s[34:35]
	s_cbranch_execnz .LBB310_29
; %bb.14:                               ;   in Loop: Header=BB310_13 Depth=1
	s_or_b64 exec, exec, s[56:57]
	s_and_saveexec_b64 s[56:57], s[36:37]
	s_cbranch_execnz .LBB310_30
.LBB310_15:                             ;   in Loop: Header=BB310_13 Depth=1
	s_or_b64 exec, exec, s[56:57]
	s_and_saveexec_b64 s[56:57], s[38:39]
	s_cbranch_execnz .LBB310_31
.LBB310_16:                             ;   in Loop: Header=BB310_13 Depth=1
	s_or_b64 exec, exec, s[56:57]
	s_and_saveexec_b64 s[56:57], s[2:3]
	s_cbranch_execnz .LBB310_32
.LBB310_17:                             ;   in Loop: Header=BB310_13 Depth=1
	s_or_b64 exec, exec, s[56:57]
	s_and_saveexec_b64 s[56:57], s[40:41]
	s_cbranch_execnz .LBB310_33
.LBB310_18:                             ;   in Loop: Header=BB310_13 Depth=1
	s_or_b64 exec, exec, s[56:57]
	s_and_saveexec_b64 s[56:57], s[42:43]
	s_cbranch_execnz .LBB310_34
.LBB310_19:                             ;   in Loop: Header=BB310_13 Depth=1
	s_or_b64 exec, exec, s[56:57]
	s_and_saveexec_b64 s[56:57], s[44:45]
	s_cbranch_execnz .LBB310_35
.LBB310_20:                             ;   in Loop: Header=BB310_13 Depth=1
	s_or_b64 exec, exec, s[56:57]
	s_and_saveexec_b64 s[56:57], s[6:7]
	s_cbranch_execnz .LBB310_36
.LBB310_21:                             ;   in Loop: Header=BB310_13 Depth=1
	s_or_b64 exec, exec, s[56:57]
	s_and_saveexec_b64 s[56:57], s[46:47]
	s_cbranch_execnz .LBB310_37
.LBB310_22:                             ;   in Loop: Header=BB310_13 Depth=1
	s_or_b64 exec, exec, s[56:57]
	s_and_saveexec_b64 s[56:57], s[48:49]
	s_cbranch_execnz .LBB310_38
.LBB310_23:                             ;   in Loop: Header=BB310_13 Depth=1
	s_or_b64 exec, exec, s[56:57]
	s_and_saveexec_b64 s[56:57], s[50:51]
	s_cbranch_execnz .LBB310_39
.LBB310_24:                             ;   in Loop: Header=BB310_13 Depth=1
	s_or_b64 exec, exec, s[56:57]
	s_and_saveexec_b64 s[56:57], s[8:9]
	s_cbranch_execnz .LBB310_40
.LBB310_25:                             ;   in Loop: Header=BB310_13 Depth=1
	s_or_b64 exec, exec, s[56:57]
	s_and_saveexec_b64 s[56:57], s[52:53]
	s_cbranch_execnz .LBB310_41
.LBB310_26:                             ;   in Loop: Header=BB310_13 Depth=1
	s_or_b64 exec, exec, s[56:57]
	s_and_saveexec_b64 s[56:57], s[4:5]
	s_cbranch_execnz .LBB310_42
.LBB310_27:                             ;   in Loop: Header=BB310_13 Depth=1
	s_or_b64 exec, exec, s[56:57]
	s_and_saveexec_b64 s[56:57], s[12:13]
	s_cbranch_execnz .LBB310_43
.LBB310_28:                             ;   in Loop: Header=BB310_13 Depth=1
	s_or_b64 exec, exec, s[56:57]
	s_and_saveexec_b64 s[56:57], s[10:11]
	s_cbranch_execz .LBB310_12
	s_branch .LBB310_44
.LBB310_29:                             ;   in Loop: Header=BB310_13 Depth=1
	v_cndmask_b32_e64 v35, v18, v16, s[0:1]
	v_cndmask_b32_e64 v33, v19, v17, s[0:1]
	v_mov_b32_e32 v37, s31
	v_add_co_u32_e32 v44, vcc, s30, v35
	v_addc_co_u32_e32 v45, vcc, v37, v33, vcc
	global_load_dwordx4 v[44:47], v[44:45], off
	v_mov_b32_e32 v33, s23
	v_add_co_u32_e32 v48, vcc, s21, v0
	v_addc_co_u32_e32 v49, vcc, 0, v33, vcc
	v_add_co_u32_e32 v50, vcc, v26, v42
	v_addc_co_u32_e32 v51, vcc, 0, v1, vcc
	global_store_dwordx2 v[50:51], v[48:49], off
	v_add_co_u32_e32 v48, vcc, v28, v8
	v_addc_co_u32_e32 v49, vcc, 0, v3, vcc
	s_waitcnt vmcnt(1)
	global_store_dwordx4 v[48:49], v[44:47], off
	s_or_b64 exec, exec, s[56:57]
	s_and_saveexec_b64 s[56:57], s[36:37]
	s_cbranch_execz .LBB310_15
.LBB310_30:                             ;   in Loop: Header=BB310_13 Depth=1
	v_mov_b32_e32 v33, s31
	v_add_co_u32_e32 v35, vcc, s30, v16
	v_addc_co_u32_e32 v37, vcc, v33, v17, vcc
	v_add_co_u32_e32 v35, vcc, 0x200, v35
	v_addc_co_u32_e32 v37, vcc, 0, v37, vcc
	;; [unrolled: 2-line block ×3, first 2 shown]
	v_cndmask_b32_e64 v45, v33, v37, s[0:1]
	v_cndmask_b32_e64 v44, v39, v35, s[0:1]
	global_load_dwordx4 v[44:47], v[44:45], off
	v_mov_b32_e32 v33, s23
	v_add_co_u32_e32 v48, vcc, s21, v2
	v_addc_co_u32_e32 v49, vcc, 0, v33, vcc
	v_add_co_u32_e32 v50, vcc, v26, v42
	v_addc_co_u32_e32 v51, vcc, 0, v1, vcc
	global_store_dwordx2 v[50:51], v[48:49], off offset:256
	v_add_co_u32_e32 v48, vcc, v28, v8
	v_addc_co_u32_e32 v49, vcc, 0, v3, vcc
	s_waitcnt vmcnt(1)
	global_store_dwordx4 v[48:49], v[44:47], off offset:512
	s_or_b64 exec, exec, s[56:57]
	s_and_saveexec_b64 s[56:57], s[38:39]
	s_cbranch_execz .LBB310_16
.LBB310_31:                             ;   in Loop: Header=BB310_13 Depth=1
	v_mov_b32_e32 v33, s31
	v_add_co_u32_e32 v35, vcc, s30, v16
	v_addc_co_u32_e32 v37, vcc, v33, v17, vcc
	v_add_co_u32_e32 v35, vcc, 0x400, v35
	v_addc_co_u32_e32 v37, vcc, 0, v37, vcc
	;; [unrolled: 2-line block ×3, first 2 shown]
	v_cndmask_b32_e64 v45, v33, v37, s[0:1]
	v_cndmask_b32_e64 v44, v39, v35, s[0:1]
	global_load_dwordx4 v[44:47], v[44:45], off
	v_mov_b32_e32 v33, s23
	v_add_co_u32_e32 v48, vcc, s21, v4
	v_addc_co_u32_e32 v49, vcc, 0, v33, vcc
	v_add_co_u32_e32 v50, vcc, v26, v42
	v_addc_co_u32_e32 v51, vcc, 0, v1, vcc
	global_store_dwordx2 v[50:51], v[48:49], off offset:512
	v_add_co_u32_e32 v48, vcc, v28, v8
	v_addc_co_u32_e32 v49, vcc, 0, v3, vcc
	s_waitcnt vmcnt(1)
	global_store_dwordx4 v[48:49], v[44:47], off offset:1024
	s_or_b64 exec, exec, s[56:57]
	s_and_saveexec_b64 s[56:57], s[2:3]
	s_cbranch_execz .LBB310_17
.LBB310_32:                             ;   in Loop: Header=BB310_13 Depth=1
	v_mov_b32_e32 v33, s31
	v_add_co_u32_e32 v35, vcc, s30, v16
	v_addc_co_u32_e32 v37, vcc, v33, v17, vcc
	v_add_co_u32_e32 v35, vcc, 0x600, v35
	v_addc_co_u32_e32 v37, vcc, 0, v37, vcc
	;; [unrolled: 2-line block ×3, first 2 shown]
	v_cndmask_b32_e64 v45, v33, v37, s[0:1]
	v_cndmask_b32_e64 v44, v39, v35, s[0:1]
	global_load_dwordx4 v[44:47], v[44:45], off
	v_mov_b32_e32 v33, s23
	v_add_co_u32_e32 v48, vcc, s21, v6
	v_addc_co_u32_e32 v49, vcc, 0, v33, vcc
	v_add_co_u32_e32 v50, vcc, v26, v42
	v_addc_co_u32_e32 v51, vcc, 0, v1, vcc
	global_store_dwordx2 v[50:51], v[48:49], off offset:768
	v_add_co_u32_e32 v48, vcc, v28, v8
	v_addc_co_u32_e32 v49, vcc, 0, v3, vcc
	s_waitcnt vmcnt(1)
	global_store_dwordx4 v[48:49], v[44:47], off offset:1536
	s_or_b64 exec, exec, s[56:57]
	s_and_saveexec_b64 s[56:57], s[40:41]
	s_cbranch_execz .LBB310_18
.LBB310_33:                             ;   in Loop: Header=BB310_13 Depth=1
	v_mov_b32_e32 v33, s31
	v_add_co_u32_e32 v35, vcc, s30, v14
	v_addc_co_u32_e32 v37, vcc, v33, v15, vcc
	v_add_co_u32_e32 v39, vcc, s30, v18
	v_addc_co_u32_e32 v33, vcc, v33, v19, vcc
	;; [unrolled: 2-line block ×3, first 2 shown]
	v_cndmask_b32_e64 v45, v33, v37, s[0:1]
	v_cndmask_b32_e64 v44, v39, v35, s[0:1]
	global_load_dwordx4 v[44:47], v[44:45], off
	v_mov_b32_e32 v33, s23
	v_add_co_u32_e32 v48, vcc, s21, v0
	v_addc_co_u32_e32 v49, vcc, 0, v33, vcc
	v_add_co_u32_e32 v50, vcc, v32, v42
	v_addc_co_u32_e32 v51, vcc, 0, v7, vcc
	global_store_dwordx2 v[50:51], v[48:49], off
	v_add_co_u32_e32 v48, vcc, v30, v8
	v_addc_co_u32_e32 v49, vcc, 0, v5, vcc
	s_waitcnt vmcnt(1)
	global_store_dwordx4 v[48:49], v[44:47], off
	s_or_b64 exec, exec, s[56:57]
	s_and_saveexec_b64 s[56:57], s[42:43]
	s_cbranch_execz .LBB310_19
.LBB310_34:                             ;   in Loop: Header=BB310_13 Depth=1
	v_cndmask_b32_e64 v35, v20, v14, s[0:1]
	v_cndmask_b32_e64 v33, v21, v15, s[0:1]
	v_mov_b32_e32 v37, s31
	v_add_co_u32_e32 v44, vcc, s30, v35
	v_addc_co_u32_e32 v45, vcc, v37, v33, vcc
	global_load_dwordx4 v[44:47], v[44:45], off offset:512
	v_mov_b32_e32 v33, s23
	v_add_co_u32_e32 v48, vcc, s21, v2
	v_addc_co_u32_e32 v49, vcc, 0, v33, vcc
	v_add_co_u32_e32 v50, vcc, v32, v42
	v_addc_co_u32_e32 v51, vcc, 0, v7, vcc
	global_store_dwordx2 v[50:51], v[48:49], off offset:256
	v_add_co_u32_e32 v48, vcc, v30, v8
	v_addc_co_u32_e32 v49, vcc, 0, v5, vcc
	s_waitcnt vmcnt(1)
	global_store_dwordx4 v[48:49], v[44:47], off offset:512
	s_or_b64 exec, exec, s[56:57]
	s_and_saveexec_b64 s[56:57], s[44:45]
	s_cbranch_execz .LBB310_20
.LBB310_35:                             ;   in Loop: Header=BB310_13 Depth=1
	v_mov_b32_e32 v33, s31
	v_add_co_u32_e32 v35, vcc, s30, v14
	v_addc_co_u32_e32 v37, vcc, v33, v15, vcc
	v_add_co_u32_e32 v35, vcc, 0x400, v35
	v_addc_co_u32_e32 v37, vcc, 0, v37, vcc
	;; [unrolled: 2-line block ×4, first 2 shown]
	v_cndmask_b32_e64 v45, v33, v37, s[0:1]
	v_cndmask_b32_e64 v44, v39, v35, s[0:1]
	global_load_dwordx4 v[44:47], v[44:45], off
	v_mov_b32_e32 v33, s23
	v_add_co_u32_e32 v48, vcc, s21, v4
	v_addc_co_u32_e32 v49, vcc, 0, v33, vcc
	v_add_co_u32_e32 v50, vcc, v32, v42
	v_addc_co_u32_e32 v51, vcc, 0, v7, vcc
	global_store_dwordx2 v[50:51], v[48:49], off offset:512
	v_add_co_u32_e32 v48, vcc, v30, v8
	v_addc_co_u32_e32 v49, vcc, 0, v5, vcc
	s_waitcnt vmcnt(1)
	global_store_dwordx4 v[48:49], v[44:47], off offset:1024
	s_or_b64 exec, exec, s[56:57]
	s_and_saveexec_b64 s[56:57], s[6:7]
	s_cbranch_execz .LBB310_21
.LBB310_36:                             ;   in Loop: Header=BB310_13 Depth=1
	v_mov_b32_e32 v33, s31
	v_add_co_u32_e32 v35, vcc, s30, v14
	v_addc_co_u32_e32 v37, vcc, v33, v15, vcc
	v_add_co_u32_e32 v35, vcc, 0x600, v35
	v_addc_co_u32_e32 v37, vcc, 0, v37, vcc
	;; [unrolled: 2-line block ×4, first 2 shown]
	v_cndmask_b32_e64 v45, v33, v37, s[0:1]
	v_cndmask_b32_e64 v44, v39, v35, s[0:1]
	global_load_dwordx4 v[44:47], v[44:45], off
	v_mov_b32_e32 v33, s23
	v_add_co_u32_e32 v48, vcc, s21, v6
	v_addc_co_u32_e32 v49, vcc, 0, v33, vcc
	v_add_co_u32_e32 v50, vcc, v32, v42
	v_addc_co_u32_e32 v51, vcc, 0, v7, vcc
	global_store_dwordx2 v[50:51], v[48:49], off offset:768
	v_add_co_u32_e32 v48, vcc, v30, v8
	v_addc_co_u32_e32 v49, vcc, 0, v5, vcc
	s_waitcnt vmcnt(1)
	global_store_dwordx4 v[48:49], v[44:47], off offset:1536
	s_or_b64 exec, exec, s[56:57]
	s_and_saveexec_b64 s[56:57], s[46:47]
	s_cbranch_execz .LBB310_22
.LBB310_37:                             ;   in Loop: Header=BB310_13 Depth=1
	v_mov_b32_e32 v33, s31
	v_add_co_u32_e32 v35, vcc, s30, v12
	v_addc_co_u32_e32 v37, vcc, v33, v13, vcc
	v_add_co_u32_e32 v39, vcc, s30, v18
	v_addc_co_u32_e32 v33, vcc, v33, v19, vcc
	;; [unrolled: 2-line block ×3, first 2 shown]
	v_cndmask_b32_e64 v45, v33, v37, s[0:1]
	v_cndmask_b32_e64 v44, v39, v35, s[0:1]
	global_load_dwordx4 v[44:47], v[44:45], off
	v_mov_b32_e32 v33, s23
	v_add_co_u32_e32 v48, vcc, s21, v0
	v_addc_co_u32_e32 v49, vcc, 0, v33, vcc
	v_add_co_u32_e32 v50, vcc, v40, v42
	v_addc_co_u32_e32 v51, vcc, 0, v31, vcc
	global_store_dwordx2 v[50:51], v[48:49], off
	v_add_co_u32_e32 v48, vcc, v38, v8
	v_addc_co_u32_e32 v49, vcc, 0, v29, vcc
	s_waitcnt vmcnt(1)
	global_store_dwordx4 v[48:49], v[44:47], off
	s_or_b64 exec, exec, s[56:57]
	s_and_saveexec_b64 s[56:57], s[48:49]
	s_cbranch_execz .LBB310_23
.LBB310_38:                             ;   in Loop: Header=BB310_13 Depth=1
	v_mov_b32_e32 v33, s31
	v_add_co_u32_e32 v35, vcc, s30, v12
	v_addc_co_u32_e32 v37, vcc, v33, v13, vcc
	v_add_co_u32_e32 v35, vcc, 0x200, v35
	v_addc_co_u32_e32 v37, vcc, 0, v37, vcc
	;; [unrolled: 2-line block ×4, first 2 shown]
	v_cndmask_b32_e64 v45, v33, v37, s[0:1]
	v_cndmask_b32_e64 v44, v39, v35, s[0:1]
	global_load_dwordx4 v[44:47], v[44:45], off
	v_mov_b32_e32 v33, s23
	v_add_co_u32_e32 v48, vcc, s21, v2
	v_addc_co_u32_e32 v49, vcc, 0, v33, vcc
	v_add_co_u32_e32 v50, vcc, v40, v42
	v_addc_co_u32_e32 v51, vcc, 0, v31, vcc
	global_store_dwordx2 v[50:51], v[48:49], off offset:256
	v_add_co_u32_e32 v48, vcc, v38, v8
	v_addc_co_u32_e32 v49, vcc, 0, v29, vcc
	s_waitcnt vmcnt(1)
	global_store_dwordx4 v[48:49], v[44:47], off offset:512
	s_or_b64 exec, exec, s[56:57]
	s_and_saveexec_b64 s[56:57], s[50:51]
	s_cbranch_execz .LBB310_24
.LBB310_39:                             ;   in Loop: Header=BB310_13 Depth=1
	v_cndmask_b32_e64 v35, v22, v12, s[0:1]
	v_cndmask_b32_e64 v33, v23, v13, s[0:1]
	v_mov_b32_e32 v37, s31
	v_add_co_u32_e32 v44, vcc, s30, v35
	v_addc_co_u32_e32 v45, vcc, v37, v33, vcc
	global_load_dwordx4 v[44:47], v[44:45], off offset:1024
	v_mov_b32_e32 v33, s23
	v_add_co_u32_e32 v48, vcc, s21, v4
	v_addc_co_u32_e32 v49, vcc, 0, v33, vcc
	v_add_co_u32_e32 v50, vcc, v40, v42
	v_addc_co_u32_e32 v51, vcc, 0, v31, vcc
	global_store_dwordx2 v[50:51], v[48:49], off offset:512
	v_add_co_u32_e32 v48, vcc, v38, v8
	v_addc_co_u32_e32 v49, vcc, 0, v29, vcc
	s_waitcnt vmcnt(1)
	global_store_dwordx4 v[48:49], v[44:47], off offset:1024
	s_or_b64 exec, exec, s[56:57]
	s_and_saveexec_b64 s[56:57], s[8:9]
	s_cbranch_execz .LBB310_25
.LBB310_40:                             ;   in Loop: Header=BB310_13 Depth=1
	v_mov_b32_e32 v33, s31
	v_add_co_u32_e32 v35, vcc, s30, v12
	v_addc_co_u32_e32 v37, vcc, v33, v13, vcc
	v_add_co_u32_e32 v35, vcc, 0x600, v35
	v_addc_co_u32_e32 v37, vcc, 0, v37, vcc
	;; [unrolled: 2-line block ×4, first 2 shown]
	v_cndmask_b32_e64 v45, v33, v37, s[0:1]
	v_cndmask_b32_e64 v44, v39, v35, s[0:1]
	global_load_dwordx4 v[44:47], v[44:45], off
	v_mov_b32_e32 v33, s23
	v_add_co_u32_e32 v48, vcc, s21, v6
	v_addc_co_u32_e32 v49, vcc, 0, v33, vcc
	v_add_co_u32_e32 v50, vcc, v40, v42
	v_addc_co_u32_e32 v51, vcc, 0, v31, vcc
	global_store_dwordx2 v[50:51], v[48:49], off offset:768
	v_add_co_u32_e32 v48, vcc, v38, v8
	v_addc_co_u32_e32 v49, vcc, 0, v29, vcc
	s_waitcnt vmcnt(1)
	global_store_dwordx4 v[48:49], v[44:47], off offset:1536
	s_or_b64 exec, exec, s[56:57]
	s_and_saveexec_b64 s[56:57], s[52:53]
	s_cbranch_execz .LBB310_26
.LBB310_41:                             ;   in Loop: Header=BB310_13 Depth=1
	v_mov_b32_e32 v33, s31
	v_add_co_u32_e32 v35, vcc, s30, v10
	v_addc_co_u32_e32 v37, vcc, v33, v11, vcc
	v_add_co_u32_e32 v39, vcc, s30, v18
	v_addc_co_u32_e32 v33, vcc, v33, v19, vcc
	;; [unrolled: 2-line block ×3, first 2 shown]
	v_cndmask_b32_e64 v45, v33, v37, s[0:1]
	v_cndmask_b32_e64 v44, v39, v35, s[0:1]
	global_load_dwordx4 v[44:47], v[44:45], off
	v_mov_b32_e32 v33, s23
	v_add_co_u32_e32 v48, vcc, s21, v0
	v_addc_co_u32_e32 v49, vcc, 0, v33, vcc
	v_add_co_u32_e32 v50, vcc, v34, v42
	v_addc_co_u32_e32 v51, vcc, 0, v9, vcc
	global_store_dwordx2 v[50:51], v[48:49], off
	v_add_co_u32_e32 v48, vcc, v36, v8
	v_addc_co_u32_e32 v49, vcc, 0, v27, vcc
	s_waitcnt vmcnt(1)
	global_store_dwordx4 v[48:49], v[44:47], off
	s_or_b64 exec, exec, s[56:57]
	s_and_saveexec_b64 s[56:57], s[4:5]
	s_cbranch_execz .LBB310_27
.LBB310_42:                             ;   in Loop: Header=BB310_13 Depth=1
	v_mov_b32_e32 v33, s31
	v_add_co_u32_e32 v35, vcc, s30, v10
	v_addc_co_u32_e32 v37, vcc, v33, v11, vcc
	v_add_co_u32_e32 v35, vcc, 0x200, v35
	v_addc_co_u32_e32 v37, vcc, 0, v37, vcc
	;; [unrolled: 2-line block ×4, first 2 shown]
	v_cndmask_b32_e64 v45, v33, v37, s[0:1]
	v_cndmask_b32_e64 v44, v39, v35, s[0:1]
	global_load_dwordx4 v[44:47], v[44:45], off
	v_mov_b32_e32 v33, s23
	v_add_co_u32_e32 v48, vcc, s21, v2
	v_addc_co_u32_e32 v49, vcc, 0, v33, vcc
	v_add_co_u32_e32 v50, vcc, v34, v42
	v_addc_co_u32_e32 v51, vcc, 0, v9, vcc
	global_store_dwordx2 v[50:51], v[48:49], off offset:256
	v_add_co_u32_e32 v48, vcc, v36, v8
	v_addc_co_u32_e32 v49, vcc, 0, v27, vcc
	s_waitcnt vmcnt(1)
	global_store_dwordx4 v[48:49], v[44:47], off offset:512
	s_or_b64 exec, exec, s[56:57]
	s_and_saveexec_b64 s[56:57], s[12:13]
	s_cbranch_execz .LBB310_28
.LBB310_43:                             ;   in Loop: Header=BB310_13 Depth=1
	v_mov_b32_e32 v33, s31
	v_add_co_u32_e32 v35, vcc, s30, v10
	v_addc_co_u32_e32 v37, vcc, v33, v11, vcc
	v_add_co_u32_e32 v35, vcc, 0x400, v35
	v_addc_co_u32_e32 v37, vcc, 0, v37, vcc
	v_add_co_u32_e32 v39, vcc, s30, v22
	v_addc_co_u32_e32 v33, vcc, v33, v23, vcc
	v_add_co_u32_e32 v39, vcc, 0x600, v39
	v_addc_co_u32_e32 v33, vcc, 0, v33, vcc
	v_cndmask_b32_e64 v45, v33, v37, s[0:1]
	v_cndmask_b32_e64 v44, v39, v35, s[0:1]
	global_load_dwordx4 v[44:47], v[44:45], off
	v_mov_b32_e32 v33, s23
	v_add_co_u32_e32 v48, vcc, s21, v4
	v_addc_co_u32_e32 v49, vcc, 0, v33, vcc
	v_add_co_u32_e32 v50, vcc, v34, v42
	v_addc_co_u32_e32 v51, vcc, 0, v9, vcc
	global_store_dwordx2 v[50:51], v[48:49], off offset:512
	v_add_co_u32_e32 v48, vcc, v36, v8
	v_addc_co_u32_e32 v49, vcc, 0, v27, vcc
	s_waitcnt vmcnt(1)
	global_store_dwordx4 v[48:49], v[44:47], off offset:1024
	s_or_b64 exec, exec, s[56:57]
	s_and_saveexec_b64 s[56:57], s[10:11]
	s_cbranch_execz .LBB310_12
.LBB310_44:                             ;   in Loop: Header=BB310_13 Depth=1
	v_cndmask_b32_e64 v35, v24, v10, s[0:1]
	v_cndmask_b32_e64 v33, v25, v11, s[0:1]
	v_mov_b32_e32 v37, s31
	v_add_co_u32_e32 v44, vcc, s30, v35
	v_addc_co_u32_e32 v45, vcc, v37, v33, vcc
	global_load_dwordx4 v[44:47], v[44:45], off offset:1536
	v_mov_b32_e32 v33, s23
	v_add_co_u32_e32 v48, vcc, s21, v6
	v_addc_co_u32_e32 v49, vcc, 0, v33, vcc
	v_add_co_u32_e32 v50, vcc, v34, v42
	v_addc_co_u32_e32 v51, vcc, 0, v9, vcc
	global_store_dwordx2 v[50:51], v[48:49], off offset:768
	v_add_co_u32_e32 v48, vcc, v36, v8
	v_addc_co_u32_e32 v49, vcc, 0, v27, vcc
	s_waitcnt vmcnt(1)
	global_store_dwordx4 v[48:49], v[44:47], off offset:1536
	s_branch .LBB310_12
.LBB310_45:
	s_endpgm
	.section	.rodata,"a",@progbits
	.p2align	6, 0x0
	.amdhsa_kernel _ZN9rocsparseL35bsr2csr_block_per_row_33_256_kernelILj1024ELj128ELj32E21rocsparse_complex_numIdEllEEv20rocsparse_direction_T4_S4_21rocsparse_index_base_PKT2_PKT3_PKS4_S4_S5_PS6_PS9_PS4_
		.amdhsa_group_segment_fixed_size 0
		.amdhsa_private_segment_fixed_size 0
		.amdhsa_kernarg_size 96
		.amdhsa_user_sgpr_count 6
		.amdhsa_user_sgpr_private_segment_buffer 1
		.amdhsa_user_sgpr_dispatch_ptr 0
		.amdhsa_user_sgpr_queue_ptr 0
		.amdhsa_user_sgpr_kernarg_segment_ptr 1
		.amdhsa_user_sgpr_dispatch_id 0
		.amdhsa_user_sgpr_flat_scratch_init 0
		.amdhsa_user_sgpr_kernarg_preload_length 0
		.amdhsa_user_sgpr_kernarg_preload_offset 0
		.amdhsa_user_sgpr_private_segment_size 0
		.amdhsa_uses_dynamic_stack 0
		.amdhsa_system_sgpr_private_segment_wavefront_offset 0
		.amdhsa_system_sgpr_workgroup_id_x 1
		.amdhsa_system_sgpr_workgroup_id_y 0
		.amdhsa_system_sgpr_workgroup_id_z 0
		.amdhsa_system_sgpr_workgroup_info 0
		.amdhsa_system_vgpr_workitem_id 0
		.amdhsa_next_free_vgpr 52
		.amdhsa_next_free_sgpr 69
		.amdhsa_accum_offset 52
		.amdhsa_reserve_vcc 1
		.amdhsa_reserve_flat_scratch 0
		.amdhsa_float_round_mode_32 0
		.amdhsa_float_round_mode_16_64 0
		.amdhsa_float_denorm_mode_32 3
		.amdhsa_float_denorm_mode_16_64 3
		.amdhsa_dx10_clamp 1
		.amdhsa_ieee_mode 1
		.amdhsa_fp16_overflow 0
		.amdhsa_tg_split 0
		.amdhsa_exception_fp_ieee_invalid_op 0
		.amdhsa_exception_fp_denorm_src 0
		.amdhsa_exception_fp_ieee_div_zero 0
		.amdhsa_exception_fp_ieee_overflow 0
		.amdhsa_exception_fp_ieee_underflow 0
		.amdhsa_exception_fp_ieee_inexact 0
		.amdhsa_exception_int_div_zero 0
	.end_amdhsa_kernel
	.section	.text._ZN9rocsparseL35bsr2csr_block_per_row_33_256_kernelILj1024ELj128ELj32E21rocsparse_complex_numIdEllEEv20rocsparse_direction_T4_S4_21rocsparse_index_base_PKT2_PKT3_PKS4_S4_S5_PS6_PS9_PS4_,"axG",@progbits,_ZN9rocsparseL35bsr2csr_block_per_row_33_256_kernelILj1024ELj128ELj32E21rocsparse_complex_numIdEllEEv20rocsparse_direction_T4_S4_21rocsparse_index_base_PKT2_PKT3_PKS4_S4_S5_PS6_PS9_PS4_,comdat
.Lfunc_end310:
	.size	_ZN9rocsparseL35bsr2csr_block_per_row_33_256_kernelILj1024ELj128ELj32E21rocsparse_complex_numIdEllEEv20rocsparse_direction_T4_S4_21rocsparse_index_base_PKT2_PKT3_PKS4_S4_S5_PS6_PS9_PS4_, .Lfunc_end310-_ZN9rocsparseL35bsr2csr_block_per_row_33_256_kernelILj1024ELj128ELj32E21rocsparse_complex_numIdEllEEv20rocsparse_direction_T4_S4_21rocsparse_index_base_PKT2_PKT3_PKS4_S4_S5_PS6_PS9_PS4_
                                        ; -- End function
	.section	.AMDGPU.csdata,"",@progbits
; Kernel info:
; codeLenInByte = 3796
; NumSgprs: 73
; NumVgprs: 52
; NumAgprs: 0
; TotalNumVgprs: 52
; ScratchSize: 0
; MemoryBound: 0
; FloatMode: 240
; IeeeMode: 1
; LDSByteSize: 0 bytes/workgroup (compile time only)
; SGPRBlocks: 9
; VGPRBlocks: 6
; NumSGPRsForWavesPerEU: 73
; NumVGPRsForWavesPerEU: 52
; AccumOffset: 52
; Occupancy: 8
; WaveLimiterHint : 0
; COMPUTE_PGM_RSRC2:SCRATCH_EN: 0
; COMPUTE_PGM_RSRC2:USER_SGPR: 6
; COMPUTE_PGM_RSRC2:TRAP_HANDLER: 0
; COMPUTE_PGM_RSRC2:TGID_X_EN: 1
; COMPUTE_PGM_RSRC2:TGID_Y_EN: 0
; COMPUTE_PGM_RSRC2:TGID_Z_EN: 0
; COMPUTE_PGM_RSRC2:TIDIG_COMP_CNT: 0
; COMPUTE_PGM_RSRC3_GFX90A:ACCUM_OFFSET: 12
; COMPUTE_PGM_RSRC3_GFX90A:TG_SPLIT: 0
	.section	.text._ZN9rocsparseL35bsr2csr_block_per_row_33_256_kernelILj1024ELj256ELj32E21rocsparse_complex_numIdEllEEv20rocsparse_direction_T4_S4_21rocsparse_index_base_PKT2_PKT3_PKS4_S4_S5_PS6_PS9_PS4_,"axG",@progbits,_ZN9rocsparseL35bsr2csr_block_per_row_33_256_kernelILj1024ELj256ELj32E21rocsparse_complex_numIdEllEEv20rocsparse_direction_T4_S4_21rocsparse_index_base_PKT2_PKT3_PKS4_S4_S5_PS6_PS9_PS4_,comdat
	.globl	_ZN9rocsparseL35bsr2csr_block_per_row_33_256_kernelILj1024ELj256ELj32E21rocsparse_complex_numIdEllEEv20rocsparse_direction_T4_S4_21rocsparse_index_base_PKT2_PKT3_PKS4_S4_S5_PS6_PS9_PS4_ ; -- Begin function _ZN9rocsparseL35bsr2csr_block_per_row_33_256_kernelILj1024ELj256ELj32E21rocsparse_complex_numIdEllEEv20rocsparse_direction_T4_S4_21rocsparse_index_base_PKT2_PKT3_PKS4_S4_S5_PS6_PS9_PS4_
	.p2align	8
	.type	_ZN9rocsparseL35bsr2csr_block_per_row_33_256_kernelILj1024ELj256ELj32E21rocsparse_complex_numIdEllEEv20rocsparse_direction_T4_S4_21rocsparse_index_base_PKT2_PKT3_PKS4_S4_S5_PS6_PS9_PS4_,@function
_ZN9rocsparseL35bsr2csr_block_per_row_33_256_kernelILj1024ELj256ELj32E21rocsparse_complex_numIdEllEEv20rocsparse_direction_T4_S4_21rocsparse_index_base_PKT2_PKT3_PKS4_S4_S5_PS6_PS9_PS4_: ; @_ZN9rocsparseL35bsr2csr_block_per_row_33_256_kernelILj1024ELj256ELj32E21rocsparse_complex_numIdEllEEv20rocsparse_direction_T4_S4_21rocsparse_index_base_PKT2_PKT3_PKS4_S4_S5_PS6_PS9_PS4_
; %bb.0:
	s_load_dwordx2 s[0:1], s[4:5], 0x28
	s_load_dword s10, s[4:5], 0x40
	s_load_dwordx2 s[2:3], s[4:5], 0x50
	s_mov_b32 s11, 0
	s_mov_b32 s7, s11
	s_lshl_b64 s[8:9], s[6:7], 3
	s_waitcnt lgkmcnt(0)
	s_add_u32 s0, s0, s8
	s_addc_u32 s1, s1, s9
	s_load_dwordx4 s[20:23], s[0:1], 0x0
	v_or_b32_e32 v1, s6, v0
	v_cmp_eq_u32_e32 vcc, 0, v1
	s_and_saveexec_b64 s[0:1], vcc
	s_cbranch_execz .LBB311_2
; %bb.1:
	v_mov_b32_e32 v1, 0
	v_pk_mov_b32 v[2:3], s[10:11], s[10:11] op_sel:[0,1]
	global_store_dwordx2 v1, v[2:3], s[2:3]
.LBB311_2:
	s_or_b64 exec, exec, s[0:1]
	s_load_dword s1, s[4:5], 0x18
	s_load_dwordx2 s[40:41], s[4:5], 0x38
                                        ; implicit-def: $vgpr78 : SGPR spill to VGPR lane
	v_mov_b32_e32 v3, 0
	v_lshrrev_b32_e32 v2, 5, v0
	v_lshlrev_b32_e32 v1, 3, v2
	s_waitcnt lgkmcnt(0)
	s_sub_u32 s50, s20, s1
	s_subb_u32 s51, s21, 0
	s_mul_i32 s0, s50, s41
	v_writelane_b32 v78, s1, 0
	s_sub_u32 s44, s22, s1
	s_mul_hi_u32 s1, s50, s40
	s_subb_u32 s45, s23, 0
	s_add_i32 s0, s1, s0
	s_mul_i32 s1, s51, s40
	s_add_i32 s0, s0, s1
	s_mul_i32 s1, s50, s40
	s_mul_i32 s7, s1, s41
	s_mul_hi_u32 s8, s1, s40
	s_add_i32 s7, s8, s7
	s_mul_i32 s0, s0, s40
	s_add_i32 s7, s7, s0
	s_sub_u32 s38, s44, s50
	s_subb_u32 s39, s45, s51
	s_mul_i32 s0, s38, s41
	s_mul_hi_u32 s8, s38, s40
	s_add_i32 s0, s8, s0
	s_mul_i32 s8, s39, s40
	s_mul_i32 s1, s1, s40
	s_add_i32 s28, s0, s8
	s_mov_b32 s0, s10
	v_writelane_b32 v78, s0, 1
	v_writelane_b32 v78, s1, 2
	s_add_u32 s0, s1, s10
	s_mul_i32 s29, s38, s40
	s_addc_u32 s1, s7, 0
	s_add_u32 s0, s0, s29
	s_mul_i32 s7, s6, s41
	s_mul_hi_u32 s8, s6, s40
	s_addc_u32 s1, s1, s28
	s_add_i32 s7, s8, s7
	s_mul_i32 s6, s6, s40
	s_lshl_b64 s[6:7], s[6:7], 3
	s_add_u32 s2, s2, s6
	s_addc_u32 s3, s3, s7
	v_cmp_gt_i64_e64 s[6:7], s[40:41], v[2:3]
	s_and_saveexec_b64 s[8:9], s[6:7]
	s_cbranch_execz .LBB311_4
; %bb.3:
	v_pk_mov_b32 v[4:5], s[0:1], s[0:1] op_sel:[0,1]
	v_mad_u64_u32 v[4:5], s[10:11], v2, s29, v[4:5]
	v_mov_b32_e32 v6, v5
	v_mad_u64_u32 v[6:7], s[10:11], v2, s28, v[6:7]
	v_mov_b32_e32 v5, v6
	global_store_dwordx2 v1, v[4:5], s[2:3] offset:8
.LBB311_4:
	s_or_b64 exec, exec, s[8:9]
	s_add_u32 s24, s2, 8
	v_or_b32_e32 v4, 32, v2
	v_mov_b32_e32 v5, v3
	s_addc_u32 s25, s3, 0
	v_cmp_gt_i64_e64 s[2:3], s[40:41], v[4:5]
	s_and_saveexec_b64 s[8:9], s[2:3]
	s_cbranch_execz .LBB311_6
; %bb.5:
	v_pk_mov_b32 v[6:7], s[0:1], s[0:1] op_sel:[0,1]
	v_mad_u64_u32 v[6:7], s[10:11], v4, s29, v[6:7]
	v_mov_b32_e32 v8, v7
	v_mad_u64_u32 v[4:5], s[10:11], v4, s28, v[8:9]
	v_mov_b32_e32 v7, v4
	global_store_dwordx2 v1, v[6:7], s[24:25] offset:256
.LBB311_6:
	s_or_b64 exec, exec, s[8:9]
	v_or_b32_e32 v4, 64, v2
	v_mov_b32_e32 v5, v3
	v_cmp_gt_i64_e64 s[8:9], s[40:41], v[4:5]
	s_and_saveexec_b64 s[10:11], s[8:9]
	s_cbranch_execz .LBB311_8
; %bb.7:
	v_pk_mov_b32 v[6:7], s[0:1], s[0:1] op_sel:[0,1]
	v_mad_u64_u32 v[6:7], s[12:13], v4, s29, v[6:7]
	v_mov_b32_e32 v8, v7
	v_mad_u64_u32 v[4:5], s[12:13], v4, s28, v[8:9]
	v_mov_b32_e32 v7, v4
	global_store_dwordx2 v1, v[6:7], s[24:25] offset:512
.LBB311_8:
	s_or_b64 exec, exec, s[10:11]
	v_or_b32_e32 v4, 0x60, v2
	v_mov_b32_e32 v5, v3
	;; [unrolled: 14-line block ×6, first 2 shown]
	v_cmp_gt_i64_e64 s[18:19], s[40:41], v[4:5]
	s_and_saveexec_b64 s[26:27], s[18:19]
	s_cbranch_execz .LBB311_18
; %bb.17:
	v_pk_mov_b32 v[6:7], s[0:1], s[0:1] op_sel:[0,1]
	v_mad_u64_u32 v[6:7], s[0:1], v4, s29, v[6:7]
	v_mov_b32_e32 v8, v7
	v_mad_u64_u32 v[4:5], s[0:1], v4, s28, v[8:9]
	v_mov_b32_e32 v7, v4
	global_store_dwordx2 v1, v[6:7], s[24:25] offset:1792
.LBB311_18:
	s_or_b64 exec, exec, s[26:27]
	v_pk_mov_b32 v[4:5], s[22:23], s[22:23] op_sel:[0,1]
	v_cmp_lt_i64_e32 vcc, s[20:21], v[4:5]
	s_cbranch_vccz .LBB311_149
; %bb.19:
	s_mul_i32 s1, s40, s41
	s_mul_hi_u32 s20, s40, s40
	s_load_dword s0, s[4:5], 0x0
	s_add_i32 s20, s20, s1
	s_add_i32 s1, s20, s1
	s_mul_i32 s33, s40, s40
	v_writelane_b32 v78, s1, 3
	s_mul_i32 s1, s50, s1
	s_mul_hi_u32 s20, s50, s33
	s_add_i32 s1, s20, s1
	s_mul_i32 s20, s51, s33
	s_add_i32 s47, s1, s20
	s_waitcnt lgkmcnt(0)
	s_cmp_eq_u32 s0, 0
	s_cselect_b64 s[0:1], -1, 0
	s_lshl_b64 s[52:53], s[40:41], 5
	v_and_b32_e32 v0, 31, v0
	v_pk_mov_b32 v[6:7], s[52:53], s[52:53] op_sel:[0,1]
	v_mul_lo_u32 v24, v0, s41
	v_mad_u64_u32 v[6:7], s[22:23], v0, s40, v[6:7]
	v_add_u32_e32 v7, v24, v7
	v_mov_b32_e32 v3, s53
	v_add_co_u32_e64 v28, s[24:25], s52, v6
	s_load_dwordx2 s[48:49], s[4:5], 0x48
	s_load_dwordx2 s[20:21], s[4:5], 0x20
	v_addc_co_u32_e64 v29, s[24:25], v7, v3, s[24:25]
	v_add_co_u32_e64 v30, s[26:27], s52, v28
	v_addc_co_u32_e64 v31, s[26:27], v29, v3, s[26:27]
	v_add_co_u32_e64 v32, s[28:29], s52, v30
	;; [unrolled: 2-line block ×4, first 2 shown]
	v_mov_b32_e32 v1, 0
	v_addc_co_u32_e64 v37, s[34:35], v35, v3, s[34:35]
	v_add_co_u32_e64 v38, s[36:37], s52, v36
	s_waitcnt lgkmcnt(0)
	v_writelane_b32 v78, s20, 4
	v_cmp_gt_i64_e32 vcc, s[40:41], v[0:1]
	v_addc_co_u32_e64 v39, s[36:37], v37, v3, s[36:37]
	v_mad_u64_u32 v[20:21], s[36:37], v2, s38, 0
	v_writelane_b32 v78, s21, 5
	v_or_b32_e32 v4, 32, v0
	v_mov_b32_e32 v5, v1
	s_and_b64 s[36:37], s[6:7], vcc
	v_cmp_gt_i64_e64 s[20:21], s[40:41], v[4:5]
	v_writelane_b32 v78, s36, 6
	v_or_b32_e32 v8, 64, v0
	v_mov_b32_e32 v9, v1
	v_writelane_b32 v78, s37, 7
	s_and_b64 s[36:37], s[6:7], s[20:21]
	v_cmp_gt_i64_e64 s[22:23], s[40:41], v[8:9]
	v_writelane_b32 v78, s36, 8
	v_or_b32_e32 v10, 0x60, v0
	v_mov_b32_e32 v11, v1
	v_writelane_b32 v78, s37, 9
	s_and_b64 s[36:37], s[6:7], s[22:23]
	;; [unrolled: 6-line block ×6, first 2 shown]
	v_cmp_gt_i64_e64 s[34:35], s[40:41], v[18:19]
	v_writelane_b32 v78, s36, 18
	v_writelane_b32 v78, s37, 19
	s_and_b64 s[6:7], s[6:7], s[34:35]
	s_lshl_b64 s[36:37], s[38:39], 5
	v_writelane_b32 v78, s6, 20
	v_pk_mov_b32 v[22:23], s[36:37], s[36:37] op_sel:[0,1]
	v_writelane_b32 v78, s7, 21
	v_mad_u64_u32 v[22:23], s[6:7], v2, s38, v[22:23]
	s_and_b64 s[6:7], s[2:3], vcc
	v_writelane_b32 v78, s6, 22
	v_writelane_b32 v78, s7, 23
	s_and_b64 s[6:7], s[2:3], s[20:21]
	v_writelane_b32 v78, s6, 24
	v_writelane_b32 v78, s7, 25
	s_and_b64 s[6:7], s[2:3], s[22:23]
	;; [unrolled: 3-line block ×3, first 2 shown]
	v_mul_lo_u32 v25, v2, s39
	v_writelane_b32 v78, s6, 28
	v_add_u32_e32 v23, v25, v23
	v_writelane_b32 v78, s7, 29
	v_mov_b32_e32 v26, s37
	v_add_co_u32_e64 v1, s[6:7], s36, v22
	v_addc_co_u32_e64 v3, s[6:7], v23, v26, s[6:7]
	v_add_co_u32_e64 v5, s[6:7], s36, v1
	v_addc_co_u32_e64 v9, s[6:7], v3, v26, s[6:7]
	;; [unrolled: 2-line block ×5, first 2 shown]
	s_and_b64 s[6:7], s[2:3], s[26:27]
	v_writelane_b32 v78, s6, 30
	v_writelane_b32 v78, s7, 31
	v_add_co_u32_e64 v61, s[6:7], s36, v19
	v_addc_co_u32_e64 v62, s[6:7], v60, v26, s[6:7]
	s_and_b64 s[6:7], s[2:3], s[28:29]
	v_writelane_b32 v78, s6, 32
	v_writelane_b32 v78, s7, 33
	s_and_b64 s[6:7], s[2:3], s[30:31]
	v_writelane_b32 v78, s6, 34
	v_writelane_b32 v78, s7, 35
	;; [unrolled: 3-line block ×3, first 2 shown]
	s_and_b64 s[2:3], s[8:9], vcc
	v_writelane_b32 v78, s2, 38
	v_writelane_b32 v78, s3, 39
	s_and_b64 s[2:3], s[8:9], s[20:21]
	v_writelane_b32 v78, s2, 40
	v_writelane_b32 v78, s3, 41
	s_and_b64 s[2:3], s[8:9], s[22:23]
	;; [unrolled: 3-line block ×7, first 2 shown]
	v_writelane_b32 v78, s2, 52
	v_writelane_b32 v78, s3, 53
	s_and_b64 s[2:3], s[10:11], vcc
	v_writelane_b32 v78, s2, 54
	v_writelane_b32 v78, s3, 55
	s_and_b64 s[2:3], s[10:11], s[20:21]
	v_writelane_b32 v78, s2, 56
	v_writelane_b32 v78, s3, 57
	s_and_b64 s[2:3], s[10:11], s[22:23]
	;; [unrolled: 3-line block ×5, first 2 shown]
                                        ; implicit-def: $vgpr77 : SGPR spill to VGPR lane
	s_and_b64 s[84:85], s[16:17], vcc
	v_writelane_b32 v77, s2, 0
	v_writelane_b32 v77, s3, 1
	s_and_b64 s[2:3], s[10:11], s[30:31]
	v_writelane_b32 v77, s2, 2
	v_writelane_b32 v77, s3, 3
	s_and_b64 s[2:3], s[10:11], s[34:35]
	v_writelane_b32 v77, s2, 4
	v_writelane_b32 v77, s3, 5
	s_and_b64 s[2:3], s[12:13], vcc
	v_writelane_b32 v77, s2, 6
	v_writelane_b32 v77, s3, 7
	s_and_b64 s[2:3], s[12:13], s[20:21]
	v_writelane_b32 v77, s2, 8
	v_writelane_b32 v77, s3, 9
	s_and_b64 s[2:3], s[12:13], s[22:23]
	;; [unrolled: 3-line block ×7, first 2 shown]
	v_writelane_b32 v77, s2, 20
	v_writelane_b32 v77, s3, 21
	s_and_b64 s[2:3], s[14:15], vcc
	v_writelane_b32 v77, s2, 22
	v_writelane_b32 v77, s3, 23
	s_and_b64 s[2:3], s[14:15], s[20:21]
	v_writelane_b32 v77, s2, 24
	v_writelane_b32 v77, s3, 25
	s_and_b64 s[2:3], s[14:15], s[22:23]
	;; [unrolled: 3-line block ×7, first 2 shown]
	v_writelane_b32 v77, s2, 36
	v_writelane_b32 v77, s3, 37
	s_load_dwordx2 s[2:3], s[4:5], 0x30
	s_and_b64 s[86:87], s[16:17], s[20:21]
	s_load_dwordx2 s[4:5], s[4:5], 0x58
	s_and_b64 s[88:89], s[16:17], s[22:23]
	s_and_b64 s[90:91], s[16:17], s[24:25]
	s_and_b64 s[92:93], s[16:17], s[26:27]
	s_and_b64 s[8:9], s[16:17], s[28:29]
	s_and_b64 s[94:95], s[16:17], s[30:31]
	s_and_b64 s[16:17], s[16:17], s[34:35]
	s_and_b64 s[38:39], s[18:19], vcc
	s_and_b64 s[20:21], s[18:19], s[20:21]
	s_and_b64 s[22:23], s[18:19], s[22:23]
	;; [unrolled: 1-line block ×7, first 2 shown]
	s_waitcnt lgkmcnt(0)
	s_add_u32 s54, s4, 0x100
	s_addc_u32 s55, s5, 0
	s_add_u32 s56, s48, 0x200
	s_addc_u32 s57, s49, 0
	;; [unrolled: 2-line block ×10, first 2 shown]
	s_add_u32 s72, s4, 0x600
	v_writelane_b32 v77, s2, 38
	s_addc_u32 s73, s5, 0
	v_writelane_b32 v77, s3, 39
	v_mad_u64_u32 v[26:27], s[2:3], v0, s40, 0
	s_add_u32 s12, s48, 0xc00
	v_add_u32_e32 v27, v27, v24
	v_add_u32_e32 v21, v21, v25
	v_mad_u64_u32 v[24:25], s[2:3], v2, s40, 0
	s_addc_u32 s13, s49, 0
	v_mov_b32_e32 v40, v25
	s_add_u32 s74, s4, 0x700
	v_mad_u64_u32 v[40:41], s[2:3], v2, s41, v[40:41]
	s_addc_u32 s75, s5, 0
	v_mov_b32_e32 v25, v40
	s_add_u32 s76, s48, 0xe00
	s_mul_i32 s46, s50, s33
	v_lshlrev_b64 v[24:25], 4, v[24:25]
	v_lshlrev_b64 v[26:27], 4, v[26:27]
	;; [unrolled: 1-line block ×8, first 2 shown]
	s_addc_u32 s77, s49, 0
	s_movk_i32 s6, 0x200
	s_movk_i32 s7, 0x400
	;; [unrolled: 1-line block ×7, first 2 shown]
	s_mov_b64 s[42:43], s[50:51]
	s_branch .LBB311_21
.LBB311_20:                             ;   in Loop: Header=BB311_21 Depth=1
	s_or_b64 exec, exec, s[34:35]
	s_add_u32 s42, s42, 1
	s_addc_u32 s43, s43, 0
	v_pk_mov_b32 v[40:41], s[44:45], s[44:45] op_sel:[0,1]
	v_cmp_ge_i64_e32 vcc, s[42:43], v[40:41]
	s_cbranch_vccnz .LBB311_149
.LBB311_21:                             ; =>This Inner Loop Header: Depth=1
	s_lshl_b64 s[34:35], s[42:43], 3
	v_readlane_b32 s14, v77, 38
	v_readlane_b32 s15, v77, 39
	s_add_u32 s34, s14, s34
	s_addc_u32 s35, s15, s35
	s_load_dwordx2 s[34:35], s[34:35], 0x0
	v_readlane_b32 s14, v78, 0
	v_lshlrev_b32_e32 v65, 4, v0
	s_waitcnt lgkmcnt(0)
	s_sub_u32 s34, s34, s14
	s_subb_u32 s35, s35, 0
	s_mul_i32 s36, s34, s41
	s_mul_hi_u32 s37, s34, s40
	s_sub_u32 s81, s42, s50
	s_mul_i32 s35, s35, s40
	s_subb_u32 s82, s43, s51
	s_add_i32 s36, s37, s36
	s_add_i32 s35, s36, s35
	s_mul_i32 s34, s34, s40
	v_readlane_b32 s14, v78, 1
	s_add_u32 s36, s34, s14
	s_addc_u32 s37, s35, 0
	v_readlane_b32 s14, v78, 3
	s_mul_i32 s34, s42, s14
	s_mul_hi_u32 s35, s42, s33
	v_mov_b32_e32 v41, s37
	v_add_co_u32_e32 v40, vcc, s36, v0
	s_add_i32 s34, s35, s34
	s_mul_i32 s35, s43, s33
	v_addc_co_u32_e32 v41, vcc, 0, v41, vcc
	v_readlane_b32 s15, v78, 2
	s_add_i32 s35, s34, s35
	s_mul_i32 s34, s42, s33
	v_mov_b32_e32 v42, s82
	v_add_co_u32_e32 v44, vcc, s81, v20
	s_lshl_b64 s[34:35], s[34:35], 4
	v_readlane_b32 s14, v78, 4
	v_addc_co_u32_e32 v42, vcc, v21, v42, vcc
	v_readlane_b32 s15, v78, 5
	s_add_u32 s83, s14, s34
	v_mul_lo_u32 v46, v42, s40
	v_pk_mov_b32 v[42:43], s[46:47], s[46:47] op_sel:[0,1]
	s_addc_u32 s14, s15, s35
	v_mad_u64_u32 v[58:59], s[34:35], v44, s40, v[42:43]
	v_lshlrev_b32_e32 v42, 4, v2
	v_mov_b32_e32 v43, s14
	v_add_co_u32_e32 v63, vcc, s83, v42
	v_addc_co_u32_e32 v64, vcc, 0, v43, vcc
	v_mul_lo_u32 v45, v44, s41
	v_mov_b32_e32 v42, s14
	v_add_co_u32_e32 v66, vcc, s83, v24
	v_readlane_b32 s14, v78, 6
	v_add3_u32 v59, v46, v59, v45
	v_addc_co_u32_e32 v67, vcc, v42, v25, vcc
	v_readlane_b32 s15, v78, 7
	s_and_saveexec_b64 s[34:35], s[14:15]
	s_cbranch_execz .LBB311_23
; %bb.22:                               ;   in Loop: Header=BB311_21 Depth=1
	v_add_co_u32_e32 v42, vcc, v66, v65
	v_addc_co_u32_e32 v43, vcc, 0, v67, vcc
	v_add_co_u32_e32 v44, vcc, v63, v26
	v_addc_co_u32_e32 v45, vcc, v64, v27, vcc
	v_cndmask_b32_e64 v43, v45, v43, s[0:1]
	v_cndmask_b32_e64 v42, v44, v42, s[0:1]
	global_load_dwordx4 v[42:45], v[42:43], off
	v_add_co_u32_e32 v46, vcc, v58, v0
	v_addc_co_u32_e32 v47, vcc, 0, v59, vcc
	v_lshlrev_b64 v[48:49], 3, v[46:47]
	v_mov_b32_e32 v50, s5
	v_add_co_u32_e32 v48, vcc, s4, v48
	v_addc_co_u32_e32 v49, vcc, v50, v49, vcc
	v_lshlrev_b64 v[46:47], 4, v[46:47]
	global_store_dwordx2 v[48:49], v[40:41], off
	v_mov_b32_e32 v48, s49
	v_add_co_u32_e32 v46, vcc, s48, v46
	v_addc_co_u32_e32 v47, vcc, v48, v47, vcc
	s_waitcnt vmcnt(1)
	global_store_dwordx4 v[46:47], v[42:45], off
.LBB311_23:                             ;   in Loop: Header=BB311_21 Depth=1
	s_or_b64 exec, exec, s[34:35]
	v_mov_b32_e32 v43, s37
	v_add_co_u32_e32 v42, vcc, s36, v4
	v_readlane_b32 s14, v78, 8
	v_addc_co_u32_e32 v43, vcc, 0, v43, vcc
	v_lshlrev_b64 v[52:53], 4, v[6:7]
	v_readlane_b32 s15, v78, 9
	s_and_saveexec_b64 s[34:35], s[14:15]
	s_cbranch_execz .LBB311_25
; %bb.24:                               ;   in Loop: Header=BB311_21 Depth=1
	v_add_co_u32_e32 v44, vcc, v66, v65
	v_addc_co_u32_e32 v45, vcc, 0, v67, vcc
	v_add_co_u32_e32 v44, vcc, s6, v44
	v_addc_co_u32_e32 v45, vcc, 0, v45, vcc
	v_add_co_u32_e32 v46, vcc, v63, v52
	v_addc_co_u32_e32 v47, vcc, v64, v53, vcc
	v_cndmask_b32_e64 v45, v47, v45, s[0:1]
	v_cndmask_b32_e64 v44, v46, v44, s[0:1]
	global_load_dwordx4 v[44:47], v[44:45], off
	v_add_co_u32_e32 v48, vcc, v58, v0
	v_addc_co_u32_e32 v49, vcc, 0, v59, vcc
	v_lshlrev_b64 v[50:51], 3, v[48:49]
	v_mov_b32_e32 v54, s55
	v_add_co_u32_e32 v50, vcc, s54, v50
	v_addc_co_u32_e32 v51, vcc, v54, v51, vcc
	v_lshlrev_b64 v[48:49], 4, v[48:49]
	global_store_dwordx2 v[50:51], v[42:43], off
	v_mov_b32_e32 v50, s57
	v_add_co_u32_e32 v48, vcc, s56, v48
	v_addc_co_u32_e32 v49, vcc, v50, v49, vcc
	s_waitcnt vmcnt(1)
	global_store_dwordx4 v[48:49], v[44:47], off
.LBB311_25:                             ;   in Loop: Header=BB311_21 Depth=1
	s_or_b64 exec, exec, s[34:35]
	v_mov_b32_e32 v45, s37
	v_add_co_u32_e32 v44, vcc, s36, v8
	v_readlane_b32 s14, v78, 10
	v_addc_co_u32_e32 v45, vcc, 0, v45, vcc
	v_readlane_b32 s15, v78, 11
	s_and_saveexec_b64 s[34:35], s[14:15]
	s_cbranch_execz .LBB311_27
; %bb.26:                               ;   in Loop: Header=BB311_21 Depth=1
	v_add_co_u32_e32 v46, vcc, v66, v65
	v_addc_co_u32_e32 v47, vcc, 0, v67, vcc
	v_add_co_u32_e32 v46, vcc, s7, v46
	v_addc_co_u32_e32 v47, vcc, 0, v47, vcc
	v_add_co_u32_e32 v48, vcc, v63, v28
	v_addc_co_u32_e32 v49, vcc, v64, v29, vcc
	v_cndmask_b32_e64 v47, v49, v47, s[0:1]
	v_cndmask_b32_e64 v46, v48, v46, s[0:1]
	global_load_dwordx4 v[46:49], v[46:47], off
	v_add_co_u32_e32 v50, vcc, v58, v0
	v_addc_co_u32_e32 v51, vcc, 0, v59, vcc
	v_lshlrev_b64 v[54:55], 3, v[50:51]
	v_mov_b32_e32 v56, s59
	v_add_co_u32_e32 v54, vcc, s58, v54
	v_addc_co_u32_e32 v55, vcc, v56, v55, vcc
	v_lshlrev_b64 v[50:51], 4, v[50:51]
	global_store_dwordx2 v[54:55], v[44:45], off
	v_mov_b32_e32 v54, s11
	v_add_co_u32_e32 v50, vcc, s10, v50
	v_addc_co_u32_e32 v51, vcc, v54, v51, vcc
	s_waitcnt vmcnt(1)
	global_store_dwordx4 v[50:51], v[46:49], off
.LBB311_27:                             ;   in Loop: Header=BB311_21 Depth=1
	s_or_b64 exec, exec, s[34:35]
	v_mov_b32_e32 v47, s37
	v_add_co_u32_e32 v46, vcc, s36, v10
	v_readlane_b32 s14, v78, 12
	v_addc_co_u32_e32 v47, vcc, 0, v47, vcc
	;; [unrolled: 32-line block ×6, first 2 shown]
	v_readlane_b32 s15, v78, 21
	s_and_saveexec_b64 s[34:35], s[14:15]
	s_cbranch_execz .LBB311_37
; %bb.36:                               ;   in Loop: Header=BB311_21 Depth=1
	v_add_co_u32_e32 v68, vcc, v66, v65
	v_addc_co_u32_e32 v69, vcc, 0, v67, vcc
	v_add_co_u32_e32 v68, vcc, s80, v68
	v_addc_co_u32_e32 v69, vcc, 0, v69, vcc
	;; [unrolled: 2-line block ×3, first 2 shown]
	v_cndmask_b32_e64 v69, v71, v69, s[0:1]
	v_cndmask_b32_e64 v68, v70, v68, s[0:1]
	global_load_dwordx4 v[68:71], v[68:69], off
	v_add_co_u32_e32 v58, vcc, v58, v0
	v_addc_co_u32_e32 v59, vcc, 0, v59, vcc
	v_lshlrev_b64 v[72:73], 3, v[58:59]
	v_mov_b32_e32 v74, s75
	v_add_co_u32_e32 v72, vcc, s74, v72
	v_addc_co_u32_e32 v73, vcc, v74, v73, vcc
	v_lshlrev_b64 v[58:59], 4, v[58:59]
	global_store_dwordx2 v[72:73], v[56:57], off
	v_mov_b32_e32 v72, s77
	v_add_co_u32_e32 v58, vcc, s76, v58
	v_addc_co_u32_e32 v59, vcc, v72, v59, vcc
	s_waitcnt vmcnt(1)
	global_store_dwordx4 v[58:59], v[68:71], off
.LBB311_37:                             ;   in Loop: Header=BB311_21 Depth=1
	s_or_b64 exec, exec, s[34:35]
	v_mov_b32_e32 v58, s82
	v_add_co_u32_e32 v68, vcc, s81, v22
	v_addc_co_u32_e32 v58, vcc, v23, v58, vcc
	v_mul_lo_u32 v70, v58, s40
	v_pk_mov_b32 v[58:59], s[46:47], s[46:47] op_sel:[0,1]
	v_mad_u64_u32 v[58:59], s[34:35], v68, s40, v[58:59]
	s_lshl_b64 s[34:35], s[52:53], 4
	v_mul_lo_u32 v69, v68, s41
	v_mov_b32_e32 v68, s35
	v_add_co_u32_e32 v66, vcc, s34, v66
	v_readlane_b32 s14, v78, 22
	v_add3_u32 v59, v70, v59, v69
	v_addc_co_u32_e32 v67, vcc, v67, v68, vcc
	v_readlane_b32 s15, v78, 23
	s_and_saveexec_b64 s[36:37], s[14:15]
	s_cbranch_execz .LBB311_39
; %bb.38:                               ;   in Loop: Header=BB311_21 Depth=1
	v_add_co_u32_e32 v68, vcc, v66, v65
	v_addc_co_u32_e32 v69, vcc, 0, v67, vcc
	v_add_co_u32_e32 v70, vcc, v63, v26
	v_addc_co_u32_e32 v71, vcc, v64, v27, vcc
	;; [unrolled: 2-line block ×3, first 2 shown]
	v_cndmask_b32_e64 v69, v71, v69, s[0:1]
	v_cndmask_b32_e64 v68, v70, v68, s[0:1]
	global_load_dwordx4 v[68:71], v[68:69], off
	v_add_co_u32_e32 v72, vcc, v58, v0
	v_addc_co_u32_e32 v73, vcc, 0, v59, vcc
	v_lshlrev_b64 v[74:75], 3, v[72:73]
	v_mov_b32_e32 v76, s5
	v_add_co_u32_e32 v74, vcc, s4, v74
	v_addc_co_u32_e32 v75, vcc, v76, v75, vcc
	v_lshlrev_b64 v[72:73], 4, v[72:73]
	global_store_dwordx2 v[74:75], v[40:41], off
	v_mov_b32_e32 v74, s49
	v_add_co_u32_e32 v72, vcc, s48, v72
	v_addc_co_u32_e32 v73, vcc, v74, v73, vcc
	s_waitcnt vmcnt(1)
	global_store_dwordx4 v[72:73], v[68:71], off
.LBB311_39:                             ;   in Loop: Header=BB311_21 Depth=1
	s_or_b64 exec, exec, s[36:37]
	v_readlane_b32 s14, v78, 24
	v_readlane_b32 s15, v78, 25
	s_and_saveexec_b64 s[36:37], s[14:15]
	s_cbranch_execz .LBB311_41
; %bb.40:                               ;   in Loop: Header=BB311_21 Depth=1
	v_add_co_u32_e32 v68, vcc, v66, v65
	v_addc_co_u32_e32 v69, vcc, 0, v67, vcc
	v_add_co_u32_e32 v70, vcc, v63, v52
	v_addc_co_u32_e32 v71, vcc, v64, v53, vcc
	v_cndmask_b32_e64 v69, v71, v69, s[0:1]
	v_cndmask_b32_e64 v68, v70, v68, s[0:1]
	global_load_dwordx4 v[68:71], v[68:69], off offset:512
	v_add_co_u32_e32 v72, vcc, v58, v0
	v_addc_co_u32_e32 v73, vcc, 0, v59, vcc
	v_lshlrev_b64 v[74:75], 3, v[72:73]
	v_mov_b32_e32 v76, s55
	v_add_co_u32_e32 v74, vcc, s54, v74
	v_addc_co_u32_e32 v75, vcc, v76, v75, vcc
	v_lshlrev_b64 v[72:73], 4, v[72:73]
	global_store_dwordx2 v[74:75], v[42:43], off
	v_mov_b32_e32 v74, s57
	v_add_co_u32_e32 v72, vcc, s56, v72
	v_addc_co_u32_e32 v73, vcc, v74, v73, vcc
	s_waitcnt vmcnt(1)
	global_store_dwordx4 v[72:73], v[68:71], off
.LBB311_41:                             ;   in Loop: Header=BB311_21 Depth=1
	s_or_b64 exec, exec, s[36:37]
	v_readlane_b32 s14, v78, 26
	v_readlane_b32 s15, v78, 27
	s_and_saveexec_b64 s[36:37], s[14:15]
	s_cbranch_execz .LBB311_43
; %bb.42:                               ;   in Loop: Header=BB311_21 Depth=1
	v_add_co_u32_e32 v68, vcc, v66, v65
	v_addc_co_u32_e32 v69, vcc, 0, v67, vcc
	v_add_co_u32_e32 v68, vcc, s7, v68
	v_addc_co_u32_e32 v69, vcc, 0, v69, vcc
	v_add_co_u32_e32 v70, vcc, v63, v28
	v_addc_co_u32_e32 v71, vcc, v64, v29, vcc
	v_add_co_u32_e32 v70, vcc, 0x200, v70
	v_addc_co_u32_e32 v71, vcc, 0, v71, vcc
	v_cndmask_b32_e64 v69, v71, v69, s[0:1]
	v_cndmask_b32_e64 v68, v70, v68, s[0:1]
	global_load_dwordx4 v[68:71], v[68:69], off
	v_add_co_u32_e32 v72, vcc, v58, v0
	v_addc_co_u32_e32 v73, vcc, 0, v59, vcc
	v_lshlrev_b64 v[74:75], 3, v[72:73]
	v_mov_b32_e32 v76, s59
	v_add_co_u32_e32 v74, vcc, s58, v74
	v_addc_co_u32_e32 v75, vcc, v76, v75, vcc
	v_lshlrev_b64 v[72:73], 4, v[72:73]
	global_store_dwordx2 v[74:75], v[44:45], off
	v_mov_b32_e32 v74, s11
	v_add_co_u32_e32 v72, vcc, s10, v72
	v_addc_co_u32_e32 v73, vcc, v74, v73, vcc
	s_waitcnt vmcnt(1)
	global_store_dwordx4 v[72:73], v[68:71], off
.LBB311_43:                             ;   in Loop: Header=BB311_21 Depth=1
	s_or_b64 exec, exec, s[36:37]
	v_readlane_b32 s14, v78, 28
	v_readlane_b32 s15, v78, 29
	s_and_saveexec_b64 s[36:37], s[14:15]
	s_cbranch_execz .LBB311_45
; %bb.44:                               ;   in Loop: Header=BB311_21 Depth=1
	v_add_co_u32_e32 v68, vcc, v66, v65
	v_addc_co_u32_e32 v69, vcc, 0, v67, vcc
	v_add_co_u32_e32 v68, vcc, s78, v68
	v_addc_co_u32_e32 v69, vcc, 0, v69, vcc
	v_add_co_u32_e32 v70, vcc, v63, v30
	v_addc_co_u32_e32 v71, vcc, v64, v31, vcc
	v_add_co_u32_e32 v70, vcc, 0x200, v70
	v_addc_co_u32_e32 v71, vcc, 0, v71, vcc
	v_cndmask_b32_e64 v69, v71, v69, s[0:1]
	v_cndmask_b32_e64 v68, v70, v68, s[0:1]
	global_load_dwordx4 v[68:71], v[68:69], off
	v_add_co_u32_e32 v72, vcc, v58, v0
	v_addc_co_u32_e32 v73, vcc, 0, v59, vcc
	v_lshlrev_b64 v[74:75], 3, v[72:73]
	v_mov_b32_e32 v76, s61
	v_add_co_u32_e32 v74, vcc, s60, v74
	v_addc_co_u32_e32 v75, vcc, v76, v75, vcc
	v_lshlrev_b64 v[72:73], 4, v[72:73]
	global_store_dwordx2 v[74:75], v[46:47], off
	v_mov_b32_e32 v74, s63
	v_add_co_u32_e32 v72, vcc, s62, v72
	v_addc_co_u32_e32 v73, vcc, v74, v73, vcc
	s_waitcnt vmcnt(1)
	global_store_dwordx4 v[72:73], v[68:71], off
.LBB311_45:                             ;   in Loop: Header=BB311_21 Depth=1
	;; [unrolled: 31-line block ×6, first 2 shown]
	s_or_b64 exec, exec, s[36:37]
	v_mov_b32_e32 v58, s82
	v_add_co_u32_e32 v68, vcc, s81, v1
	v_addc_co_u32_e32 v58, vcc, v3, v58, vcc
	v_mul_lo_u32 v70, v58, s40
	v_pk_mov_b32 v[58:59], s[46:47], s[46:47] op_sel:[0,1]
	v_mul_lo_u32 v69, v68, s41
	v_mad_u64_u32 v[58:59], s[36:37], v68, s40, v[58:59]
	v_mov_b32_e32 v68, s35
	v_add_co_u32_e32 v66, vcc, s34, v66
	v_readlane_b32 s14, v78, 38
	v_add3_u32 v59, v70, v59, v69
	v_addc_co_u32_e32 v67, vcc, v67, v68, vcc
	v_readlane_b32 s15, v78, 39
	s_and_saveexec_b64 s[36:37], s[14:15]
	s_cbranch_execz .LBB311_55
; %bb.54:                               ;   in Loop: Header=BB311_21 Depth=1
	v_add_co_u32_e32 v68, vcc, v66, v65
	v_addc_co_u32_e32 v69, vcc, 0, v67, vcc
	v_add_co_u32_e32 v70, vcc, v63, v26
	v_addc_co_u32_e32 v71, vcc, v64, v27, vcc
	;; [unrolled: 2-line block ×3, first 2 shown]
	v_cndmask_b32_e64 v69, v71, v69, s[0:1]
	v_cndmask_b32_e64 v68, v70, v68, s[0:1]
	global_load_dwordx4 v[68:71], v[68:69], off
	v_add_co_u32_e32 v72, vcc, v58, v0
	v_addc_co_u32_e32 v73, vcc, 0, v59, vcc
	v_lshlrev_b64 v[74:75], 3, v[72:73]
	v_mov_b32_e32 v76, s5
	v_add_co_u32_e32 v74, vcc, s4, v74
	v_addc_co_u32_e32 v75, vcc, v76, v75, vcc
	v_lshlrev_b64 v[72:73], 4, v[72:73]
	global_store_dwordx2 v[74:75], v[40:41], off
	v_mov_b32_e32 v74, s49
	v_add_co_u32_e32 v72, vcc, s48, v72
	v_addc_co_u32_e32 v73, vcc, v74, v73, vcc
	s_waitcnt vmcnt(1)
	global_store_dwordx4 v[72:73], v[68:71], off
.LBB311_55:                             ;   in Loop: Header=BB311_21 Depth=1
	s_or_b64 exec, exec, s[36:37]
	v_readlane_b32 s14, v78, 40
	v_readlane_b32 s15, v78, 41
	s_and_saveexec_b64 s[36:37], s[14:15]
	s_cbranch_execz .LBB311_57
; %bb.56:                               ;   in Loop: Header=BB311_21 Depth=1
	v_add_co_u32_e32 v68, vcc, v66, v65
	v_addc_co_u32_e32 v69, vcc, 0, v67, vcc
	v_add_co_u32_e32 v68, vcc, s6, v68
	v_addc_co_u32_e32 v69, vcc, 0, v69, vcc
	;; [unrolled: 2-line block ×4, first 2 shown]
	v_cndmask_b32_e64 v69, v71, v69, s[0:1]
	v_cndmask_b32_e64 v68, v70, v68, s[0:1]
	global_load_dwordx4 v[68:71], v[68:69], off
	v_add_co_u32_e32 v72, vcc, v58, v0
	v_addc_co_u32_e32 v73, vcc, 0, v59, vcc
	v_lshlrev_b64 v[74:75], 3, v[72:73]
	v_mov_b32_e32 v76, s55
	v_add_co_u32_e32 v74, vcc, s54, v74
	v_addc_co_u32_e32 v75, vcc, v76, v75, vcc
	v_lshlrev_b64 v[72:73], 4, v[72:73]
	global_store_dwordx2 v[74:75], v[42:43], off
	v_mov_b32_e32 v74, s57
	v_add_co_u32_e32 v72, vcc, s56, v72
	v_addc_co_u32_e32 v73, vcc, v74, v73, vcc
	s_waitcnt vmcnt(1)
	global_store_dwordx4 v[72:73], v[68:71], off
.LBB311_57:                             ;   in Loop: Header=BB311_21 Depth=1
	s_or_b64 exec, exec, s[36:37]
	v_readlane_b32 s14, v78, 42
	v_readlane_b32 s15, v78, 43
	s_and_saveexec_b64 s[36:37], s[14:15]
	s_cbranch_execz .LBB311_59
; %bb.58:                               ;   in Loop: Header=BB311_21 Depth=1
	v_add_co_u32_e32 v68, vcc, v66, v65
	v_addc_co_u32_e32 v69, vcc, 0, v67, vcc
	v_add_co_u32_e32 v70, vcc, v63, v28
	v_addc_co_u32_e32 v71, vcc, v64, v29, vcc
	v_cndmask_b32_e64 v69, v71, v69, s[0:1]
	v_cndmask_b32_e64 v68, v70, v68, s[0:1]
	global_load_dwordx4 v[68:71], v[68:69], off offset:1024
	v_add_co_u32_e32 v72, vcc, v58, v0
	v_addc_co_u32_e32 v73, vcc, 0, v59, vcc
	v_lshlrev_b64 v[74:75], 3, v[72:73]
	v_mov_b32_e32 v76, s59
	v_add_co_u32_e32 v74, vcc, s58, v74
	v_addc_co_u32_e32 v75, vcc, v76, v75, vcc
	v_lshlrev_b64 v[72:73], 4, v[72:73]
	global_store_dwordx2 v[74:75], v[44:45], off
	v_mov_b32_e32 v74, s11
	v_add_co_u32_e32 v72, vcc, s10, v72
	v_addc_co_u32_e32 v73, vcc, v74, v73, vcc
	s_waitcnt vmcnt(1)
	global_store_dwordx4 v[72:73], v[68:71], off
.LBB311_59:                             ;   in Loop: Header=BB311_21 Depth=1
	s_or_b64 exec, exec, s[36:37]
	v_readlane_b32 s14, v78, 44
	v_readlane_b32 s15, v78, 45
	s_and_saveexec_b64 s[36:37], s[14:15]
	s_cbranch_execz .LBB311_61
; %bb.60:                               ;   in Loop: Header=BB311_21 Depth=1
	v_add_co_u32_e32 v68, vcc, v66, v65
	v_addc_co_u32_e32 v69, vcc, 0, v67, vcc
	v_add_co_u32_e32 v68, vcc, s78, v68
	v_addc_co_u32_e32 v69, vcc, 0, v69, vcc
	v_add_co_u32_e32 v70, vcc, v63, v30
	v_addc_co_u32_e32 v71, vcc, v64, v31, vcc
	v_add_co_u32_e32 v70, vcc, 0x400, v70
	v_addc_co_u32_e32 v71, vcc, 0, v71, vcc
	v_cndmask_b32_e64 v69, v71, v69, s[0:1]
	v_cndmask_b32_e64 v68, v70, v68, s[0:1]
	global_load_dwordx4 v[68:71], v[68:69], off
	v_add_co_u32_e32 v72, vcc, v58, v0
	v_addc_co_u32_e32 v73, vcc, 0, v59, vcc
	v_lshlrev_b64 v[74:75], 3, v[72:73]
	v_mov_b32_e32 v76, s61
	v_add_co_u32_e32 v74, vcc, s60, v74
	v_addc_co_u32_e32 v75, vcc, v76, v75, vcc
	v_lshlrev_b64 v[72:73], 4, v[72:73]
	global_store_dwordx2 v[74:75], v[46:47], off
	v_mov_b32_e32 v74, s63
	v_add_co_u32_e32 v72, vcc, s62, v72
	v_addc_co_u32_e32 v73, vcc, v74, v73, vcc
	s_waitcnt vmcnt(1)
	global_store_dwordx4 v[72:73], v[68:71], off
.LBB311_61:                             ;   in Loop: Header=BB311_21 Depth=1
	s_or_b64 exec, exec, s[36:37]
	v_readlane_b32 s14, v78, 46
	v_readlane_b32 s15, v78, 47
	s_and_saveexec_b64 s[36:37], s[14:15]
	s_cbranch_execz .LBB311_63
; %bb.62:                               ;   in Loop: Header=BB311_21 Depth=1
	v_add_co_u32_e32 v68, vcc, v66, v65
	v_addc_co_u32_e32 v69, vcc, 0, v67, vcc
	v_add_co_u32_e32 v68, vcc, s79, v68
	v_addc_co_u32_e32 v69, vcc, 0, v69, vcc
	v_add_co_u32_e32 v70, vcc, v63, v32
	v_addc_co_u32_e32 v71, vcc, v64, v33, vcc
	v_add_co_u32_e32 v70, vcc, 0x400, v70
	v_addc_co_u32_e32 v71, vcc, 0, v71, vcc
	v_cndmask_b32_e64 v69, v71, v69, s[0:1]
	v_cndmask_b32_e64 v68, v70, v68, s[0:1]
	global_load_dwordx4 v[68:71], v[68:69], off
	v_add_co_u32_e32 v72, vcc, v58, v0
	v_addc_co_u32_e32 v73, vcc, 0, v59, vcc
	v_lshlrev_b64 v[74:75], 3, v[72:73]
	v_mov_b32_e32 v76, s65
	v_add_co_u32_e32 v74, vcc, s64, v74
	v_addc_co_u32_e32 v75, vcc, v76, v75, vcc
	v_lshlrev_b64 v[72:73], 4, v[72:73]
	global_store_dwordx2 v[74:75], v[48:49], off
	v_mov_b32_e32 v74, s67
	v_add_co_u32_e32 v72, vcc, s66, v72
	v_addc_co_u32_e32 v73, vcc, v74, v73, vcc
	s_waitcnt vmcnt(1)
	global_store_dwordx4 v[72:73], v[68:71], off
.LBB311_63:                             ;   in Loop: Header=BB311_21 Depth=1
	;; [unrolled: 31-line block ×5, first 2 shown]
	s_or_b64 exec, exec, s[36:37]
	v_mov_b32_e32 v58, s82
	v_add_co_u32_e32 v68, vcc, s81, v5
	v_addc_co_u32_e32 v58, vcc, v9, v58, vcc
	v_mul_lo_u32 v70, v58, s40
	v_pk_mov_b32 v[58:59], s[46:47], s[46:47] op_sel:[0,1]
	v_mul_lo_u32 v69, v68, s41
	v_mad_u64_u32 v[58:59], s[36:37], v68, s40, v[58:59]
	v_mov_b32_e32 v68, s35
	v_add_co_u32_e32 v66, vcc, s34, v66
	v_readlane_b32 s14, v78, 54
	v_add3_u32 v59, v70, v59, v69
	v_addc_co_u32_e32 v67, vcc, v67, v68, vcc
	v_readlane_b32 s15, v78, 55
	s_and_saveexec_b64 s[36:37], s[14:15]
	s_cbranch_execz .LBB311_71
; %bb.70:                               ;   in Loop: Header=BB311_21 Depth=1
	v_add_co_u32_e32 v68, vcc, v66, v65
	v_addc_co_u32_e32 v69, vcc, 0, v67, vcc
	v_add_co_u32_e32 v70, vcc, v63, v26
	v_addc_co_u32_e32 v71, vcc, v64, v27, vcc
	;; [unrolled: 2-line block ×3, first 2 shown]
	v_cndmask_b32_e64 v69, v71, v69, s[0:1]
	v_cndmask_b32_e64 v68, v70, v68, s[0:1]
	global_load_dwordx4 v[68:71], v[68:69], off
	v_add_co_u32_e32 v72, vcc, v58, v0
	v_addc_co_u32_e32 v73, vcc, 0, v59, vcc
	v_lshlrev_b64 v[74:75], 3, v[72:73]
	v_mov_b32_e32 v76, s5
	v_add_co_u32_e32 v74, vcc, s4, v74
	v_addc_co_u32_e32 v75, vcc, v76, v75, vcc
	v_lshlrev_b64 v[72:73], 4, v[72:73]
	global_store_dwordx2 v[74:75], v[40:41], off
	v_mov_b32_e32 v74, s49
	v_add_co_u32_e32 v72, vcc, s48, v72
	v_addc_co_u32_e32 v73, vcc, v74, v73, vcc
	s_waitcnt vmcnt(1)
	global_store_dwordx4 v[72:73], v[68:71], off
.LBB311_71:                             ;   in Loop: Header=BB311_21 Depth=1
	s_or_b64 exec, exec, s[36:37]
	v_readlane_b32 s14, v78, 56
	v_readlane_b32 s15, v78, 57
	s_and_saveexec_b64 s[36:37], s[14:15]
	s_cbranch_execz .LBB311_73
; %bb.72:                               ;   in Loop: Header=BB311_21 Depth=1
	v_add_co_u32_e32 v68, vcc, v66, v65
	v_addc_co_u32_e32 v69, vcc, 0, v67, vcc
	v_add_co_u32_e32 v68, vcc, s6, v68
	v_addc_co_u32_e32 v69, vcc, 0, v69, vcc
	;; [unrolled: 2-line block ×4, first 2 shown]
	v_cndmask_b32_e64 v69, v71, v69, s[0:1]
	v_cndmask_b32_e64 v68, v70, v68, s[0:1]
	global_load_dwordx4 v[68:71], v[68:69], off
	v_add_co_u32_e32 v72, vcc, v58, v0
	v_addc_co_u32_e32 v73, vcc, 0, v59, vcc
	v_lshlrev_b64 v[74:75], 3, v[72:73]
	v_mov_b32_e32 v76, s55
	v_add_co_u32_e32 v74, vcc, s54, v74
	v_addc_co_u32_e32 v75, vcc, v76, v75, vcc
	v_lshlrev_b64 v[72:73], 4, v[72:73]
	global_store_dwordx2 v[74:75], v[42:43], off
	v_mov_b32_e32 v74, s57
	v_add_co_u32_e32 v72, vcc, s56, v72
	v_addc_co_u32_e32 v73, vcc, v74, v73, vcc
	s_waitcnt vmcnt(1)
	global_store_dwordx4 v[72:73], v[68:71], off
.LBB311_73:                             ;   in Loop: Header=BB311_21 Depth=1
	s_or_b64 exec, exec, s[36:37]
	v_readlane_b32 s14, v78, 58
	v_readlane_b32 s15, v78, 59
	s_and_saveexec_b64 s[36:37], s[14:15]
	s_cbranch_execz .LBB311_75
; %bb.74:                               ;   in Loop: Header=BB311_21 Depth=1
	v_add_co_u32_e32 v68, vcc, v66, v65
	v_addc_co_u32_e32 v69, vcc, 0, v67, vcc
	v_add_co_u32_e32 v68, vcc, s7, v68
	v_addc_co_u32_e32 v69, vcc, 0, v69, vcc
	;; [unrolled: 2-line block ×4, first 2 shown]
	v_cndmask_b32_e64 v69, v71, v69, s[0:1]
	v_cndmask_b32_e64 v68, v70, v68, s[0:1]
	global_load_dwordx4 v[68:71], v[68:69], off
	v_add_co_u32_e32 v72, vcc, v58, v0
	v_addc_co_u32_e32 v73, vcc, 0, v59, vcc
	v_lshlrev_b64 v[74:75], 3, v[72:73]
	v_mov_b32_e32 v76, s59
	v_add_co_u32_e32 v74, vcc, s58, v74
	v_addc_co_u32_e32 v75, vcc, v76, v75, vcc
	v_lshlrev_b64 v[72:73], 4, v[72:73]
	global_store_dwordx2 v[74:75], v[44:45], off
	v_mov_b32_e32 v74, s11
	v_add_co_u32_e32 v72, vcc, s10, v72
	v_addc_co_u32_e32 v73, vcc, v74, v73, vcc
	s_waitcnt vmcnt(1)
	global_store_dwordx4 v[72:73], v[68:71], off
.LBB311_75:                             ;   in Loop: Header=BB311_21 Depth=1
	s_or_b64 exec, exec, s[36:37]
	v_readlane_b32 s14, v78, 60
	v_readlane_b32 s15, v78, 61
	s_and_saveexec_b64 s[36:37], s[14:15]
	s_cbranch_execz .LBB311_77
; %bb.76:                               ;   in Loop: Header=BB311_21 Depth=1
	v_add_co_u32_e32 v68, vcc, v66, v65
	v_addc_co_u32_e32 v69, vcc, 0, v67, vcc
	v_add_co_u32_e32 v70, vcc, v63, v30
	v_addc_co_u32_e32 v71, vcc, v64, v31, vcc
	v_cndmask_b32_e64 v69, v71, v69, s[0:1]
	v_cndmask_b32_e64 v68, v70, v68, s[0:1]
	global_load_dwordx4 v[68:71], v[68:69], off offset:1536
	v_add_co_u32_e32 v72, vcc, v58, v0
	v_addc_co_u32_e32 v73, vcc, 0, v59, vcc
	v_lshlrev_b64 v[74:75], 3, v[72:73]
	v_mov_b32_e32 v76, s61
	v_add_co_u32_e32 v74, vcc, s60, v74
	v_addc_co_u32_e32 v75, vcc, v76, v75, vcc
	v_lshlrev_b64 v[72:73], 4, v[72:73]
	global_store_dwordx2 v[74:75], v[46:47], off
	v_mov_b32_e32 v74, s63
	v_add_co_u32_e32 v72, vcc, s62, v72
	v_addc_co_u32_e32 v73, vcc, v74, v73, vcc
	s_waitcnt vmcnt(1)
	global_store_dwordx4 v[72:73], v[68:71], off
.LBB311_77:                             ;   in Loop: Header=BB311_21 Depth=1
	s_or_b64 exec, exec, s[36:37]
	v_readlane_b32 s14, v78, 62
	v_readlane_b32 s15, v78, 63
	s_and_saveexec_b64 s[36:37], s[14:15]
	s_cbranch_execz .LBB311_79
; %bb.78:                               ;   in Loop: Header=BB311_21 Depth=1
	v_add_co_u32_e32 v68, vcc, v66, v65
	v_addc_co_u32_e32 v69, vcc, 0, v67, vcc
	v_add_co_u32_e32 v68, vcc, s79, v68
	v_addc_co_u32_e32 v69, vcc, 0, v69, vcc
	v_add_co_u32_e32 v70, vcc, v63, v32
	v_addc_co_u32_e32 v71, vcc, v64, v33, vcc
	v_add_co_u32_e32 v70, vcc, 0x600, v70
	v_addc_co_u32_e32 v71, vcc, 0, v71, vcc
	v_cndmask_b32_e64 v69, v71, v69, s[0:1]
	v_cndmask_b32_e64 v68, v70, v68, s[0:1]
	global_load_dwordx4 v[68:71], v[68:69], off
	v_add_co_u32_e32 v72, vcc, v58, v0
	v_addc_co_u32_e32 v73, vcc, 0, v59, vcc
	v_lshlrev_b64 v[74:75], 3, v[72:73]
	v_mov_b32_e32 v76, s65
	v_add_co_u32_e32 v74, vcc, s64, v74
	v_addc_co_u32_e32 v75, vcc, v76, v75, vcc
	v_lshlrev_b64 v[72:73], 4, v[72:73]
	global_store_dwordx2 v[74:75], v[48:49], off
	v_mov_b32_e32 v74, s67
	v_add_co_u32_e32 v72, vcc, s66, v72
	v_addc_co_u32_e32 v73, vcc, v74, v73, vcc
	s_waitcnt vmcnt(1)
	global_store_dwordx4 v[72:73], v[68:71], off
.LBB311_79:                             ;   in Loop: Header=BB311_21 Depth=1
	s_or_b64 exec, exec, s[36:37]
	v_readlane_b32 s14, v77, 0
	v_readlane_b32 s15, v77, 1
	s_and_saveexec_b64 s[36:37], s[14:15]
	s_cbranch_execz .LBB311_81
; %bb.80:                               ;   in Loop: Header=BB311_21 Depth=1
	v_add_co_u32_e32 v68, vcc, v66, v65
	v_addc_co_u32_e32 v69, vcc, 0, v67, vcc
	v_add_co_u32_e32 v68, vcc, s2, v68
	v_addc_co_u32_e32 v69, vcc, 0, v69, vcc
	v_add_co_u32_e32 v70, vcc, v63, v34
	v_addc_co_u32_e32 v71, vcc, v64, v35, vcc
	v_add_co_u32_e32 v70, vcc, 0x600, v70
	v_addc_co_u32_e32 v71, vcc, 0, v71, vcc
	v_cndmask_b32_e64 v69, v71, v69, s[0:1]
	v_cndmask_b32_e64 v68, v70, v68, s[0:1]
	global_load_dwordx4 v[68:71], v[68:69], off
	v_add_co_u32_e32 v72, vcc, v58, v0
	v_addc_co_u32_e32 v73, vcc, 0, v59, vcc
	v_lshlrev_b64 v[74:75], 3, v[72:73]
	v_mov_b32_e32 v76, s69
	v_add_co_u32_e32 v74, vcc, s68, v74
	v_addc_co_u32_e32 v75, vcc, v76, v75, vcc
	v_lshlrev_b64 v[72:73], 4, v[72:73]
	global_store_dwordx2 v[74:75], v[50:51], off
	v_mov_b32_e32 v74, s71
	v_add_co_u32_e32 v72, vcc, s70, v72
	v_addc_co_u32_e32 v73, vcc, v74, v73, vcc
	s_waitcnt vmcnt(1)
	global_store_dwordx4 v[72:73], v[68:71], off
.LBB311_81:                             ;   in Loop: Header=BB311_21 Depth=1
	;; [unrolled: 31-line block ×4, first 2 shown]
	s_or_b64 exec, exec, s[36:37]
	v_mov_b32_e32 v58, s82
	v_add_co_u32_e32 v68, vcc, s81, v11
	v_addc_co_u32_e32 v58, vcc, v13, v58, vcc
	v_mul_lo_u32 v70, v58, s40
	v_pk_mov_b32 v[58:59], s[46:47], s[46:47] op_sel:[0,1]
	v_mul_lo_u32 v69, v68, s41
	v_mad_u64_u32 v[58:59], s[36:37], v68, s40, v[58:59]
	v_mov_b32_e32 v68, s35
	v_add_co_u32_e32 v66, vcc, s34, v66
	v_readlane_b32 s14, v77, 6
	v_add3_u32 v59, v70, v59, v69
	v_addc_co_u32_e32 v67, vcc, v67, v68, vcc
	v_readlane_b32 s15, v77, 7
	s_and_saveexec_b64 s[36:37], s[14:15]
	s_cbranch_execz .LBB311_87
; %bb.86:                               ;   in Loop: Header=BB311_21 Depth=1
	v_add_co_u32_e32 v68, vcc, v66, v65
	v_addc_co_u32_e32 v69, vcc, 0, v67, vcc
	v_add_co_u32_e32 v70, vcc, v63, v26
	v_addc_co_u32_e32 v71, vcc, v64, v27, vcc
	;; [unrolled: 2-line block ×3, first 2 shown]
	v_cndmask_b32_e64 v69, v71, v69, s[0:1]
	v_cndmask_b32_e64 v68, v70, v68, s[0:1]
	global_load_dwordx4 v[68:71], v[68:69], off
	v_add_co_u32_e32 v72, vcc, v58, v0
	v_addc_co_u32_e32 v73, vcc, 0, v59, vcc
	v_lshlrev_b64 v[74:75], 3, v[72:73]
	v_mov_b32_e32 v76, s5
	v_add_co_u32_e32 v74, vcc, s4, v74
	v_addc_co_u32_e32 v75, vcc, v76, v75, vcc
	v_lshlrev_b64 v[72:73], 4, v[72:73]
	global_store_dwordx2 v[74:75], v[40:41], off
	v_mov_b32_e32 v74, s49
	v_add_co_u32_e32 v72, vcc, s48, v72
	v_addc_co_u32_e32 v73, vcc, v74, v73, vcc
	s_waitcnt vmcnt(1)
	global_store_dwordx4 v[72:73], v[68:71], off
.LBB311_87:                             ;   in Loop: Header=BB311_21 Depth=1
	s_or_b64 exec, exec, s[36:37]
	v_readlane_b32 s14, v77, 8
	v_readlane_b32 s15, v77, 9
	s_and_saveexec_b64 s[36:37], s[14:15]
	s_cbranch_execz .LBB311_89
; %bb.88:                               ;   in Loop: Header=BB311_21 Depth=1
	v_add_co_u32_e32 v68, vcc, v66, v65
	v_addc_co_u32_e32 v69, vcc, 0, v67, vcc
	v_add_co_u32_e32 v68, vcc, s6, v68
	v_addc_co_u32_e32 v69, vcc, 0, v69, vcc
	v_add_co_u32_e32 v70, vcc, v63, v52
	v_addc_co_u32_e32 v71, vcc, v64, v53, vcc
	v_add_co_u32_e32 v70, vcc, 0x800, v70
	v_addc_co_u32_e32 v71, vcc, 0, v71, vcc
	v_cndmask_b32_e64 v69, v71, v69, s[0:1]
	v_cndmask_b32_e64 v68, v70, v68, s[0:1]
	global_load_dwordx4 v[68:71], v[68:69], off
	v_add_co_u32_e32 v72, vcc, v58, v0
	v_addc_co_u32_e32 v73, vcc, 0, v59, vcc
	v_lshlrev_b64 v[74:75], 3, v[72:73]
	v_mov_b32_e32 v76, s55
	v_add_co_u32_e32 v74, vcc, s54, v74
	v_addc_co_u32_e32 v75, vcc, v76, v75, vcc
	v_lshlrev_b64 v[72:73], 4, v[72:73]
	global_store_dwordx2 v[74:75], v[42:43], off
	v_mov_b32_e32 v74, s57
	v_add_co_u32_e32 v72, vcc, s56, v72
	v_addc_co_u32_e32 v73, vcc, v74, v73, vcc
	s_waitcnt vmcnt(1)
	global_store_dwordx4 v[72:73], v[68:71], off
.LBB311_89:                             ;   in Loop: Header=BB311_21 Depth=1
	s_or_b64 exec, exec, s[36:37]
	v_readlane_b32 s14, v77, 10
	v_readlane_b32 s15, v77, 11
	s_and_saveexec_b64 s[36:37], s[14:15]
	s_cbranch_execz .LBB311_91
; %bb.90:                               ;   in Loop: Header=BB311_21 Depth=1
	v_add_co_u32_e32 v68, vcc, v66, v65
	v_addc_co_u32_e32 v69, vcc, 0, v67, vcc
	v_add_co_u32_e32 v68, vcc, s7, v68
	v_addc_co_u32_e32 v69, vcc, 0, v69, vcc
	v_add_co_u32_e32 v70, vcc, v63, v28
	v_addc_co_u32_e32 v71, vcc, v64, v29, vcc
	v_add_co_u32_e32 v70, vcc, 0x800, v70
	v_addc_co_u32_e32 v71, vcc, 0, v71, vcc
	v_cndmask_b32_e64 v69, v71, v69, s[0:1]
	v_cndmask_b32_e64 v68, v70, v68, s[0:1]
	global_load_dwordx4 v[68:71], v[68:69], off
	v_add_co_u32_e32 v72, vcc, v58, v0
	v_addc_co_u32_e32 v73, vcc, 0, v59, vcc
	v_lshlrev_b64 v[74:75], 3, v[72:73]
	v_mov_b32_e32 v76, s59
	v_add_co_u32_e32 v74, vcc, s58, v74
	v_addc_co_u32_e32 v75, vcc, v76, v75, vcc
	v_lshlrev_b64 v[72:73], 4, v[72:73]
	global_store_dwordx2 v[74:75], v[44:45], off
	v_mov_b32_e32 v74, s11
	v_add_co_u32_e32 v72, vcc, s10, v72
	v_addc_co_u32_e32 v73, vcc, v74, v73, vcc
	s_waitcnt vmcnt(1)
	global_store_dwordx4 v[72:73], v[68:71], off
.LBB311_91:                             ;   in Loop: Header=BB311_21 Depth=1
	;; [unrolled: 31-line block ×3, first 2 shown]
	s_or_b64 exec, exec, s[36:37]
	v_readlane_b32 s14, v77, 14
	v_readlane_b32 s15, v77, 15
	s_and_saveexec_b64 s[36:37], s[14:15]
	s_cbranch_execz .LBB311_95
; %bb.94:                               ;   in Loop: Header=BB311_21 Depth=1
	v_add_co_u32_e32 v68, vcc, v66, v65
	v_addc_co_u32_e32 v69, vcc, 0, v67, vcc
	v_add_co_u32_e32 v70, vcc, v63, v32
	v_addc_co_u32_e32 v71, vcc, v64, v33, vcc
	v_cndmask_b32_e64 v69, v71, v69, s[0:1]
	v_cndmask_b32_e64 v68, v70, v68, s[0:1]
	global_load_dwordx4 v[68:71], v[68:69], off offset:2048
	v_add_co_u32_e32 v72, vcc, v58, v0
	v_addc_co_u32_e32 v73, vcc, 0, v59, vcc
	v_lshlrev_b64 v[74:75], 3, v[72:73]
	v_mov_b32_e32 v76, s65
	v_add_co_u32_e32 v74, vcc, s64, v74
	v_addc_co_u32_e32 v75, vcc, v76, v75, vcc
	v_lshlrev_b64 v[72:73], 4, v[72:73]
	global_store_dwordx2 v[74:75], v[48:49], off
	v_mov_b32_e32 v74, s67
	v_add_co_u32_e32 v72, vcc, s66, v72
	v_addc_co_u32_e32 v73, vcc, v74, v73, vcc
	s_waitcnt vmcnt(1)
	global_store_dwordx4 v[72:73], v[68:71], off
.LBB311_95:                             ;   in Loop: Header=BB311_21 Depth=1
	s_or_b64 exec, exec, s[36:37]
	v_readlane_b32 s14, v77, 16
	v_readlane_b32 s15, v77, 17
	s_and_saveexec_b64 s[36:37], s[14:15]
	s_cbranch_execz .LBB311_97
; %bb.96:                               ;   in Loop: Header=BB311_21 Depth=1
	v_add_co_u32_e32 v68, vcc, v66, v65
	v_addc_co_u32_e32 v69, vcc, 0, v67, vcc
	v_add_co_u32_e32 v68, vcc, s2, v68
	v_addc_co_u32_e32 v69, vcc, 0, v69, vcc
	;; [unrolled: 2-line block ×4, first 2 shown]
	v_cndmask_b32_e64 v69, v71, v69, s[0:1]
	v_cndmask_b32_e64 v68, v70, v68, s[0:1]
	global_load_dwordx4 v[68:71], v[68:69], off
	v_add_co_u32_e32 v72, vcc, v58, v0
	v_addc_co_u32_e32 v73, vcc, 0, v59, vcc
	v_lshlrev_b64 v[74:75], 3, v[72:73]
	v_mov_b32_e32 v76, s69
	v_add_co_u32_e32 v74, vcc, s68, v74
	v_addc_co_u32_e32 v75, vcc, v76, v75, vcc
	v_lshlrev_b64 v[72:73], 4, v[72:73]
	global_store_dwordx2 v[74:75], v[50:51], off
	v_mov_b32_e32 v74, s71
	v_add_co_u32_e32 v72, vcc, s70, v72
	v_addc_co_u32_e32 v73, vcc, v74, v73, vcc
	s_waitcnt vmcnt(1)
	global_store_dwordx4 v[72:73], v[68:71], off
.LBB311_97:                             ;   in Loop: Header=BB311_21 Depth=1
	s_or_b64 exec, exec, s[36:37]
	v_readlane_b32 s14, v77, 18
	v_readlane_b32 s15, v77, 19
	s_and_saveexec_b64 s[36:37], s[14:15]
	s_cbranch_execz .LBB311_99
; %bb.98:                               ;   in Loop: Header=BB311_21 Depth=1
	v_add_co_u32_e32 v68, vcc, v66, v65
	v_addc_co_u32_e32 v69, vcc, 0, v67, vcc
	v_add_co_u32_e32 v68, vcc, s3, v68
	v_addc_co_u32_e32 v69, vcc, 0, v69, vcc
	;; [unrolled: 2-line block ×4, first 2 shown]
	v_cndmask_b32_e64 v69, v71, v69, s[0:1]
	v_cndmask_b32_e64 v68, v70, v68, s[0:1]
	global_load_dwordx4 v[68:71], v[68:69], off
	v_add_co_u32_e32 v72, vcc, v58, v0
	v_addc_co_u32_e32 v73, vcc, 0, v59, vcc
	v_lshlrev_b64 v[74:75], 3, v[72:73]
	v_mov_b32_e32 v76, s73
	v_add_co_u32_e32 v74, vcc, s72, v74
	v_addc_co_u32_e32 v75, vcc, v76, v75, vcc
	v_lshlrev_b64 v[72:73], 4, v[72:73]
	global_store_dwordx2 v[74:75], v[54:55], off
	v_mov_b32_e32 v74, s13
	v_add_co_u32_e32 v72, vcc, s12, v72
	v_addc_co_u32_e32 v73, vcc, v74, v73, vcc
	s_waitcnt vmcnt(1)
	global_store_dwordx4 v[72:73], v[68:71], off
.LBB311_99:                             ;   in Loop: Header=BB311_21 Depth=1
	s_or_b64 exec, exec, s[36:37]
	v_readlane_b32 s14, v77, 20
	v_readlane_b32 s15, v77, 21
	s_and_saveexec_b64 s[36:37], s[14:15]
	s_cbranch_execz .LBB311_101
; %bb.100:                              ;   in Loop: Header=BB311_21 Depth=1
	v_add_co_u32_e32 v68, vcc, v66, v65
	v_addc_co_u32_e32 v69, vcc, 0, v67, vcc
	v_add_co_u32_e32 v68, vcc, s80, v68
	v_addc_co_u32_e32 v69, vcc, 0, v69, vcc
	;; [unrolled: 2-line block ×4, first 2 shown]
	v_cndmask_b32_e64 v69, v71, v69, s[0:1]
	v_cndmask_b32_e64 v68, v70, v68, s[0:1]
	global_load_dwordx4 v[68:71], v[68:69], off
	v_add_co_u32_e32 v58, vcc, v58, v0
	v_addc_co_u32_e32 v59, vcc, 0, v59, vcc
	v_lshlrev_b64 v[72:73], 3, v[58:59]
	v_mov_b32_e32 v74, s75
	v_add_co_u32_e32 v72, vcc, s74, v72
	v_addc_co_u32_e32 v73, vcc, v74, v73, vcc
	v_lshlrev_b64 v[58:59], 4, v[58:59]
	global_store_dwordx2 v[72:73], v[56:57], off
	v_mov_b32_e32 v72, s77
	v_add_co_u32_e32 v58, vcc, s76, v58
	v_addc_co_u32_e32 v59, vcc, v72, v59, vcc
	s_waitcnt vmcnt(1)
	global_store_dwordx4 v[58:59], v[68:71], off
.LBB311_101:                            ;   in Loop: Header=BB311_21 Depth=1
	s_or_b64 exec, exec, s[36:37]
	v_mov_b32_e32 v58, s82
	v_add_co_u32_e32 v68, vcc, s81, v15
	v_addc_co_u32_e32 v58, vcc, v17, v58, vcc
	v_mul_lo_u32 v70, v58, s40
	v_pk_mov_b32 v[58:59], s[46:47], s[46:47] op_sel:[0,1]
	v_mul_lo_u32 v69, v68, s41
	v_mad_u64_u32 v[58:59], s[36:37], v68, s40, v[58:59]
	v_mov_b32_e32 v68, s35
	v_add_co_u32_e32 v66, vcc, s34, v66
	v_readlane_b32 s14, v77, 22
	v_add3_u32 v59, v70, v59, v69
	v_addc_co_u32_e32 v67, vcc, v67, v68, vcc
	v_readlane_b32 s15, v77, 23
	s_and_saveexec_b64 s[36:37], s[14:15]
	s_cbranch_execz .LBB311_103
; %bb.102:                              ;   in Loop: Header=BB311_21 Depth=1
	v_add_co_u32_e32 v68, vcc, v66, v65
	v_addc_co_u32_e32 v69, vcc, 0, v67, vcc
	v_add_co_u32_e32 v70, vcc, v63, v26
	v_addc_co_u32_e32 v71, vcc, v64, v27, vcc
	;; [unrolled: 2-line block ×3, first 2 shown]
	v_cndmask_b32_e64 v69, v71, v69, s[0:1]
	v_cndmask_b32_e64 v68, v70, v68, s[0:1]
	global_load_dwordx4 v[68:71], v[68:69], off
	v_add_co_u32_e32 v72, vcc, v58, v0
	v_addc_co_u32_e32 v73, vcc, 0, v59, vcc
	v_lshlrev_b64 v[74:75], 3, v[72:73]
	v_mov_b32_e32 v76, s5
	v_add_co_u32_e32 v74, vcc, s4, v74
	v_addc_co_u32_e32 v75, vcc, v76, v75, vcc
	v_lshlrev_b64 v[72:73], 4, v[72:73]
	global_store_dwordx2 v[74:75], v[40:41], off
	v_mov_b32_e32 v74, s49
	v_add_co_u32_e32 v72, vcc, s48, v72
	v_addc_co_u32_e32 v73, vcc, v74, v73, vcc
	s_waitcnt vmcnt(1)
	global_store_dwordx4 v[72:73], v[68:71], off
.LBB311_103:                            ;   in Loop: Header=BB311_21 Depth=1
	s_or_b64 exec, exec, s[36:37]
	v_readlane_b32 s14, v77, 24
	v_readlane_b32 s15, v77, 25
	s_and_saveexec_b64 s[36:37], s[14:15]
	s_cbranch_execz .LBB311_105
; %bb.104:                              ;   in Loop: Header=BB311_21 Depth=1
	v_add_co_u32_e32 v68, vcc, v66, v65
	v_addc_co_u32_e32 v69, vcc, 0, v67, vcc
	v_add_co_u32_e32 v68, vcc, s6, v68
	v_addc_co_u32_e32 v69, vcc, 0, v69, vcc
	v_add_co_u32_e32 v70, vcc, v63, v52
	v_addc_co_u32_e32 v71, vcc, v64, v53, vcc
	v_add_co_u32_e32 v70, vcc, 0xa00, v70
	v_addc_co_u32_e32 v71, vcc, 0, v71, vcc
	v_cndmask_b32_e64 v69, v71, v69, s[0:1]
	v_cndmask_b32_e64 v68, v70, v68, s[0:1]
	global_load_dwordx4 v[68:71], v[68:69], off
	v_add_co_u32_e32 v72, vcc, v58, v0
	v_addc_co_u32_e32 v73, vcc, 0, v59, vcc
	v_lshlrev_b64 v[74:75], 3, v[72:73]
	v_mov_b32_e32 v76, s55
	v_add_co_u32_e32 v74, vcc, s54, v74
	v_addc_co_u32_e32 v75, vcc, v76, v75, vcc
	v_lshlrev_b64 v[72:73], 4, v[72:73]
	global_store_dwordx2 v[74:75], v[42:43], off
	v_mov_b32_e32 v74, s57
	v_add_co_u32_e32 v72, vcc, s56, v72
	v_addc_co_u32_e32 v73, vcc, v74, v73, vcc
	s_waitcnt vmcnt(1)
	global_store_dwordx4 v[72:73], v[68:71], off
.LBB311_105:                            ;   in Loop: Header=BB311_21 Depth=1
	s_or_b64 exec, exec, s[36:37]
	v_readlane_b32 s14, v77, 26
	v_readlane_b32 s15, v77, 27
	s_and_saveexec_b64 s[36:37], s[14:15]
	s_cbranch_execz .LBB311_107
; %bb.106:                              ;   in Loop: Header=BB311_21 Depth=1
	v_add_co_u32_e32 v68, vcc, v66, v65
	v_addc_co_u32_e32 v69, vcc, 0, v67, vcc
	v_add_co_u32_e32 v68, vcc, s7, v68
	v_addc_co_u32_e32 v69, vcc, 0, v69, vcc
	v_add_co_u32_e32 v70, vcc, v63, v28
	v_addc_co_u32_e32 v71, vcc, v64, v29, vcc
	v_add_co_u32_e32 v70, vcc, 0xa00, v70
	v_addc_co_u32_e32 v71, vcc, 0, v71, vcc
	v_cndmask_b32_e64 v69, v71, v69, s[0:1]
	v_cndmask_b32_e64 v68, v70, v68, s[0:1]
	global_load_dwordx4 v[68:71], v[68:69], off
	v_add_co_u32_e32 v72, vcc, v58, v0
	v_addc_co_u32_e32 v73, vcc, 0, v59, vcc
	v_lshlrev_b64 v[74:75], 3, v[72:73]
	v_mov_b32_e32 v76, s59
	v_add_co_u32_e32 v74, vcc, s58, v74
	v_addc_co_u32_e32 v75, vcc, v76, v75, vcc
	v_lshlrev_b64 v[72:73], 4, v[72:73]
	global_store_dwordx2 v[74:75], v[44:45], off
	v_mov_b32_e32 v74, s11
	v_add_co_u32_e32 v72, vcc, s10, v72
	v_addc_co_u32_e32 v73, vcc, v74, v73, vcc
	s_waitcnt vmcnt(1)
	global_store_dwordx4 v[72:73], v[68:71], off
.LBB311_107:                            ;   in Loop: Header=BB311_21 Depth=1
	;; [unrolled: 31-line block ×4, first 2 shown]
	s_or_b64 exec, exec, s[36:37]
	v_readlane_b32 s14, v77, 32
	v_readlane_b32 s15, v77, 33
	s_and_saveexec_b64 s[36:37], s[14:15]
	s_cbranch_execz .LBB311_113
; %bb.112:                              ;   in Loop: Header=BB311_21 Depth=1
	v_add_co_u32_e32 v68, vcc, v66, v65
	v_addc_co_u32_e32 v69, vcc, 0, v67, vcc
	v_add_co_u32_e32 v70, vcc, v63, v34
	v_addc_co_u32_e32 v71, vcc, v64, v35, vcc
	v_cndmask_b32_e64 v69, v71, v69, s[0:1]
	v_cndmask_b32_e64 v68, v70, v68, s[0:1]
	global_load_dwordx4 v[68:71], v[68:69], off offset:2560
	v_add_co_u32_e32 v72, vcc, v58, v0
	v_addc_co_u32_e32 v73, vcc, 0, v59, vcc
	v_lshlrev_b64 v[74:75], 3, v[72:73]
	v_mov_b32_e32 v76, s69
	v_add_co_u32_e32 v74, vcc, s68, v74
	v_addc_co_u32_e32 v75, vcc, v76, v75, vcc
	v_lshlrev_b64 v[72:73], 4, v[72:73]
	global_store_dwordx2 v[74:75], v[50:51], off
	v_mov_b32_e32 v74, s71
	v_add_co_u32_e32 v72, vcc, s70, v72
	v_addc_co_u32_e32 v73, vcc, v74, v73, vcc
	s_waitcnt vmcnt(1)
	global_store_dwordx4 v[72:73], v[68:71], off
.LBB311_113:                            ;   in Loop: Header=BB311_21 Depth=1
	s_or_b64 exec, exec, s[36:37]
	v_readlane_b32 s14, v77, 34
	v_readlane_b32 s15, v77, 35
	s_and_saveexec_b64 s[36:37], s[14:15]
	s_cbranch_execz .LBB311_115
; %bb.114:                              ;   in Loop: Header=BB311_21 Depth=1
	v_add_co_u32_e32 v68, vcc, v66, v65
	v_addc_co_u32_e32 v69, vcc, 0, v67, vcc
	v_add_co_u32_e32 v68, vcc, s3, v68
	v_addc_co_u32_e32 v69, vcc, 0, v69, vcc
	v_add_co_u32_e32 v70, vcc, v63, v36
	v_addc_co_u32_e32 v71, vcc, v64, v37, vcc
	v_add_co_u32_e32 v70, vcc, 0xa00, v70
	v_addc_co_u32_e32 v71, vcc, 0, v71, vcc
	v_cndmask_b32_e64 v69, v71, v69, s[0:1]
	v_cndmask_b32_e64 v68, v70, v68, s[0:1]
	global_load_dwordx4 v[68:71], v[68:69], off
	v_add_co_u32_e32 v72, vcc, v58, v0
	v_addc_co_u32_e32 v73, vcc, 0, v59, vcc
	v_lshlrev_b64 v[74:75], 3, v[72:73]
	v_mov_b32_e32 v76, s73
	v_add_co_u32_e32 v74, vcc, s72, v74
	v_addc_co_u32_e32 v75, vcc, v76, v75, vcc
	v_lshlrev_b64 v[72:73], 4, v[72:73]
	global_store_dwordx2 v[74:75], v[54:55], off
	v_mov_b32_e32 v74, s13
	v_add_co_u32_e32 v72, vcc, s12, v72
	v_addc_co_u32_e32 v73, vcc, v74, v73, vcc
	s_waitcnt vmcnt(1)
	global_store_dwordx4 v[72:73], v[68:71], off
.LBB311_115:                            ;   in Loop: Header=BB311_21 Depth=1
	s_or_b64 exec, exec, s[36:37]
	v_readlane_b32 s14, v77, 36
	v_readlane_b32 s15, v77, 37
	s_and_saveexec_b64 s[36:37], s[14:15]
	s_cbranch_execz .LBB311_117
; %bb.116:                              ;   in Loop: Header=BB311_21 Depth=1
	v_add_co_u32_e32 v68, vcc, v66, v65
	v_addc_co_u32_e32 v69, vcc, 0, v67, vcc
	v_add_co_u32_e32 v68, vcc, s80, v68
	v_addc_co_u32_e32 v69, vcc, 0, v69, vcc
	;; [unrolled: 2-line block ×4, first 2 shown]
	v_cndmask_b32_e64 v69, v71, v69, s[0:1]
	v_cndmask_b32_e64 v68, v70, v68, s[0:1]
	global_load_dwordx4 v[68:71], v[68:69], off
	v_add_co_u32_e32 v58, vcc, v58, v0
	v_addc_co_u32_e32 v59, vcc, 0, v59, vcc
	v_lshlrev_b64 v[72:73], 3, v[58:59]
	v_mov_b32_e32 v74, s75
	v_add_co_u32_e32 v72, vcc, s74, v72
	v_addc_co_u32_e32 v73, vcc, v74, v73, vcc
	v_lshlrev_b64 v[58:59], 4, v[58:59]
	global_store_dwordx2 v[72:73], v[56:57], off
	v_mov_b32_e32 v72, s77
	v_add_co_u32_e32 v58, vcc, s76, v58
	v_addc_co_u32_e32 v59, vcc, v72, v59, vcc
	s_waitcnt vmcnt(1)
	global_store_dwordx4 v[58:59], v[68:71], off
.LBB311_117:                            ;   in Loop: Header=BB311_21 Depth=1
	s_or_b64 exec, exec, s[36:37]
	v_mov_b32_e32 v58, s82
	v_add_co_u32_e32 v68, vcc, s81, v19
	v_addc_co_u32_e32 v58, vcc, v60, v58, vcc
	v_mul_lo_u32 v70, v58, s40
	v_pk_mov_b32 v[58:59], s[46:47], s[46:47] op_sel:[0,1]
	v_mul_lo_u32 v69, v68, s41
	v_mad_u64_u32 v[58:59], s[36:37], v68, s40, v[58:59]
	v_mov_b32_e32 v68, s35
	v_add_co_u32_e32 v66, vcc, s34, v66
	v_add3_u32 v59, v70, v59, v69
	v_addc_co_u32_e32 v67, vcc, v67, v68, vcc
	s_and_saveexec_b64 s[36:37], s[84:85]
	s_cbranch_execnz .LBB311_134
; %bb.118:                              ;   in Loop: Header=BB311_21 Depth=1
	s_or_b64 exec, exec, s[36:37]
	s_and_saveexec_b64 s[36:37], s[86:87]
	s_cbranch_execnz .LBB311_135
.LBB311_119:                            ;   in Loop: Header=BB311_21 Depth=1
	s_or_b64 exec, exec, s[36:37]
	s_and_saveexec_b64 s[36:37], s[88:89]
	s_cbranch_execnz .LBB311_136
.LBB311_120:                            ;   in Loop: Header=BB311_21 Depth=1
	s_or_b64 exec, exec, s[36:37]
	s_and_saveexec_b64 s[36:37], s[90:91]
	s_cbranch_execnz .LBB311_137
.LBB311_121:                            ;   in Loop: Header=BB311_21 Depth=1
	s_or_b64 exec, exec, s[36:37]
	s_and_saveexec_b64 s[36:37], s[92:93]
	s_cbranch_execnz .LBB311_138
.LBB311_122:                            ;   in Loop: Header=BB311_21 Depth=1
	s_or_b64 exec, exec, s[36:37]
	s_and_saveexec_b64 s[36:37], s[8:9]
	s_cbranch_execnz .LBB311_139
.LBB311_123:                            ;   in Loop: Header=BB311_21 Depth=1
	s_or_b64 exec, exec, s[36:37]
	s_and_saveexec_b64 s[36:37], s[94:95]
	s_cbranch_execnz .LBB311_140
.LBB311_124:                            ;   in Loop: Header=BB311_21 Depth=1
	s_or_b64 exec, exec, s[36:37]
	s_and_saveexec_b64 s[36:37], s[16:17]
	s_cbranch_execz .LBB311_126
.LBB311_125:                            ;   in Loop: Header=BB311_21 Depth=1
	v_add_co_u32_e32 v68, vcc, v66, v65
	v_addc_co_u32_e32 v69, vcc, 0, v67, vcc
	v_add_co_u32_e32 v68, vcc, s80, v68
	v_addc_co_u32_e32 v69, vcc, 0, v69, vcc
	;; [unrolled: 2-line block ×4, first 2 shown]
	v_cndmask_b32_e64 v69, v71, v69, s[0:1]
	v_cndmask_b32_e64 v68, v70, v68, s[0:1]
	global_load_dwordx4 v[68:71], v[68:69], off
	v_add_co_u32_e32 v58, vcc, v58, v0
	v_addc_co_u32_e32 v59, vcc, 0, v59, vcc
	v_lshlrev_b64 v[72:73], 3, v[58:59]
	v_mov_b32_e32 v74, s75
	v_add_co_u32_e32 v72, vcc, s74, v72
	v_addc_co_u32_e32 v73, vcc, v74, v73, vcc
	v_lshlrev_b64 v[58:59], 4, v[58:59]
	global_store_dwordx2 v[72:73], v[56:57], off
	v_mov_b32_e32 v72, s77
	v_add_co_u32_e32 v58, vcc, s76, v58
	v_addc_co_u32_e32 v59, vcc, v72, v59, vcc
	s_waitcnt vmcnt(1)
	global_store_dwordx4 v[58:59], v[68:71], off
.LBB311_126:                            ;   in Loop: Header=BB311_21 Depth=1
	s_or_b64 exec, exec, s[36:37]
	v_mov_b32_e32 v58, s82
	v_add_co_u32_e32 v68, vcc, s81, v61
	v_addc_co_u32_e32 v58, vcc, v62, v58, vcc
	v_mul_lo_u32 v70, v58, s40
	v_pk_mov_b32 v[58:59], s[46:47], s[46:47] op_sel:[0,1]
	v_mul_lo_u32 v69, v68, s41
	v_mad_u64_u32 v[58:59], s[36:37], v68, s40, v[58:59]
	v_mov_b32_e32 v68, s35
	v_add_co_u32_e32 v66, vcc, s34, v66
	v_add3_u32 v59, v70, v59, v69
	v_addc_co_u32_e32 v67, vcc, v67, v68, vcc
	s_and_saveexec_b64 s[34:35], s[38:39]
	s_cbranch_execnz .LBB311_141
; %bb.127:                              ;   in Loop: Header=BB311_21 Depth=1
	s_or_b64 exec, exec, s[34:35]
	s_and_saveexec_b64 s[34:35], s[20:21]
	s_cbranch_execnz .LBB311_142
.LBB311_128:                            ;   in Loop: Header=BB311_21 Depth=1
	s_or_b64 exec, exec, s[34:35]
	s_and_saveexec_b64 s[34:35], s[22:23]
	s_cbranch_execnz .LBB311_143
.LBB311_129:                            ;   in Loop: Header=BB311_21 Depth=1
	s_or_b64 exec, exec, s[34:35]
	s_and_saveexec_b64 s[34:35], s[24:25]
	s_cbranch_execnz .LBB311_144
.LBB311_130:                            ;   in Loop: Header=BB311_21 Depth=1
	s_or_b64 exec, exec, s[34:35]
	s_and_saveexec_b64 s[34:35], s[26:27]
	s_cbranch_execnz .LBB311_145
.LBB311_131:                            ;   in Loop: Header=BB311_21 Depth=1
	s_or_b64 exec, exec, s[34:35]
	s_and_saveexec_b64 s[34:35], s[28:29]
	s_cbranch_execnz .LBB311_146
.LBB311_132:                            ;   in Loop: Header=BB311_21 Depth=1
	s_or_b64 exec, exec, s[34:35]
	s_and_saveexec_b64 s[34:35], s[30:31]
	s_cbranch_execnz .LBB311_147
.LBB311_133:                            ;   in Loop: Header=BB311_21 Depth=1
	s_or_b64 exec, exec, s[34:35]
	s_and_saveexec_b64 s[34:35], s[18:19]
	s_cbranch_execz .LBB311_20
	s_branch .LBB311_148
.LBB311_134:                            ;   in Loop: Header=BB311_21 Depth=1
	v_add_co_u32_e32 v68, vcc, v66, v65
	v_addc_co_u32_e32 v69, vcc, 0, v67, vcc
	v_add_co_u32_e32 v70, vcc, v63, v26
	v_addc_co_u32_e32 v71, vcc, v64, v27, vcc
	;; [unrolled: 2-line block ×3, first 2 shown]
	v_cndmask_b32_e64 v69, v71, v69, s[0:1]
	v_cndmask_b32_e64 v68, v70, v68, s[0:1]
	global_load_dwordx4 v[68:71], v[68:69], off
	v_add_co_u32_e32 v72, vcc, v58, v0
	v_addc_co_u32_e32 v73, vcc, 0, v59, vcc
	v_lshlrev_b64 v[74:75], 3, v[72:73]
	v_mov_b32_e32 v76, s5
	v_add_co_u32_e32 v74, vcc, s4, v74
	v_addc_co_u32_e32 v75, vcc, v76, v75, vcc
	v_lshlrev_b64 v[72:73], 4, v[72:73]
	global_store_dwordx2 v[74:75], v[40:41], off
	v_mov_b32_e32 v74, s49
	v_add_co_u32_e32 v72, vcc, s48, v72
	v_addc_co_u32_e32 v73, vcc, v74, v73, vcc
	s_waitcnt vmcnt(1)
	global_store_dwordx4 v[72:73], v[68:71], off
	s_or_b64 exec, exec, s[36:37]
	s_and_saveexec_b64 s[36:37], s[86:87]
	s_cbranch_execz .LBB311_119
.LBB311_135:                            ;   in Loop: Header=BB311_21 Depth=1
	v_add_co_u32_e32 v68, vcc, v66, v65
	v_addc_co_u32_e32 v69, vcc, 0, v67, vcc
	v_add_co_u32_e32 v68, vcc, s6, v68
	v_addc_co_u32_e32 v69, vcc, 0, v69, vcc
	;; [unrolled: 2-line block ×4, first 2 shown]
	v_cndmask_b32_e64 v69, v71, v69, s[0:1]
	v_cndmask_b32_e64 v68, v70, v68, s[0:1]
	global_load_dwordx4 v[68:71], v[68:69], off
	v_add_co_u32_e32 v72, vcc, v58, v0
	v_addc_co_u32_e32 v73, vcc, 0, v59, vcc
	v_lshlrev_b64 v[74:75], 3, v[72:73]
	v_mov_b32_e32 v76, s55
	v_add_co_u32_e32 v74, vcc, s54, v74
	v_addc_co_u32_e32 v75, vcc, v76, v75, vcc
	v_lshlrev_b64 v[72:73], 4, v[72:73]
	global_store_dwordx2 v[74:75], v[42:43], off
	v_mov_b32_e32 v74, s57
	v_add_co_u32_e32 v72, vcc, s56, v72
	v_addc_co_u32_e32 v73, vcc, v74, v73, vcc
	s_waitcnt vmcnt(1)
	global_store_dwordx4 v[72:73], v[68:71], off
	s_or_b64 exec, exec, s[36:37]
	s_and_saveexec_b64 s[36:37], s[88:89]
	s_cbranch_execz .LBB311_120
.LBB311_136:                            ;   in Loop: Header=BB311_21 Depth=1
	v_add_co_u32_e32 v68, vcc, v66, v65
	v_addc_co_u32_e32 v69, vcc, 0, v67, vcc
	v_add_co_u32_e32 v68, vcc, s7, v68
	v_addc_co_u32_e32 v69, vcc, 0, v69, vcc
	;; [unrolled: 2-line block ×4, first 2 shown]
	v_cndmask_b32_e64 v69, v71, v69, s[0:1]
	v_cndmask_b32_e64 v68, v70, v68, s[0:1]
	global_load_dwordx4 v[68:71], v[68:69], off
	v_add_co_u32_e32 v72, vcc, v58, v0
	v_addc_co_u32_e32 v73, vcc, 0, v59, vcc
	v_lshlrev_b64 v[74:75], 3, v[72:73]
	v_mov_b32_e32 v76, s59
	v_add_co_u32_e32 v74, vcc, s58, v74
	v_addc_co_u32_e32 v75, vcc, v76, v75, vcc
	v_lshlrev_b64 v[72:73], 4, v[72:73]
	global_store_dwordx2 v[74:75], v[44:45], off
	v_mov_b32_e32 v74, s11
	v_add_co_u32_e32 v72, vcc, s10, v72
	v_addc_co_u32_e32 v73, vcc, v74, v73, vcc
	s_waitcnt vmcnt(1)
	global_store_dwordx4 v[72:73], v[68:71], off
	s_or_b64 exec, exec, s[36:37]
	s_and_saveexec_b64 s[36:37], s[90:91]
	s_cbranch_execz .LBB311_121
.LBB311_137:                            ;   in Loop: Header=BB311_21 Depth=1
	v_add_co_u32_e32 v68, vcc, v66, v65
	v_addc_co_u32_e32 v69, vcc, 0, v67, vcc
	v_add_co_u32_e32 v68, vcc, s78, v68
	v_addc_co_u32_e32 v69, vcc, 0, v69, vcc
	v_add_co_u32_e32 v70, vcc, v63, v30
	v_addc_co_u32_e32 v71, vcc, v64, v31, vcc
	v_add_co_u32_e32 v70, vcc, 0xc00, v70
	v_addc_co_u32_e32 v71, vcc, 0, v71, vcc
	v_cndmask_b32_e64 v69, v71, v69, s[0:1]
	v_cndmask_b32_e64 v68, v70, v68, s[0:1]
	global_load_dwordx4 v[68:71], v[68:69], off
	v_add_co_u32_e32 v72, vcc, v58, v0
	v_addc_co_u32_e32 v73, vcc, 0, v59, vcc
	v_lshlrev_b64 v[74:75], 3, v[72:73]
	v_mov_b32_e32 v76, s61
	v_add_co_u32_e32 v74, vcc, s60, v74
	v_addc_co_u32_e32 v75, vcc, v76, v75, vcc
	v_lshlrev_b64 v[72:73], 4, v[72:73]
	global_store_dwordx2 v[74:75], v[46:47], off
	v_mov_b32_e32 v74, s63
	v_add_co_u32_e32 v72, vcc, s62, v72
	v_addc_co_u32_e32 v73, vcc, v74, v73, vcc
	s_waitcnt vmcnt(1)
	global_store_dwordx4 v[72:73], v[68:71], off
	s_or_b64 exec, exec, s[36:37]
	s_and_saveexec_b64 s[36:37], s[92:93]
	s_cbranch_execz .LBB311_122
.LBB311_138:                            ;   in Loop: Header=BB311_21 Depth=1
	v_add_co_u32_e32 v68, vcc, v66, v65
	v_addc_co_u32_e32 v69, vcc, 0, v67, vcc
	v_add_co_u32_e32 v68, vcc, s79, v68
	v_addc_co_u32_e32 v69, vcc, 0, v69, vcc
	;; [unrolled: 2-line block ×4, first 2 shown]
	v_cndmask_b32_e64 v69, v71, v69, s[0:1]
	v_cndmask_b32_e64 v68, v70, v68, s[0:1]
	global_load_dwordx4 v[68:71], v[68:69], off
	v_add_co_u32_e32 v72, vcc, v58, v0
	v_addc_co_u32_e32 v73, vcc, 0, v59, vcc
	v_lshlrev_b64 v[74:75], 3, v[72:73]
	v_mov_b32_e32 v76, s65
	v_add_co_u32_e32 v74, vcc, s64, v74
	v_addc_co_u32_e32 v75, vcc, v76, v75, vcc
	v_lshlrev_b64 v[72:73], 4, v[72:73]
	global_store_dwordx2 v[74:75], v[48:49], off
	v_mov_b32_e32 v74, s67
	v_add_co_u32_e32 v72, vcc, s66, v72
	v_addc_co_u32_e32 v73, vcc, v74, v73, vcc
	s_waitcnt vmcnt(1)
	global_store_dwordx4 v[72:73], v[68:71], off
	s_or_b64 exec, exec, s[36:37]
	s_and_saveexec_b64 s[36:37], s[8:9]
	s_cbranch_execz .LBB311_123
.LBB311_139:                            ;   in Loop: Header=BB311_21 Depth=1
	v_add_co_u32_e32 v68, vcc, v66, v65
	v_addc_co_u32_e32 v69, vcc, 0, v67, vcc
	v_add_co_u32_e32 v68, vcc, s2, v68
	v_addc_co_u32_e32 v69, vcc, 0, v69, vcc
	;; [unrolled: 2-line block ×4, first 2 shown]
	v_cndmask_b32_e64 v69, v71, v69, s[0:1]
	v_cndmask_b32_e64 v68, v70, v68, s[0:1]
	global_load_dwordx4 v[68:71], v[68:69], off
	v_add_co_u32_e32 v72, vcc, v58, v0
	v_addc_co_u32_e32 v73, vcc, 0, v59, vcc
	v_lshlrev_b64 v[74:75], 3, v[72:73]
	v_mov_b32_e32 v76, s69
	v_add_co_u32_e32 v74, vcc, s68, v74
	v_addc_co_u32_e32 v75, vcc, v76, v75, vcc
	v_lshlrev_b64 v[72:73], 4, v[72:73]
	global_store_dwordx2 v[74:75], v[50:51], off
	v_mov_b32_e32 v74, s71
	v_add_co_u32_e32 v72, vcc, s70, v72
	v_addc_co_u32_e32 v73, vcc, v74, v73, vcc
	s_waitcnt vmcnt(1)
	global_store_dwordx4 v[72:73], v[68:71], off
	s_or_b64 exec, exec, s[36:37]
	s_and_saveexec_b64 s[36:37], s[94:95]
	s_cbranch_execz .LBB311_124
.LBB311_140:                            ;   in Loop: Header=BB311_21 Depth=1
	v_add_co_u32_e32 v68, vcc, v66, v65
	v_addc_co_u32_e32 v69, vcc, 0, v67, vcc
	v_add_co_u32_e32 v70, vcc, v63, v36
	v_addc_co_u32_e32 v71, vcc, v64, v37, vcc
	v_cndmask_b32_e64 v69, v71, v69, s[0:1]
	v_cndmask_b32_e64 v68, v70, v68, s[0:1]
	global_load_dwordx4 v[68:71], v[68:69], off offset:3072
	v_add_co_u32_e32 v72, vcc, v58, v0
	v_addc_co_u32_e32 v73, vcc, 0, v59, vcc
	v_lshlrev_b64 v[74:75], 3, v[72:73]
	v_mov_b32_e32 v76, s73
	v_add_co_u32_e32 v74, vcc, s72, v74
	v_addc_co_u32_e32 v75, vcc, v76, v75, vcc
	v_lshlrev_b64 v[72:73], 4, v[72:73]
	global_store_dwordx2 v[74:75], v[54:55], off
	v_mov_b32_e32 v74, s13
	v_add_co_u32_e32 v72, vcc, s12, v72
	v_addc_co_u32_e32 v73, vcc, v74, v73, vcc
	s_waitcnt vmcnt(1)
	global_store_dwordx4 v[72:73], v[68:71], off
	s_or_b64 exec, exec, s[36:37]
	s_and_saveexec_b64 s[36:37], s[16:17]
	s_cbranch_execnz .LBB311_125
	s_branch .LBB311_126
.LBB311_141:                            ;   in Loop: Header=BB311_21 Depth=1
	v_add_co_u32_e32 v68, vcc, v66, v65
	v_addc_co_u32_e32 v69, vcc, 0, v67, vcc
	v_add_co_u32_e32 v70, vcc, v63, v26
	v_addc_co_u32_e32 v71, vcc, v64, v27, vcc
	;; [unrolled: 2-line block ×3, first 2 shown]
	v_cndmask_b32_e64 v69, v71, v69, s[0:1]
	v_cndmask_b32_e64 v68, v70, v68, s[0:1]
	global_load_dwordx4 v[68:71], v[68:69], off
	v_add_co_u32_e32 v72, vcc, v58, v0
	v_addc_co_u32_e32 v73, vcc, 0, v59, vcc
	v_lshlrev_b64 v[74:75], 3, v[72:73]
	v_mov_b32_e32 v76, s5
	v_add_co_u32_e32 v74, vcc, s4, v74
	v_addc_co_u32_e32 v75, vcc, v76, v75, vcc
	global_store_dwordx2 v[74:75], v[40:41], off
	v_lshlrev_b64 v[40:41], 4, v[72:73]
	v_mov_b32_e32 v72, s49
	v_add_co_u32_e32 v40, vcc, s48, v40
	v_addc_co_u32_e32 v41, vcc, v72, v41, vcc
	s_waitcnt vmcnt(1)
	global_store_dwordx4 v[40:41], v[68:71], off
	s_or_b64 exec, exec, s[34:35]
	s_and_saveexec_b64 s[34:35], s[20:21]
	s_cbranch_execz .LBB311_128
.LBB311_142:                            ;   in Loop: Header=BB311_21 Depth=1
	v_add_co_u32_e32 v40, vcc, v66, v65
	v_addc_co_u32_e32 v41, vcc, 0, v67, vcc
	v_add_co_u32_e32 v40, vcc, s6, v40
	v_addc_co_u32_e32 v41, vcc, 0, v41, vcc
	;; [unrolled: 2-line block ×4, first 2 shown]
	v_cndmask_b32_e64 v41, v53, v41, s[0:1]
	v_cndmask_b32_e64 v40, v52, v40, s[0:1]
	global_load_dwordx4 v[68:71], v[40:41], off
	v_add_co_u32_e32 v40, vcc, v58, v0
	v_addc_co_u32_e32 v41, vcc, 0, v59, vcc
	v_lshlrev_b64 v[52:53], 3, v[40:41]
	v_mov_b32_e32 v72, s55
	v_add_co_u32_e32 v52, vcc, s54, v52
	v_addc_co_u32_e32 v53, vcc, v72, v53, vcc
	v_lshlrev_b64 v[40:41], 4, v[40:41]
	global_store_dwordx2 v[52:53], v[42:43], off
	v_mov_b32_e32 v42, s57
	v_add_co_u32_e32 v40, vcc, s56, v40
	v_addc_co_u32_e32 v41, vcc, v42, v41, vcc
	s_waitcnt vmcnt(1)
	global_store_dwordx4 v[40:41], v[68:71], off
	s_or_b64 exec, exec, s[34:35]
	s_and_saveexec_b64 s[34:35], s[22:23]
	s_cbranch_execz .LBB311_129
.LBB311_143:                            ;   in Loop: Header=BB311_21 Depth=1
	v_add_co_u32_e32 v40, vcc, v66, v65
	v_addc_co_u32_e32 v41, vcc, 0, v67, vcc
	v_add_co_u32_e32 v40, vcc, s7, v40
	v_addc_co_u32_e32 v41, vcc, 0, v41, vcc
	;; [unrolled: 2-line block ×4, first 2 shown]
	v_cndmask_b32_e64 v41, v43, v41, s[0:1]
	v_cndmask_b32_e64 v40, v42, v40, s[0:1]
	global_load_dwordx4 v[40:43], v[40:41], off
	v_add_co_u32_e32 v52, vcc, v58, v0
	v_addc_co_u32_e32 v53, vcc, 0, v59, vcc
	v_lshlrev_b64 v[68:69], 3, v[52:53]
	v_mov_b32_e32 v70, s59
	v_add_co_u32_e32 v68, vcc, s58, v68
	v_addc_co_u32_e32 v69, vcc, v70, v69, vcc
	global_store_dwordx2 v[68:69], v[44:45], off
	v_lshlrev_b64 v[44:45], 4, v[52:53]
	v_mov_b32_e32 v52, s11
	v_add_co_u32_e32 v44, vcc, s10, v44
	v_addc_co_u32_e32 v45, vcc, v52, v45, vcc
	s_waitcnt vmcnt(1)
	global_store_dwordx4 v[44:45], v[40:43], off
	s_or_b64 exec, exec, s[34:35]
	s_and_saveexec_b64 s[34:35], s[24:25]
	s_cbranch_execz .LBB311_130
.LBB311_144:                            ;   in Loop: Header=BB311_21 Depth=1
	v_add_co_u32_e32 v40, vcc, v66, v65
	v_addc_co_u32_e32 v41, vcc, 0, v67, vcc
	v_add_co_u32_e32 v40, vcc, s78, v40
	v_addc_co_u32_e32 v41, vcc, 0, v41, vcc
	;; [unrolled: 2-line block ×4, first 2 shown]
	v_cndmask_b32_e64 v41, v43, v41, s[0:1]
	v_cndmask_b32_e64 v40, v42, v40, s[0:1]
	global_load_dwordx4 v[40:43], v[40:41], off
	v_add_co_u32_e32 v44, vcc, v58, v0
	v_addc_co_u32_e32 v45, vcc, 0, v59, vcc
	v_lshlrev_b64 v[52:53], 3, v[44:45]
	v_mov_b32_e32 v68, s61
	v_add_co_u32_e32 v52, vcc, s60, v52
	v_addc_co_u32_e32 v53, vcc, v68, v53, vcc
	v_lshlrev_b64 v[44:45], 4, v[44:45]
	global_store_dwordx2 v[52:53], v[46:47], off
	v_mov_b32_e32 v46, s63
	v_add_co_u32_e32 v44, vcc, s62, v44
	v_addc_co_u32_e32 v45, vcc, v46, v45, vcc
	s_waitcnt vmcnt(1)
	global_store_dwordx4 v[44:45], v[40:43], off
	s_or_b64 exec, exec, s[34:35]
	s_and_saveexec_b64 s[34:35], s[26:27]
	s_cbranch_execz .LBB311_131
.LBB311_145:                            ;   in Loop: Header=BB311_21 Depth=1
	v_add_co_u32_e32 v40, vcc, v66, v65
	v_addc_co_u32_e32 v41, vcc, 0, v67, vcc
	v_add_co_u32_e32 v40, vcc, s79, v40
	v_addc_co_u32_e32 v41, vcc, 0, v41, vcc
	;; [unrolled: 2-line block ×4, first 2 shown]
	v_cndmask_b32_e64 v41, v43, v41, s[0:1]
	v_cndmask_b32_e64 v40, v42, v40, s[0:1]
	global_load_dwordx4 v[40:43], v[40:41], off
	v_add_co_u32_e32 v44, vcc, v58, v0
	v_addc_co_u32_e32 v45, vcc, 0, v59, vcc
	v_lshlrev_b64 v[46:47], 3, v[44:45]
	v_mov_b32_e32 v52, s65
	v_add_co_u32_e32 v46, vcc, s64, v46
	v_addc_co_u32_e32 v47, vcc, v52, v47, vcc
	v_lshlrev_b64 v[44:45], 4, v[44:45]
	global_store_dwordx2 v[46:47], v[48:49], off
	v_mov_b32_e32 v46, s67
	v_add_co_u32_e32 v44, vcc, s66, v44
	v_addc_co_u32_e32 v45, vcc, v46, v45, vcc
	s_waitcnt vmcnt(1)
	global_store_dwordx4 v[44:45], v[40:43], off
	s_or_b64 exec, exec, s[34:35]
	s_and_saveexec_b64 s[34:35], s[28:29]
	s_cbranch_execz .LBB311_132
.LBB311_146:                            ;   in Loop: Header=BB311_21 Depth=1
	v_add_co_u32_e32 v40, vcc, v66, v65
	v_addc_co_u32_e32 v41, vcc, 0, v67, vcc
	v_add_co_u32_e32 v40, vcc, s2, v40
	v_addc_co_u32_e32 v41, vcc, 0, v41, vcc
	;; [unrolled: 2-line block ×4, first 2 shown]
	v_cndmask_b32_e64 v41, v43, v41, s[0:1]
	v_cndmask_b32_e64 v40, v42, v40, s[0:1]
	global_load_dwordx4 v[40:43], v[40:41], off
	v_add_co_u32_e32 v44, vcc, v58, v0
	v_addc_co_u32_e32 v45, vcc, 0, v59, vcc
	v_lshlrev_b64 v[46:47], 3, v[44:45]
	v_mov_b32_e32 v48, s69
	v_add_co_u32_e32 v46, vcc, s68, v46
	v_addc_co_u32_e32 v47, vcc, v48, v47, vcc
	v_lshlrev_b64 v[44:45], 4, v[44:45]
	global_store_dwordx2 v[46:47], v[50:51], off
	v_mov_b32_e32 v46, s71
	v_add_co_u32_e32 v44, vcc, s70, v44
	v_addc_co_u32_e32 v45, vcc, v46, v45, vcc
	s_waitcnt vmcnt(1)
	global_store_dwordx4 v[44:45], v[40:43], off
	s_or_b64 exec, exec, s[34:35]
	s_and_saveexec_b64 s[34:35], s[30:31]
	s_cbranch_execz .LBB311_133
.LBB311_147:                            ;   in Loop: Header=BB311_21 Depth=1
	v_add_co_u32_e32 v40, vcc, v66, v65
	v_addc_co_u32_e32 v41, vcc, 0, v67, vcc
	v_add_co_u32_e32 v40, vcc, s3, v40
	v_addc_co_u32_e32 v41, vcc, 0, v41, vcc
	;; [unrolled: 2-line block ×4, first 2 shown]
	v_cndmask_b32_e64 v41, v43, v41, s[0:1]
	v_cndmask_b32_e64 v40, v42, v40, s[0:1]
	global_load_dwordx4 v[40:43], v[40:41], off
	v_add_co_u32_e32 v44, vcc, v58, v0
	v_addc_co_u32_e32 v45, vcc, 0, v59, vcc
	v_lshlrev_b64 v[46:47], 3, v[44:45]
	v_mov_b32_e32 v48, s73
	v_add_co_u32_e32 v46, vcc, s72, v46
	v_addc_co_u32_e32 v47, vcc, v48, v47, vcc
	v_lshlrev_b64 v[44:45], 4, v[44:45]
	global_store_dwordx2 v[46:47], v[54:55], off
	v_mov_b32_e32 v46, s13
	v_add_co_u32_e32 v44, vcc, s12, v44
	v_addc_co_u32_e32 v45, vcc, v46, v45, vcc
	s_waitcnt vmcnt(1)
	global_store_dwordx4 v[44:45], v[40:43], off
	s_or_b64 exec, exec, s[34:35]
	s_and_saveexec_b64 s[34:35], s[18:19]
	s_cbranch_execz .LBB311_20
.LBB311_148:                            ;   in Loop: Header=BB311_21 Depth=1
	v_add_co_u32_e32 v40, vcc, v66, v65
	v_addc_co_u32_e32 v41, vcc, 0, v67, vcc
	v_add_co_u32_e32 v42, vcc, v63, v38
	v_addc_co_u32_e32 v43, vcc, v64, v39, vcc
	v_cndmask_b32_e64 v41, v43, v41, s[0:1]
	v_cndmask_b32_e64 v40, v42, v40, s[0:1]
	global_load_dwordx4 v[40:43], v[40:41], off offset:3584
	v_add_co_u32_e32 v44, vcc, v58, v0
	v_addc_co_u32_e32 v45, vcc, 0, v59, vcc
	v_lshlrev_b64 v[46:47], 3, v[44:45]
	v_mov_b32_e32 v48, s75
	v_add_co_u32_e32 v46, vcc, s74, v46
	v_addc_co_u32_e32 v47, vcc, v48, v47, vcc
	v_lshlrev_b64 v[44:45], 4, v[44:45]
	global_store_dwordx2 v[46:47], v[56:57], off
	v_mov_b32_e32 v46, s77
	v_add_co_u32_e32 v44, vcc, s76, v44
	v_addc_co_u32_e32 v45, vcc, v46, v45, vcc
	s_waitcnt vmcnt(1)
	global_store_dwordx4 v[44:45], v[40:43], off
	s_branch .LBB311_20
.LBB311_149:
	s_endpgm
	.section	.rodata,"a",@progbits
	.p2align	6, 0x0
	.amdhsa_kernel _ZN9rocsparseL35bsr2csr_block_per_row_33_256_kernelILj1024ELj256ELj32E21rocsparse_complex_numIdEllEEv20rocsparse_direction_T4_S4_21rocsparse_index_base_PKT2_PKT3_PKS4_S4_S5_PS6_PS9_PS4_
		.amdhsa_group_segment_fixed_size 0
		.amdhsa_private_segment_fixed_size 0
		.amdhsa_kernarg_size 96
		.amdhsa_user_sgpr_count 6
		.amdhsa_user_sgpr_private_segment_buffer 1
		.amdhsa_user_sgpr_dispatch_ptr 0
		.amdhsa_user_sgpr_queue_ptr 0
		.amdhsa_user_sgpr_kernarg_segment_ptr 1
		.amdhsa_user_sgpr_dispatch_id 0
		.amdhsa_user_sgpr_flat_scratch_init 0
		.amdhsa_user_sgpr_kernarg_preload_length 0
		.amdhsa_user_sgpr_kernarg_preload_offset 0
		.amdhsa_user_sgpr_private_segment_size 0
		.amdhsa_uses_dynamic_stack 0
		.amdhsa_system_sgpr_private_segment_wavefront_offset 0
		.amdhsa_system_sgpr_workgroup_id_x 1
		.amdhsa_system_sgpr_workgroup_id_y 0
		.amdhsa_system_sgpr_workgroup_id_z 0
		.amdhsa_system_sgpr_workgroup_info 0
		.amdhsa_system_vgpr_workitem_id 0
		.amdhsa_next_free_vgpr 79
		.amdhsa_next_free_sgpr 96
		.amdhsa_accum_offset 80
		.amdhsa_reserve_vcc 1
		.amdhsa_reserve_flat_scratch 0
		.amdhsa_float_round_mode_32 0
		.amdhsa_float_round_mode_16_64 0
		.amdhsa_float_denorm_mode_32 3
		.amdhsa_float_denorm_mode_16_64 3
		.amdhsa_dx10_clamp 1
		.amdhsa_ieee_mode 1
		.amdhsa_fp16_overflow 0
		.amdhsa_tg_split 0
		.amdhsa_exception_fp_ieee_invalid_op 0
		.amdhsa_exception_fp_denorm_src 0
		.amdhsa_exception_fp_ieee_div_zero 0
		.amdhsa_exception_fp_ieee_overflow 0
		.amdhsa_exception_fp_ieee_underflow 0
		.amdhsa_exception_fp_ieee_inexact 0
		.amdhsa_exception_int_div_zero 0
	.end_amdhsa_kernel
	.section	.text._ZN9rocsparseL35bsr2csr_block_per_row_33_256_kernelILj1024ELj256ELj32E21rocsparse_complex_numIdEllEEv20rocsparse_direction_T4_S4_21rocsparse_index_base_PKT2_PKT3_PKS4_S4_S5_PS6_PS9_PS4_,"axG",@progbits,_ZN9rocsparseL35bsr2csr_block_per_row_33_256_kernelILj1024ELj256ELj32E21rocsparse_complex_numIdEllEEv20rocsparse_direction_T4_S4_21rocsparse_index_base_PKT2_PKT3_PKS4_S4_S5_PS6_PS9_PS4_,comdat
.Lfunc_end311:
	.size	_ZN9rocsparseL35bsr2csr_block_per_row_33_256_kernelILj1024ELj256ELj32E21rocsparse_complex_numIdEllEEv20rocsparse_direction_T4_S4_21rocsparse_index_base_PKT2_PKT3_PKS4_S4_S5_PS6_PS9_PS4_, .Lfunc_end311-_ZN9rocsparseL35bsr2csr_block_per_row_33_256_kernelILj1024ELj256ELj32E21rocsparse_complex_numIdEllEEv20rocsparse_direction_T4_S4_21rocsparse_index_base_PKT2_PKT3_PKS4_S4_S5_PS6_PS9_PS4_
                                        ; -- End function
	.section	.AMDGPU.csdata,"",@progbits
; Kernel info:
; codeLenInByte = 13216
; NumSgprs: 100
; NumVgprs: 79
; NumAgprs: 0
; TotalNumVgprs: 79
; ScratchSize: 0
; MemoryBound: 0
; FloatMode: 240
; IeeeMode: 1
; LDSByteSize: 0 bytes/workgroup (compile time only)
; SGPRBlocks: 12
; VGPRBlocks: 9
; NumSGPRsForWavesPerEU: 100
; NumVGPRsForWavesPerEU: 79
; AccumOffset: 80
; Occupancy: 6
; WaveLimiterHint : 1
; COMPUTE_PGM_RSRC2:SCRATCH_EN: 0
; COMPUTE_PGM_RSRC2:USER_SGPR: 6
; COMPUTE_PGM_RSRC2:TRAP_HANDLER: 0
; COMPUTE_PGM_RSRC2:TGID_X_EN: 1
; COMPUTE_PGM_RSRC2:TGID_Y_EN: 0
; COMPUTE_PGM_RSRC2:TGID_Z_EN: 0
; COMPUTE_PGM_RSRC2:TIDIG_COMP_CNT: 0
; COMPUTE_PGM_RSRC3_GFX90A:ACCUM_OFFSET: 19
; COMPUTE_PGM_RSRC3_GFX90A:TG_SPLIT: 0
	.text
	.p2alignl 6, 3212836864
	.fill 256, 4, 3212836864
	.type	__hip_cuid_a853858b44550b8e,@object ; @__hip_cuid_a853858b44550b8e
	.section	.bss,"aw",@nobits
	.globl	__hip_cuid_a853858b44550b8e
__hip_cuid_a853858b44550b8e:
	.byte	0                               ; 0x0
	.size	__hip_cuid_a853858b44550b8e, 1

	.ident	"AMD clang version 19.0.0git (https://github.com/RadeonOpenCompute/llvm-project roc-6.4.0 25133 c7fe45cf4b819c5991fe208aaa96edf142730f1d)"
	.section	".note.GNU-stack","",@progbits
	.addrsig
	.addrsig_sym __hip_cuid_a853858b44550b8e
	.amdgpu_metadata
---
amdhsa.kernels:
  - .agpr_count:     0
    .args:
      - .offset:         0
        .size:           4
        .value_kind:     by_value
      - .offset:         4
        .size:           4
        .value_kind:     by_value
      - .offset:         8
        .size:           4
        .value_kind:     by_value
      - .actual_access:  read_only
        .address_space:  global
        .offset:         16
        .size:           8
        .value_kind:     global_buffer
      - .actual_access:  read_only
        .address_space:  global
        .offset:         24
        .size:           8
        .value_kind:     global_buffer
      - .actual_access:  read_only
        .address_space:  global
        .offset:         32
        .size:           8
        .value_kind:     global_buffer
      - .offset:         40
        .size:           4
        .value_kind:     by_value
      - .actual_access:  write_only
        .address_space:  global
        .offset:         48
        .size:           8
        .value_kind:     global_buffer
      - .actual_access:  write_only
        .address_space:  global
        .offset:         56
        .size:           8
        .value_kind:     global_buffer
      - .actual_access:  write_only
        .address_space:  global
        .offset:         64
        .size:           8
        .value_kind:     global_buffer
      - .offset:         72
        .size:           4
        .value_kind:     hidden_block_count_x
      - .offset:         76
        .size:           4
        .value_kind:     hidden_block_count_y
      - .offset:         80
        .size:           4
        .value_kind:     hidden_block_count_z
      - .offset:         84
        .size:           2
        .value_kind:     hidden_group_size_x
      - .offset:         86
        .size:           2
        .value_kind:     hidden_group_size_y
      - .offset:         88
        .size:           2
        .value_kind:     hidden_group_size_z
      - .offset:         90
        .size:           2
        .value_kind:     hidden_remainder_x
      - .offset:         92
        .size:           2
        .value_kind:     hidden_remainder_y
      - .offset:         94
        .size:           2
        .value_kind:     hidden_remainder_z
      - .offset:         112
        .size:           8
        .value_kind:     hidden_global_offset_x
      - .offset:         120
        .size:           8
        .value_kind:     hidden_global_offset_y
      - .offset:         128
        .size:           8
        .value_kind:     hidden_global_offset_z
      - .offset:         136
        .size:           2
        .value_kind:     hidden_grid_dims
    .group_segment_fixed_size: 0
    .kernarg_segment_align: 8
    .kernarg_segment_size: 328
    .language:       OpenCL C
    .language_version:
      - 2
      - 0
    .max_flat_workgroup_size: 1024
    .name:           _ZN9rocsparseL35bsr2csr_block_dim_equals_one_kernelILj1024EiiiEEvT2_S1_21rocsparse_index_base_PKT0_PKT1_PKS1_S2_PS3_PS6_PS1_
    .private_segment_fixed_size: 0
    .sgpr_count:     27
    .sgpr_spill_count: 0
    .symbol:         _ZN9rocsparseL35bsr2csr_block_dim_equals_one_kernelILj1024EiiiEEvT2_S1_21rocsparse_index_base_PKT0_PKT1_PKS1_S2_PS3_PS6_PS1_.kd
    .uniform_work_group_size: 1
    .uses_dynamic_stack: false
    .vgpr_count:     11
    .vgpr_spill_count: 0
    .wavefront_size: 64
  - .agpr_count:     0
    .args:
      - .offset:         0
        .size:           4
        .value_kind:     by_value
      - .offset:         4
        .size:           4
        .value_kind:     by_value
      - .offset:         8
        .size:           4
        .value_kind:     by_value
      - .offset:         12
        .size:           4
        .value_kind:     by_value
      - .actual_access:  read_only
        .address_space:  global
        .offset:         16
        .size:           8
        .value_kind:     global_buffer
      - .actual_access:  read_only
        .address_space:  global
        .offset:         24
        .size:           8
        .value_kind:     global_buffer
      - .actual_access:  read_only
        .address_space:  global
        .offset:         32
        .size:           8
        .value_kind:     global_buffer
      - .offset:         40
        .size:           4
        .value_kind:     by_value
      - .offset:         44
        .size:           4
        .value_kind:     by_value
      - .actual_access:  write_only
        .address_space:  global
        .offset:         48
        .size:           8
        .value_kind:     global_buffer
      - .actual_access:  write_only
        .address_space:  global
        .offset:         56
        .size:           8
        .value_kind:     global_buffer
      - .actual_access:  write_only
        .address_space:  global
        .offset:         64
        .size:           8
        .value_kind:     global_buffer
    .group_segment_fixed_size: 0
    .kernarg_segment_align: 8
    .kernarg_segment_size: 72
    .language:       OpenCL C
    .language_version:
      - 2
      - 0
    .max_flat_workgroup_size: 256
    .name:           _ZN9rocsparseL32bsr2csr_block_per_row_2_7_kernelILj256ELj2EiiiEEv20rocsparse_direction_T3_S2_21rocsparse_index_base_PKT1_PKT2_PKS2_S2_S3_PS4_PS7_PS2_
    .private_segment_fixed_size: 0
    .sgpr_count:     36
    .sgpr_spill_count: 0
    .symbol:         _ZN9rocsparseL32bsr2csr_block_per_row_2_7_kernelILj256ELj2EiiiEEv20rocsparse_direction_T3_S2_21rocsparse_index_base_PKT1_PKT2_PKS2_S2_S3_PS4_PS7_PS2_.kd
    .uniform_work_group_size: 1
    .uses_dynamic_stack: false
    .vgpr_count:     40
    .vgpr_spill_count: 0
    .wavefront_size: 64
  - .agpr_count:     0
    .args:
      - .offset:         0
        .size:           4
        .value_kind:     by_value
      - .offset:         4
        .size:           4
        .value_kind:     by_value
      - .offset:         8
        .size:           4
        .value_kind:     by_value
      - .offset:         12
        .size:           4
        .value_kind:     by_value
      - .actual_access:  read_only
        .address_space:  global
        .offset:         16
        .size:           8
        .value_kind:     global_buffer
      - .actual_access:  read_only
        .address_space:  global
        .offset:         24
        .size:           8
        .value_kind:     global_buffer
      - .actual_access:  read_only
        .address_space:  global
        .offset:         32
        .size:           8
        .value_kind:     global_buffer
      - .offset:         40
        .size:           4
        .value_kind:     by_value
      - .offset:         44
        .size:           4
        .value_kind:     by_value
      - .actual_access:  write_only
        .address_space:  global
        .offset:         48
        .size:           8
        .value_kind:     global_buffer
      - .actual_access:  write_only
        .address_space:  global
        .offset:         56
        .size:           8
        .value_kind:     global_buffer
      - .actual_access:  write_only
        .address_space:  global
        .offset:         64
        .size:           8
        .value_kind:     global_buffer
    .group_segment_fixed_size: 0
    .kernarg_segment_align: 8
    .kernarg_segment_size: 72
    .language:       OpenCL C
    .language_version:
      - 2
      - 0
    .max_flat_workgroup_size: 256
    .name:           _ZN9rocsparseL32bsr2csr_block_per_row_2_7_kernelILj256ELj3EiiiEEv20rocsparse_direction_T3_S2_21rocsparse_index_base_PKT1_PKT2_PKS2_S2_S3_PS4_PS7_PS2_
    .private_segment_fixed_size: 0
    .sgpr_count:     20
    .sgpr_spill_count: 0
    .symbol:         _ZN9rocsparseL32bsr2csr_block_per_row_2_7_kernelILj256ELj3EiiiEEv20rocsparse_direction_T3_S2_21rocsparse_index_base_PKT1_PKT2_PKS2_S2_S3_PS4_PS7_PS2_.kd
    .uniform_work_group_size: 1
    .uses_dynamic_stack: false
    .vgpr_count:     26
    .vgpr_spill_count: 0
    .wavefront_size: 64
  - .agpr_count:     0
    .args:
      - .offset:         0
        .size:           4
        .value_kind:     by_value
      - .offset:         4
        .size:           4
        .value_kind:     by_value
      - .offset:         8
        .size:           4
        .value_kind:     by_value
      - .offset:         12
        .size:           4
        .value_kind:     by_value
      - .actual_access:  read_only
        .address_space:  global
        .offset:         16
        .size:           8
        .value_kind:     global_buffer
      - .actual_access:  read_only
        .address_space:  global
        .offset:         24
        .size:           8
        .value_kind:     global_buffer
      - .actual_access:  read_only
        .address_space:  global
        .offset:         32
        .size:           8
        .value_kind:     global_buffer
      - .offset:         40
        .size:           4
        .value_kind:     by_value
      - .offset:         44
        .size:           4
        .value_kind:     by_value
      - .actual_access:  write_only
        .address_space:  global
        .offset:         48
        .size:           8
        .value_kind:     global_buffer
      - .actual_access:  write_only
        .address_space:  global
        .offset:         56
        .size:           8
        .value_kind:     global_buffer
      - .actual_access:  write_only
        .address_space:  global
        .offset:         64
        .size:           8
        .value_kind:     global_buffer
    .group_segment_fixed_size: 0
    .kernarg_segment_align: 8
    .kernarg_segment_size: 72
    .language:       OpenCL C
    .language_version:
      - 2
      - 0
    .max_flat_workgroup_size: 256
    .name:           _ZN9rocsparseL32bsr2csr_block_per_row_2_7_kernelILj256ELj4EiiiEEv20rocsparse_direction_T3_S2_21rocsparse_index_base_PKT1_PKT2_PKS2_S2_S3_PS4_PS7_PS2_
    .private_segment_fixed_size: 0
    .sgpr_count:     48
    .sgpr_spill_count: 0
    .symbol:         _ZN9rocsparseL32bsr2csr_block_per_row_2_7_kernelILj256ELj4EiiiEEv20rocsparse_direction_T3_S2_21rocsparse_index_base_PKT1_PKT2_PKS2_S2_S3_PS4_PS7_PS2_.kd
    .uniform_work_group_size: 1
    .uses_dynamic_stack: false
    .vgpr_count:     37
    .vgpr_spill_count: 0
    .wavefront_size: 64
  - .agpr_count:     0
    .args:
      - .offset:         0
        .size:           4
        .value_kind:     by_value
      - .offset:         4
        .size:           4
        .value_kind:     by_value
      - .offset:         8
        .size:           4
        .value_kind:     by_value
      - .offset:         12
        .size:           4
        .value_kind:     by_value
      - .actual_access:  read_only
        .address_space:  global
        .offset:         16
        .size:           8
        .value_kind:     global_buffer
      - .actual_access:  read_only
        .address_space:  global
        .offset:         24
        .size:           8
        .value_kind:     global_buffer
      - .actual_access:  read_only
        .address_space:  global
        .offset:         32
        .size:           8
        .value_kind:     global_buffer
      - .offset:         40
        .size:           4
        .value_kind:     by_value
      - .offset:         44
        .size:           4
        .value_kind:     by_value
      - .actual_access:  write_only
        .address_space:  global
        .offset:         48
        .size:           8
        .value_kind:     global_buffer
      - .actual_access:  write_only
        .address_space:  global
        .offset:         56
        .size:           8
        .value_kind:     global_buffer
      - .actual_access:  write_only
        .address_space:  global
        .offset:         64
        .size:           8
        .value_kind:     global_buffer
    .group_segment_fixed_size: 0
    .kernarg_segment_align: 8
    .kernarg_segment_size: 72
    .language:       OpenCL C
    .language_version:
      - 2
      - 0
    .max_flat_workgroup_size: 256
    .name:           _ZN9rocsparseL32bsr2csr_block_per_row_2_7_kernelILj256ELj5EiiiEEv20rocsparse_direction_T3_S2_21rocsparse_index_base_PKT1_PKT2_PKS2_S2_S3_PS4_PS7_PS2_
    .private_segment_fixed_size: 0
    .sgpr_count:     20
    .sgpr_spill_count: 0
    .symbol:         _ZN9rocsparseL32bsr2csr_block_per_row_2_7_kernelILj256ELj5EiiiEEv20rocsparse_direction_T3_S2_21rocsparse_index_base_PKT1_PKT2_PKS2_S2_S3_PS4_PS7_PS2_.kd
    .uniform_work_group_size: 1
    .uses_dynamic_stack: false
    .vgpr_count:     26
    .vgpr_spill_count: 0
    .wavefront_size: 64
  - .agpr_count:     0
    .args:
      - .offset:         0
        .size:           4
        .value_kind:     by_value
      - .offset:         4
        .size:           4
        .value_kind:     by_value
      - .offset:         8
        .size:           4
        .value_kind:     by_value
      - .offset:         12
        .size:           4
        .value_kind:     by_value
      - .actual_access:  read_only
        .address_space:  global
        .offset:         16
        .size:           8
        .value_kind:     global_buffer
      - .actual_access:  read_only
        .address_space:  global
        .offset:         24
        .size:           8
        .value_kind:     global_buffer
      - .actual_access:  read_only
        .address_space:  global
        .offset:         32
        .size:           8
        .value_kind:     global_buffer
      - .offset:         40
        .size:           4
        .value_kind:     by_value
      - .offset:         44
        .size:           4
        .value_kind:     by_value
      - .actual_access:  write_only
        .address_space:  global
        .offset:         48
        .size:           8
        .value_kind:     global_buffer
      - .actual_access:  write_only
        .address_space:  global
        .offset:         56
        .size:           8
        .value_kind:     global_buffer
      - .actual_access:  write_only
        .address_space:  global
        .offset:         64
        .size:           8
        .value_kind:     global_buffer
    .group_segment_fixed_size: 0
    .kernarg_segment_align: 8
    .kernarg_segment_size: 72
    .language:       OpenCL C
    .language_version:
      - 2
      - 0
    .max_flat_workgroup_size: 256
    .name:           _ZN9rocsparseL32bsr2csr_block_per_row_2_7_kernelILj256ELj6EiiiEEv20rocsparse_direction_T3_S2_21rocsparse_index_base_PKT1_PKT2_PKS2_S2_S3_PS4_PS7_PS2_
    .private_segment_fixed_size: 0
    .sgpr_count:     20
    .sgpr_spill_count: 0
    .symbol:         _ZN9rocsparseL32bsr2csr_block_per_row_2_7_kernelILj256ELj6EiiiEEv20rocsparse_direction_T3_S2_21rocsparse_index_base_PKT1_PKT2_PKS2_S2_S3_PS4_PS7_PS2_.kd
    .uniform_work_group_size: 1
    .uses_dynamic_stack: false
    .vgpr_count:     30
    .vgpr_spill_count: 0
    .wavefront_size: 64
  - .agpr_count:     0
    .args:
      - .offset:         0
        .size:           4
        .value_kind:     by_value
      - .offset:         4
        .size:           4
        .value_kind:     by_value
      - .offset:         8
        .size:           4
        .value_kind:     by_value
      - .offset:         12
        .size:           4
        .value_kind:     by_value
      - .actual_access:  read_only
        .address_space:  global
        .offset:         16
        .size:           8
        .value_kind:     global_buffer
      - .actual_access:  read_only
        .address_space:  global
        .offset:         24
        .size:           8
        .value_kind:     global_buffer
      - .actual_access:  read_only
        .address_space:  global
        .offset:         32
        .size:           8
        .value_kind:     global_buffer
      - .offset:         40
        .size:           4
        .value_kind:     by_value
      - .offset:         44
        .size:           4
        .value_kind:     by_value
      - .actual_access:  write_only
        .address_space:  global
        .offset:         48
        .size:           8
        .value_kind:     global_buffer
      - .actual_access:  write_only
        .address_space:  global
        .offset:         56
        .size:           8
        .value_kind:     global_buffer
      - .actual_access:  write_only
        .address_space:  global
        .offset:         64
        .size:           8
        .value_kind:     global_buffer
    .group_segment_fixed_size: 0
    .kernarg_segment_align: 8
    .kernarg_segment_size: 72
    .language:       OpenCL C
    .language_version:
      - 2
      - 0
    .max_flat_workgroup_size: 256
    .name:           _ZN9rocsparseL32bsr2csr_block_per_row_2_7_kernelILj256ELj7EiiiEEv20rocsparse_direction_T3_S2_21rocsparse_index_base_PKT1_PKT2_PKS2_S2_S3_PS4_PS7_PS2_
    .private_segment_fixed_size: 0
    .sgpr_count:     20
    .sgpr_spill_count: 0
    .symbol:         _ZN9rocsparseL32bsr2csr_block_per_row_2_7_kernelILj256ELj7EiiiEEv20rocsparse_direction_T3_S2_21rocsparse_index_base_PKT1_PKT2_PKS2_S2_S3_PS4_PS7_PS2_.kd
    .uniform_work_group_size: 1
    .uses_dynamic_stack: false
    .vgpr_count:     34
    .vgpr_spill_count: 0
    .wavefront_size: 64
  - .agpr_count:     0
    .args:
      - .offset:         0
        .size:           4
        .value_kind:     by_value
      - .offset:         4
        .size:           4
        .value_kind:     by_value
      - .offset:         8
        .size:           4
        .value_kind:     by_value
      - .offset:         12
        .size:           4
        .value_kind:     by_value
      - .actual_access:  read_only
        .address_space:  global
        .offset:         16
        .size:           8
        .value_kind:     global_buffer
      - .actual_access:  read_only
        .address_space:  global
        .offset:         24
        .size:           8
        .value_kind:     global_buffer
      - .actual_access:  read_only
        .address_space:  global
        .offset:         32
        .size:           8
        .value_kind:     global_buffer
      - .offset:         40
        .size:           4
        .value_kind:     by_value
      - .offset:         44
        .size:           4
        .value_kind:     by_value
      - .actual_access:  write_only
        .address_space:  global
        .offset:         48
        .size:           8
        .value_kind:     global_buffer
      - .actual_access:  write_only
        .address_space:  global
        .offset:         56
        .size:           8
        .value_kind:     global_buffer
      - .actual_access:  write_only
        .address_space:  global
        .offset:         64
        .size:           8
        .value_kind:     global_buffer
    .group_segment_fixed_size: 0
    .kernarg_segment_align: 8
    .kernarg_segment_size: 72
    .language:       OpenCL C
    .language_version:
      - 2
      - 0
    .max_flat_workgroup_size: 1024
    .name:           _ZN9rocsparseL33bsr2csr_block_per_row_8_32_kernelILj1024ELj8EiiiEEv20rocsparse_direction_T3_S2_21rocsparse_index_base_PKT1_PKT2_PKS2_S2_S3_PS4_PS7_PS2_
    .private_segment_fixed_size: 0
    .sgpr_count:     32
    .sgpr_spill_count: 0
    .symbol:         _ZN9rocsparseL33bsr2csr_block_per_row_8_32_kernelILj1024ELj8EiiiEEv20rocsparse_direction_T3_S2_21rocsparse_index_base_PKT1_PKT2_PKS2_S2_S3_PS4_PS7_PS2_.kd
    .uniform_work_group_size: 1
    .uses_dynamic_stack: false
    .vgpr_count:     36
    .vgpr_spill_count: 0
    .wavefront_size: 64
  - .agpr_count:     0
    .args:
      - .offset:         0
        .size:           4
        .value_kind:     by_value
      - .offset:         4
        .size:           4
        .value_kind:     by_value
      - .offset:         8
        .size:           4
        .value_kind:     by_value
      - .offset:         12
        .size:           4
        .value_kind:     by_value
      - .actual_access:  read_only
        .address_space:  global
        .offset:         16
        .size:           8
        .value_kind:     global_buffer
      - .actual_access:  read_only
        .address_space:  global
        .offset:         24
        .size:           8
        .value_kind:     global_buffer
      - .actual_access:  read_only
        .address_space:  global
        .offset:         32
        .size:           8
        .value_kind:     global_buffer
      - .offset:         40
        .size:           4
        .value_kind:     by_value
      - .offset:         44
        .size:           4
        .value_kind:     by_value
      - .actual_access:  write_only
        .address_space:  global
        .offset:         48
        .size:           8
        .value_kind:     global_buffer
      - .actual_access:  write_only
        .address_space:  global
        .offset:         56
        .size:           8
        .value_kind:     global_buffer
      - .actual_access:  write_only
        .address_space:  global
        .offset:         64
        .size:           8
        .value_kind:     global_buffer
    .group_segment_fixed_size: 0
    .kernarg_segment_align: 8
    .kernarg_segment_size: 72
    .language:       OpenCL C
    .language_version:
      - 2
      - 0
    .max_flat_workgroup_size: 1024
    .name:           _ZN9rocsparseL33bsr2csr_block_per_row_8_32_kernelILj1024ELj16EiiiEEv20rocsparse_direction_T3_S2_21rocsparse_index_base_PKT1_PKT2_PKS2_S2_S3_PS4_PS7_PS2_
    .private_segment_fixed_size: 0
    .sgpr_count:     32
    .sgpr_spill_count: 0
    .symbol:         _ZN9rocsparseL33bsr2csr_block_per_row_8_32_kernelILj1024ELj16EiiiEEv20rocsparse_direction_T3_S2_21rocsparse_index_base_PKT1_PKT2_PKS2_S2_S3_PS4_PS7_PS2_.kd
    .uniform_work_group_size: 1
    .uses_dynamic_stack: false
    .vgpr_count:     36
    .vgpr_spill_count: 0
    .wavefront_size: 64
  - .agpr_count:     0
    .args:
      - .offset:         0
        .size:           4
        .value_kind:     by_value
      - .offset:         4
        .size:           4
        .value_kind:     by_value
      - .offset:         8
        .size:           4
        .value_kind:     by_value
      - .offset:         12
        .size:           4
        .value_kind:     by_value
      - .actual_access:  read_only
        .address_space:  global
        .offset:         16
        .size:           8
        .value_kind:     global_buffer
      - .actual_access:  read_only
        .address_space:  global
        .offset:         24
        .size:           8
        .value_kind:     global_buffer
      - .actual_access:  read_only
        .address_space:  global
        .offset:         32
        .size:           8
        .value_kind:     global_buffer
      - .offset:         40
        .size:           4
        .value_kind:     by_value
      - .offset:         44
        .size:           4
        .value_kind:     by_value
      - .actual_access:  write_only
        .address_space:  global
        .offset:         48
        .size:           8
        .value_kind:     global_buffer
      - .actual_access:  write_only
        .address_space:  global
        .offset:         56
        .size:           8
        .value_kind:     global_buffer
      - .actual_access:  write_only
        .address_space:  global
        .offset:         64
        .size:           8
        .value_kind:     global_buffer
    .group_segment_fixed_size: 0
    .kernarg_segment_align: 8
    .kernarg_segment_size: 72
    .language:       OpenCL C
    .language_version:
      - 2
      - 0
    .max_flat_workgroup_size: 1024
    .name:           _ZN9rocsparseL33bsr2csr_block_per_row_8_32_kernelILj1024ELj32EiiiEEv20rocsparse_direction_T3_S2_21rocsparse_index_base_PKT1_PKT2_PKS2_S2_S3_PS4_PS7_PS2_
    .private_segment_fixed_size: 0
    .sgpr_count:     36
    .sgpr_spill_count: 0
    .symbol:         _ZN9rocsparseL33bsr2csr_block_per_row_8_32_kernelILj1024ELj32EiiiEEv20rocsparse_direction_T3_S2_21rocsparse_index_base_PKT1_PKT2_PKS2_S2_S3_PS4_PS7_PS2_.kd
    .uniform_work_group_size: 1
    .uses_dynamic_stack: false
    .vgpr_count:     22
    .vgpr_spill_count: 0
    .wavefront_size: 64
  - .agpr_count:     0
    .args:
      - .offset:         0
        .size:           4
        .value_kind:     by_value
      - .offset:         4
        .size:           4
        .value_kind:     by_value
      - .offset:         8
        .size:           4
        .value_kind:     by_value
      - .offset:         12
        .size:           4
        .value_kind:     by_value
      - .actual_access:  read_only
        .address_space:  global
        .offset:         16
        .size:           8
        .value_kind:     global_buffer
      - .actual_access:  read_only
        .address_space:  global
        .offset:         24
        .size:           8
        .value_kind:     global_buffer
      - .actual_access:  read_only
        .address_space:  global
        .offset:         32
        .size:           8
        .value_kind:     global_buffer
      - .offset:         40
        .size:           4
        .value_kind:     by_value
      - .offset:         44
        .size:           4
        .value_kind:     by_value
      - .actual_access:  write_only
        .address_space:  global
        .offset:         48
        .size:           8
        .value_kind:     global_buffer
      - .actual_access:  write_only
        .address_space:  global
        .offset:         56
        .size:           8
        .value_kind:     global_buffer
      - .actual_access:  write_only
        .address_space:  global
        .offset:         64
        .size:           8
        .value_kind:     global_buffer
    .group_segment_fixed_size: 0
    .kernarg_segment_align: 8
    .kernarg_segment_size: 72
    .language:       OpenCL C
    .language_version:
      - 2
      - 0
    .max_flat_workgroup_size: 1024
    .name:           _ZN9rocsparseL35bsr2csr_block_per_row_33_256_kernelILj1024ELj64ELj32EiiiEEv20rocsparse_direction_T4_S2_21rocsparse_index_base_PKT2_PKT3_PKS2_S2_S3_PS4_PS7_PS2_
    .private_segment_fixed_size: 0
    .sgpr_count:     34
    .sgpr_spill_count: 0
    .symbol:         _ZN9rocsparseL35bsr2csr_block_per_row_33_256_kernelILj1024ELj64ELj32EiiiEEv20rocsparse_direction_T4_S2_21rocsparse_index_base_PKT2_PKT3_PKS2_S2_S3_PS4_PS7_PS2_.kd
    .uniform_work_group_size: 1
    .uses_dynamic_stack: false
    .vgpr_count:     18
    .vgpr_spill_count: 0
    .wavefront_size: 64
  - .agpr_count:     0
    .args:
      - .offset:         0
        .size:           4
        .value_kind:     by_value
      - .offset:         4
        .size:           4
        .value_kind:     by_value
      - .offset:         8
        .size:           4
        .value_kind:     by_value
      - .offset:         12
        .size:           4
        .value_kind:     by_value
      - .actual_access:  read_only
        .address_space:  global
        .offset:         16
        .size:           8
        .value_kind:     global_buffer
      - .actual_access:  read_only
        .address_space:  global
        .offset:         24
        .size:           8
        .value_kind:     global_buffer
      - .actual_access:  read_only
        .address_space:  global
        .offset:         32
        .size:           8
        .value_kind:     global_buffer
      - .offset:         40
        .size:           4
        .value_kind:     by_value
      - .offset:         44
        .size:           4
        .value_kind:     by_value
      - .actual_access:  write_only
        .address_space:  global
        .offset:         48
        .size:           8
        .value_kind:     global_buffer
      - .actual_access:  write_only
        .address_space:  global
        .offset:         56
        .size:           8
        .value_kind:     global_buffer
      - .actual_access:  write_only
        .address_space:  global
        .offset:         64
        .size:           8
        .value_kind:     global_buffer
    .group_segment_fixed_size: 0
    .kernarg_segment_align: 8
    .kernarg_segment_size: 72
    .language:       OpenCL C
    .language_version:
      - 2
      - 0
    .max_flat_workgroup_size: 1024
    .name:           _ZN9rocsparseL35bsr2csr_block_per_row_33_256_kernelILj1024ELj128ELj32EiiiEEv20rocsparse_direction_T4_S2_21rocsparse_index_base_PKT2_PKT3_PKS2_S2_S3_PS4_PS7_PS2_
    .private_segment_fixed_size: 0
    .sgpr_count:     60
    .sgpr_spill_count: 0
    .symbol:         _ZN9rocsparseL35bsr2csr_block_per_row_33_256_kernelILj1024ELj128ELj32EiiiEEv20rocsparse_direction_T4_S2_21rocsparse_index_base_PKT2_PKT3_PKS2_S2_S3_PS4_PS7_PS2_.kd
    .uniform_work_group_size: 1
    .uses_dynamic_stack: false
    .vgpr_count:     30
    .vgpr_spill_count: 0
    .wavefront_size: 64
  - .agpr_count:     0
    .args:
      - .offset:         0
        .size:           4
        .value_kind:     by_value
      - .offset:         4
        .size:           4
        .value_kind:     by_value
      - .offset:         8
        .size:           4
        .value_kind:     by_value
      - .offset:         12
        .size:           4
        .value_kind:     by_value
      - .actual_access:  read_only
        .address_space:  global
        .offset:         16
        .size:           8
        .value_kind:     global_buffer
      - .actual_access:  read_only
        .address_space:  global
        .offset:         24
        .size:           8
        .value_kind:     global_buffer
      - .actual_access:  read_only
        .address_space:  global
        .offset:         32
        .size:           8
        .value_kind:     global_buffer
      - .offset:         40
        .size:           4
        .value_kind:     by_value
      - .offset:         44
        .size:           4
        .value_kind:     by_value
      - .actual_access:  write_only
        .address_space:  global
        .offset:         48
        .size:           8
        .value_kind:     global_buffer
      - .actual_access:  write_only
        .address_space:  global
        .offset:         56
        .size:           8
        .value_kind:     global_buffer
      - .actual_access:  write_only
        .address_space:  global
        .offset:         64
        .size:           8
        .value_kind:     global_buffer
    .group_segment_fixed_size: 0
    .kernarg_segment_align: 8
    .kernarg_segment_size: 72
    .language:       OpenCL C
    .language_version:
      - 2
      - 0
    .max_flat_workgroup_size: 1024
    .name:           _ZN9rocsparseL35bsr2csr_block_per_row_33_256_kernelILj1024ELj256ELj32EiiiEEv20rocsparse_direction_T4_S2_21rocsparse_index_base_PKT2_PKT3_PKS2_S2_S3_PS4_PS7_PS2_
    .private_segment_fixed_size: 0
    .sgpr_count:     100
    .sgpr_spill_count: 57
    .symbol:         _ZN9rocsparseL35bsr2csr_block_per_row_33_256_kernelILj1024ELj256ELj32EiiiEEv20rocsparse_direction_T4_S2_21rocsparse_index_base_PKT2_PKT3_PKS2_S2_S3_PS4_PS7_PS2_.kd
    .uniform_work_group_size: 1
    .uses_dynamic_stack: false
    .vgpr_count:     56
    .vgpr_spill_count: 0
    .wavefront_size: 64
  - .agpr_count:     0
    .args:
      - .offset:         0
        .size:           4
        .value_kind:     by_value
      - .offset:         4
        .size:           4
        .value_kind:     by_value
      - .offset:         8
        .size:           4
        .value_kind:     by_value
      - .actual_access:  read_only
        .address_space:  global
        .offset:         16
        .size:           8
        .value_kind:     global_buffer
      - .actual_access:  read_only
        .address_space:  global
        .offset:         24
        .size:           8
        .value_kind:     global_buffer
      - .actual_access:  read_only
        .address_space:  global
        .offset:         32
        .size:           8
        .value_kind:     global_buffer
      - .offset:         40
        .size:           4
        .value_kind:     by_value
      - .actual_access:  write_only
        .address_space:  global
        .offset:         48
        .size:           8
        .value_kind:     global_buffer
      - .actual_access:  write_only
        .address_space:  global
        .offset:         56
        .size:           8
        .value_kind:     global_buffer
      - .actual_access:  write_only
        .address_space:  global
        .offset:         64
        .size:           8
        .value_kind:     global_buffer
      - .offset:         72
        .size:           4
        .value_kind:     hidden_block_count_x
      - .offset:         76
        .size:           4
        .value_kind:     hidden_block_count_y
      - .offset:         80
        .size:           4
        .value_kind:     hidden_block_count_z
      - .offset:         84
        .size:           2
        .value_kind:     hidden_group_size_x
      - .offset:         86
        .size:           2
        .value_kind:     hidden_group_size_y
      - .offset:         88
        .size:           2
        .value_kind:     hidden_group_size_z
      - .offset:         90
        .size:           2
        .value_kind:     hidden_remainder_x
      - .offset:         92
        .size:           2
        .value_kind:     hidden_remainder_y
      - .offset:         94
        .size:           2
        .value_kind:     hidden_remainder_z
      - .offset:         112
        .size:           8
        .value_kind:     hidden_global_offset_x
      - .offset:         120
        .size:           8
        .value_kind:     hidden_global_offset_y
      - .offset:         128
        .size:           8
        .value_kind:     hidden_global_offset_z
      - .offset:         136
        .size:           2
        .value_kind:     hidden_grid_dims
    .group_segment_fixed_size: 0
    .kernarg_segment_align: 8
    .kernarg_segment_size: 328
    .language:       OpenCL C
    .language_version:
      - 2
      - 0
    .max_flat_workgroup_size: 1024
    .name:           _ZN9rocsparseL35bsr2csr_block_dim_equals_one_kernelILj1024EiliEEvT2_S1_21rocsparse_index_base_PKT0_PKT1_PKS1_S2_PS3_PS6_PS1_
    .private_segment_fixed_size: 0
    .sgpr_count:     32
    .sgpr_spill_count: 0
    .symbol:         _ZN9rocsparseL35bsr2csr_block_dim_equals_one_kernelILj1024EiliEEvT2_S1_21rocsparse_index_base_PKT0_PKT1_PKS1_S2_PS3_PS6_PS1_.kd
    .uniform_work_group_size: 1
    .uses_dynamic_stack: false
    .vgpr_count:     14
    .vgpr_spill_count: 0
    .wavefront_size: 64
  - .agpr_count:     0
    .args:
      - .offset:         0
        .size:           4
        .value_kind:     by_value
      - .offset:         4
        .size:           4
        .value_kind:     by_value
      - .offset:         8
        .size:           4
        .value_kind:     by_value
      - .offset:         12
        .size:           4
        .value_kind:     by_value
      - .actual_access:  read_only
        .address_space:  global
        .offset:         16
        .size:           8
        .value_kind:     global_buffer
      - .actual_access:  read_only
        .address_space:  global
        .offset:         24
        .size:           8
        .value_kind:     global_buffer
      - .actual_access:  read_only
        .address_space:  global
        .offset:         32
        .size:           8
        .value_kind:     global_buffer
      - .offset:         40
        .size:           4
        .value_kind:     by_value
      - .offset:         44
        .size:           4
        .value_kind:     by_value
      - .actual_access:  write_only
        .address_space:  global
        .offset:         48
        .size:           8
        .value_kind:     global_buffer
      - .actual_access:  write_only
        .address_space:  global
        .offset:         56
        .size:           8
        .value_kind:     global_buffer
      - .actual_access:  write_only
        .address_space:  global
        .offset:         64
        .size:           8
        .value_kind:     global_buffer
    .group_segment_fixed_size: 0
    .kernarg_segment_align: 8
    .kernarg_segment_size: 72
    .language:       OpenCL C
    .language_version:
      - 2
      - 0
    .max_flat_workgroup_size: 256
    .name:           _ZN9rocsparseL32bsr2csr_block_per_row_2_7_kernelILj256ELj2EiliEEv20rocsparse_direction_T3_S2_21rocsparse_index_base_PKT1_PKT2_PKS2_S2_S3_PS4_PS7_PS2_
    .private_segment_fixed_size: 0
    .sgpr_count:     42
    .sgpr_spill_count: 0
    .symbol:         _ZN9rocsparseL32bsr2csr_block_per_row_2_7_kernelILj256ELj2EiliEEv20rocsparse_direction_T3_S2_21rocsparse_index_base_PKT1_PKT2_PKS2_S2_S3_PS4_PS7_PS2_.kd
    .uniform_work_group_size: 1
    .uses_dynamic_stack: false
    .vgpr_count:     54
    .vgpr_spill_count: 0
    .wavefront_size: 64
  - .agpr_count:     0
    .args:
      - .offset:         0
        .size:           4
        .value_kind:     by_value
      - .offset:         4
        .size:           4
        .value_kind:     by_value
      - .offset:         8
        .size:           4
        .value_kind:     by_value
      - .offset:         12
        .size:           4
        .value_kind:     by_value
      - .actual_access:  read_only
        .address_space:  global
        .offset:         16
        .size:           8
        .value_kind:     global_buffer
      - .actual_access:  read_only
        .address_space:  global
        .offset:         24
        .size:           8
        .value_kind:     global_buffer
      - .actual_access:  read_only
        .address_space:  global
        .offset:         32
        .size:           8
        .value_kind:     global_buffer
      - .offset:         40
        .size:           4
        .value_kind:     by_value
      - .offset:         44
        .size:           4
        .value_kind:     by_value
      - .actual_access:  write_only
        .address_space:  global
        .offset:         48
        .size:           8
        .value_kind:     global_buffer
      - .actual_access:  write_only
        .address_space:  global
        .offset:         56
        .size:           8
        .value_kind:     global_buffer
      - .actual_access:  write_only
        .address_space:  global
        .offset:         64
        .size:           8
        .value_kind:     global_buffer
    .group_segment_fixed_size: 0
    .kernarg_segment_align: 8
    .kernarg_segment_size: 72
    .language:       OpenCL C
    .language_version:
      - 2
      - 0
    .max_flat_workgroup_size: 256
    .name:           _ZN9rocsparseL32bsr2csr_block_per_row_2_7_kernelILj256ELj3EiliEEv20rocsparse_direction_T3_S2_21rocsparse_index_base_PKT1_PKT2_PKS2_S2_S3_PS4_PS7_PS2_
    .private_segment_fixed_size: 0
    .sgpr_count:     42
    .sgpr_spill_count: 0
    .symbol:         _ZN9rocsparseL32bsr2csr_block_per_row_2_7_kernelILj256ELj3EiliEEv20rocsparse_direction_T3_S2_21rocsparse_index_base_PKT1_PKT2_PKS2_S2_S3_PS4_PS7_PS2_.kd
    .uniform_work_group_size: 1
    .uses_dynamic_stack: false
    .vgpr_count:     62
    .vgpr_spill_count: 0
    .wavefront_size: 64
  - .agpr_count:     0
    .args:
      - .offset:         0
        .size:           4
        .value_kind:     by_value
      - .offset:         4
        .size:           4
        .value_kind:     by_value
      - .offset:         8
        .size:           4
        .value_kind:     by_value
      - .offset:         12
        .size:           4
        .value_kind:     by_value
      - .actual_access:  read_only
        .address_space:  global
        .offset:         16
        .size:           8
        .value_kind:     global_buffer
      - .actual_access:  read_only
        .address_space:  global
        .offset:         24
        .size:           8
        .value_kind:     global_buffer
      - .actual_access:  read_only
        .address_space:  global
        .offset:         32
        .size:           8
        .value_kind:     global_buffer
      - .offset:         40
        .size:           4
        .value_kind:     by_value
      - .offset:         44
        .size:           4
        .value_kind:     by_value
      - .actual_access:  write_only
        .address_space:  global
        .offset:         48
        .size:           8
        .value_kind:     global_buffer
      - .actual_access:  write_only
        .address_space:  global
        .offset:         56
        .size:           8
        .value_kind:     global_buffer
      - .actual_access:  write_only
        .address_space:  global
        .offset:         64
        .size:           8
        .value_kind:     global_buffer
    .group_segment_fixed_size: 0
    .kernarg_segment_align: 8
    .kernarg_segment_size: 72
    .language:       OpenCL C
    .language_version:
      - 2
      - 0
    .max_flat_workgroup_size: 256
    .name:           _ZN9rocsparseL32bsr2csr_block_per_row_2_7_kernelILj256ELj4EiliEEv20rocsparse_direction_T3_S2_21rocsparse_index_base_PKT1_PKT2_PKS2_S2_S3_PS4_PS7_PS2_
    .private_segment_fixed_size: 0
    .sgpr_count:     46
    .sgpr_spill_count: 0
    .symbol:         _ZN9rocsparseL32bsr2csr_block_per_row_2_7_kernelILj256ELj4EiliEEv20rocsparse_direction_T3_S2_21rocsparse_index_base_PKT1_PKT2_PKS2_S2_S3_PS4_PS7_PS2_.kd
    .uniform_work_group_size: 1
    .uses_dynamic_stack: false
    .vgpr_count:     55
    .vgpr_spill_count: 0
    .wavefront_size: 64
  - .agpr_count:     0
    .args:
      - .offset:         0
        .size:           4
        .value_kind:     by_value
      - .offset:         4
        .size:           4
        .value_kind:     by_value
      - .offset:         8
        .size:           4
        .value_kind:     by_value
      - .offset:         12
        .size:           4
        .value_kind:     by_value
      - .actual_access:  read_only
        .address_space:  global
        .offset:         16
        .size:           8
        .value_kind:     global_buffer
      - .actual_access:  read_only
        .address_space:  global
        .offset:         24
        .size:           8
        .value_kind:     global_buffer
      - .actual_access:  read_only
        .address_space:  global
        .offset:         32
        .size:           8
        .value_kind:     global_buffer
      - .offset:         40
        .size:           4
        .value_kind:     by_value
      - .offset:         44
        .size:           4
        .value_kind:     by_value
      - .actual_access:  write_only
        .address_space:  global
        .offset:         48
        .size:           8
        .value_kind:     global_buffer
      - .actual_access:  write_only
        .address_space:  global
        .offset:         56
        .size:           8
        .value_kind:     global_buffer
      - .actual_access:  write_only
        .address_space:  global
        .offset:         64
        .size:           8
        .value_kind:     global_buffer
    .group_segment_fixed_size: 0
    .kernarg_segment_align: 8
    .kernarg_segment_size: 72
    .language:       OpenCL C
    .language_version:
      - 2
      - 0
    .max_flat_workgroup_size: 256
    .name:           _ZN9rocsparseL32bsr2csr_block_per_row_2_7_kernelILj256ELj5EiliEEv20rocsparse_direction_T3_S2_21rocsparse_index_base_PKT1_PKT2_PKS2_S2_S3_PS4_PS7_PS2_
    .private_segment_fixed_size: 0
    .sgpr_count:     50
    .sgpr_spill_count: 0
    .symbol:         _ZN9rocsparseL32bsr2csr_block_per_row_2_7_kernelILj256ELj5EiliEEv20rocsparse_direction_T3_S2_21rocsparse_index_base_PKT1_PKT2_PKS2_S2_S3_PS4_PS7_PS2_.kd
    .uniform_work_group_size: 1
    .uses_dynamic_stack: false
    .vgpr_count:     64
    .vgpr_spill_count: 0
    .wavefront_size: 64
  - .agpr_count:     0
    .args:
      - .offset:         0
        .size:           4
        .value_kind:     by_value
      - .offset:         4
        .size:           4
        .value_kind:     by_value
      - .offset:         8
        .size:           4
        .value_kind:     by_value
      - .offset:         12
        .size:           4
        .value_kind:     by_value
      - .actual_access:  read_only
        .address_space:  global
        .offset:         16
        .size:           8
        .value_kind:     global_buffer
      - .actual_access:  read_only
        .address_space:  global
        .offset:         24
        .size:           8
        .value_kind:     global_buffer
      - .actual_access:  read_only
        .address_space:  global
        .offset:         32
        .size:           8
        .value_kind:     global_buffer
      - .offset:         40
        .size:           4
        .value_kind:     by_value
      - .offset:         44
        .size:           4
        .value_kind:     by_value
      - .actual_access:  write_only
        .address_space:  global
        .offset:         48
        .size:           8
        .value_kind:     global_buffer
      - .actual_access:  write_only
        .address_space:  global
        .offset:         56
        .size:           8
        .value_kind:     global_buffer
      - .actual_access:  write_only
        .address_space:  global
        .offset:         64
        .size:           8
        .value_kind:     global_buffer
    .group_segment_fixed_size: 0
    .kernarg_segment_align: 8
    .kernarg_segment_size: 72
    .language:       OpenCL C
    .language_version:
      - 2
      - 0
    .max_flat_workgroup_size: 256
    .name:           _ZN9rocsparseL32bsr2csr_block_per_row_2_7_kernelILj256ELj6EiliEEv20rocsparse_direction_T3_S2_21rocsparse_index_base_PKT1_PKT2_PKS2_S2_S3_PS4_PS7_PS2_
    .private_segment_fixed_size: 0
    .sgpr_count:     54
    .sgpr_spill_count: 0
    .symbol:         _ZN9rocsparseL32bsr2csr_block_per_row_2_7_kernelILj256ELj6EiliEEv20rocsparse_direction_T3_S2_21rocsparse_index_base_PKT1_PKT2_PKS2_S2_S3_PS4_PS7_PS2_.kd
    .uniform_work_group_size: 1
    .uses_dynamic_stack: false
    .vgpr_count:     64
    .vgpr_spill_count: 0
    .wavefront_size: 64
  - .agpr_count:     0
    .args:
      - .offset:         0
        .size:           4
        .value_kind:     by_value
      - .offset:         4
        .size:           4
        .value_kind:     by_value
      - .offset:         8
        .size:           4
        .value_kind:     by_value
      - .offset:         12
        .size:           4
        .value_kind:     by_value
      - .actual_access:  read_only
        .address_space:  global
        .offset:         16
        .size:           8
        .value_kind:     global_buffer
      - .actual_access:  read_only
        .address_space:  global
        .offset:         24
        .size:           8
        .value_kind:     global_buffer
      - .actual_access:  read_only
        .address_space:  global
        .offset:         32
        .size:           8
        .value_kind:     global_buffer
      - .offset:         40
        .size:           4
        .value_kind:     by_value
      - .offset:         44
        .size:           4
        .value_kind:     by_value
      - .actual_access:  write_only
        .address_space:  global
        .offset:         48
        .size:           8
        .value_kind:     global_buffer
      - .actual_access:  write_only
        .address_space:  global
        .offset:         56
        .size:           8
        .value_kind:     global_buffer
      - .actual_access:  write_only
        .address_space:  global
        .offset:         64
        .size:           8
        .value_kind:     global_buffer
    .group_segment_fixed_size: 0
    .kernarg_segment_align: 8
    .kernarg_segment_size: 72
    .language:       OpenCL C
    .language_version:
      - 2
      - 0
    .max_flat_workgroup_size: 256
    .name:           _ZN9rocsparseL32bsr2csr_block_per_row_2_7_kernelILj256ELj7EiliEEv20rocsparse_direction_T3_S2_21rocsparse_index_base_PKT1_PKT2_PKS2_S2_S3_PS4_PS7_PS2_
    .private_segment_fixed_size: 0
    .sgpr_count:     58
    .sgpr_spill_count: 0
    .symbol:         _ZN9rocsparseL32bsr2csr_block_per_row_2_7_kernelILj256ELj7EiliEEv20rocsparse_direction_T3_S2_21rocsparse_index_base_PKT1_PKT2_PKS2_S2_S3_PS4_PS7_PS2_.kd
    .uniform_work_group_size: 1
    .uses_dynamic_stack: false
    .vgpr_count:     64
    .vgpr_spill_count: 0
    .wavefront_size: 64
  - .agpr_count:     0
    .args:
      - .offset:         0
        .size:           4
        .value_kind:     by_value
      - .offset:         4
        .size:           4
        .value_kind:     by_value
      - .offset:         8
        .size:           4
        .value_kind:     by_value
      - .offset:         12
        .size:           4
        .value_kind:     by_value
      - .actual_access:  read_only
        .address_space:  global
        .offset:         16
        .size:           8
        .value_kind:     global_buffer
      - .actual_access:  read_only
        .address_space:  global
        .offset:         24
        .size:           8
        .value_kind:     global_buffer
      - .actual_access:  read_only
        .address_space:  global
        .offset:         32
        .size:           8
        .value_kind:     global_buffer
      - .offset:         40
        .size:           4
        .value_kind:     by_value
      - .offset:         44
        .size:           4
        .value_kind:     by_value
      - .actual_access:  write_only
        .address_space:  global
        .offset:         48
        .size:           8
        .value_kind:     global_buffer
      - .actual_access:  write_only
        .address_space:  global
        .offset:         56
        .size:           8
        .value_kind:     global_buffer
      - .actual_access:  write_only
        .address_space:  global
        .offset:         64
        .size:           8
        .value_kind:     global_buffer
    .group_segment_fixed_size: 0
    .kernarg_segment_align: 8
    .kernarg_segment_size: 72
    .language:       OpenCL C
    .language_version:
      - 2
      - 0
    .max_flat_workgroup_size: 1024
    .name:           _ZN9rocsparseL33bsr2csr_block_per_row_8_32_kernelILj1024ELj8EiliEEv20rocsparse_direction_T3_S2_21rocsparse_index_base_PKT1_PKT2_PKS2_S2_S3_PS4_PS7_PS2_
    .private_segment_fixed_size: 0
    .sgpr_count:     45
    .sgpr_spill_count: 0
    .symbol:         _ZN9rocsparseL33bsr2csr_block_per_row_8_32_kernelILj1024ELj8EiliEEv20rocsparse_direction_T3_S2_21rocsparse_index_base_PKT1_PKT2_PKS2_S2_S3_PS4_PS7_PS2_.kd
    .uniform_work_group_size: 1
    .uses_dynamic_stack: false
    .vgpr_count:     45
    .vgpr_spill_count: 0
    .wavefront_size: 64
  - .agpr_count:     0
    .args:
      - .offset:         0
        .size:           4
        .value_kind:     by_value
      - .offset:         4
        .size:           4
        .value_kind:     by_value
      - .offset:         8
        .size:           4
        .value_kind:     by_value
      - .offset:         12
        .size:           4
        .value_kind:     by_value
      - .actual_access:  read_only
        .address_space:  global
        .offset:         16
        .size:           8
        .value_kind:     global_buffer
      - .actual_access:  read_only
        .address_space:  global
        .offset:         24
        .size:           8
        .value_kind:     global_buffer
      - .actual_access:  read_only
        .address_space:  global
        .offset:         32
        .size:           8
        .value_kind:     global_buffer
      - .offset:         40
        .size:           4
        .value_kind:     by_value
      - .offset:         44
        .size:           4
        .value_kind:     by_value
      - .actual_access:  write_only
        .address_space:  global
        .offset:         48
        .size:           8
        .value_kind:     global_buffer
      - .actual_access:  write_only
        .address_space:  global
        .offset:         56
        .size:           8
        .value_kind:     global_buffer
      - .actual_access:  write_only
        .address_space:  global
        .offset:         64
        .size:           8
        .value_kind:     global_buffer
    .group_segment_fixed_size: 0
    .kernarg_segment_align: 8
    .kernarg_segment_size: 72
    .language:       OpenCL C
    .language_version:
      - 2
      - 0
    .max_flat_workgroup_size: 1024
    .name:           _ZN9rocsparseL33bsr2csr_block_per_row_8_32_kernelILj1024ELj16EiliEEv20rocsparse_direction_T3_S2_21rocsparse_index_base_PKT1_PKT2_PKS2_S2_S3_PS4_PS7_PS2_
    .private_segment_fixed_size: 0
    .sgpr_count:     43
    .sgpr_spill_count: 0
    .symbol:         _ZN9rocsparseL33bsr2csr_block_per_row_8_32_kernelILj1024ELj16EiliEEv20rocsparse_direction_T3_S2_21rocsparse_index_base_PKT1_PKT2_PKS2_S2_S3_PS4_PS7_PS2_.kd
    .uniform_work_group_size: 1
    .uses_dynamic_stack: false
    .vgpr_count:     45
    .vgpr_spill_count: 0
    .wavefront_size: 64
  - .agpr_count:     0
    .args:
      - .offset:         0
        .size:           4
        .value_kind:     by_value
      - .offset:         4
        .size:           4
        .value_kind:     by_value
      - .offset:         8
        .size:           4
        .value_kind:     by_value
      - .offset:         12
        .size:           4
        .value_kind:     by_value
      - .actual_access:  read_only
        .address_space:  global
        .offset:         16
        .size:           8
        .value_kind:     global_buffer
      - .actual_access:  read_only
        .address_space:  global
        .offset:         24
        .size:           8
        .value_kind:     global_buffer
      - .actual_access:  read_only
        .address_space:  global
        .offset:         32
        .size:           8
        .value_kind:     global_buffer
      - .offset:         40
        .size:           4
        .value_kind:     by_value
      - .offset:         44
        .size:           4
        .value_kind:     by_value
      - .actual_access:  write_only
        .address_space:  global
        .offset:         48
        .size:           8
        .value_kind:     global_buffer
      - .actual_access:  write_only
        .address_space:  global
        .offset:         56
        .size:           8
        .value_kind:     global_buffer
      - .actual_access:  write_only
        .address_space:  global
        .offset:         64
        .size:           8
        .value_kind:     global_buffer
    .group_segment_fixed_size: 0
    .kernarg_segment_align: 8
    .kernarg_segment_size: 72
    .language:       OpenCL C
    .language_version:
      - 2
      - 0
    .max_flat_workgroup_size: 1024
    .name:           _ZN9rocsparseL33bsr2csr_block_per_row_8_32_kernelILj1024ELj32EiliEEv20rocsparse_direction_T3_S2_21rocsparse_index_base_PKT1_PKT2_PKS2_S2_S3_PS4_PS7_PS2_
    .private_segment_fixed_size: 0
    .sgpr_count:     47
    .sgpr_spill_count: 0
    .symbol:         _ZN9rocsparseL33bsr2csr_block_per_row_8_32_kernelILj1024ELj32EiliEEv20rocsparse_direction_T3_S2_21rocsparse_index_base_PKT1_PKT2_PKS2_S2_S3_PS4_PS7_PS2_.kd
    .uniform_work_group_size: 1
    .uses_dynamic_stack: false
    .vgpr_count:     17
    .vgpr_spill_count: 0
    .wavefront_size: 64
  - .agpr_count:     0
    .args:
      - .offset:         0
        .size:           4
        .value_kind:     by_value
      - .offset:         4
        .size:           4
        .value_kind:     by_value
      - .offset:         8
        .size:           4
        .value_kind:     by_value
      - .offset:         12
        .size:           4
        .value_kind:     by_value
      - .actual_access:  read_only
        .address_space:  global
        .offset:         16
        .size:           8
        .value_kind:     global_buffer
      - .actual_access:  read_only
        .address_space:  global
        .offset:         24
        .size:           8
        .value_kind:     global_buffer
      - .actual_access:  read_only
        .address_space:  global
        .offset:         32
        .size:           8
        .value_kind:     global_buffer
      - .offset:         40
        .size:           4
        .value_kind:     by_value
      - .offset:         44
        .size:           4
        .value_kind:     by_value
      - .actual_access:  write_only
        .address_space:  global
        .offset:         48
        .size:           8
        .value_kind:     global_buffer
      - .actual_access:  write_only
        .address_space:  global
        .offset:         56
        .size:           8
        .value_kind:     global_buffer
      - .actual_access:  write_only
        .address_space:  global
        .offset:         64
        .size:           8
        .value_kind:     global_buffer
    .group_segment_fixed_size: 0
    .kernarg_segment_align: 8
    .kernarg_segment_size: 72
    .language:       OpenCL C
    .language_version:
      - 2
      - 0
    .max_flat_workgroup_size: 1024
    .name:           _ZN9rocsparseL35bsr2csr_block_per_row_33_256_kernelILj1024ELj64ELj32EiliEEv20rocsparse_direction_T4_S2_21rocsparse_index_base_PKT2_PKT3_PKS2_S2_S3_PS4_PS7_PS2_
    .private_segment_fixed_size: 0
    .sgpr_count:     44
    .sgpr_spill_count: 0
    .symbol:         _ZN9rocsparseL35bsr2csr_block_per_row_33_256_kernelILj1024ELj64ELj32EiliEEv20rocsparse_direction_T4_S2_21rocsparse_index_base_PKT2_PKT3_PKS2_S2_S3_PS4_PS7_PS2_.kd
    .uniform_work_group_size: 1
    .uses_dynamic_stack: false
    .vgpr_count:     26
    .vgpr_spill_count: 0
    .wavefront_size: 64
  - .agpr_count:     0
    .args:
      - .offset:         0
        .size:           4
        .value_kind:     by_value
      - .offset:         4
        .size:           4
        .value_kind:     by_value
      - .offset:         8
        .size:           4
        .value_kind:     by_value
      - .offset:         12
        .size:           4
        .value_kind:     by_value
      - .actual_access:  read_only
        .address_space:  global
        .offset:         16
        .size:           8
        .value_kind:     global_buffer
      - .actual_access:  read_only
        .address_space:  global
        .offset:         24
        .size:           8
        .value_kind:     global_buffer
      - .actual_access:  read_only
        .address_space:  global
        .offset:         32
        .size:           8
        .value_kind:     global_buffer
      - .offset:         40
        .size:           4
        .value_kind:     by_value
      - .offset:         44
        .size:           4
        .value_kind:     by_value
      - .actual_access:  write_only
        .address_space:  global
        .offset:         48
        .size:           8
        .value_kind:     global_buffer
      - .actual_access:  write_only
        .address_space:  global
        .offset:         56
        .size:           8
        .value_kind:     global_buffer
      - .actual_access:  write_only
        .address_space:  global
        .offset:         64
        .size:           8
        .value_kind:     global_buffer
    .group_segment_fixed_size: 0
    .kernarg_segment_align: 8
    .kernarg_segment_size: 72
    .language:       OpenCL C
    .language_version:
      - 2
      - 0
    .max_flat_workgroup_size: 1024
    .name:           _ZN9rocsparseL35bsr2csr_block_per_row_33_256_kernelILj1024ELj128ELj32EiliEEv20rocsparse_direction_T4_S2_21rocsparse_index_base_PKT2_PKT3_PKS2_S2_S3_PS4_PS7_PS2_
    .private_segment_fixed_size: 0
    .sgpr_count:     68
    .sgpr_spill_count: 0
    .symbol:         _ZN9rocsparseL35bsr2csr_block_per_row_33_256_kernelILj1024ELj128ELj32EiliEEv20rocsparse_direction_T4_S2_21rocsparse_index_base_PKT2_PKT3_PKS2_S2_S3_PS4_PS7_PS2_.kd
    .uniform_work_group_size: 1
    .uses_dynamic_stack: false
    .vgpr_count:     44
    .vgpr_spill_count: 0
    .wavefront_size: 64
  - .agpr_count:     0
    .args:
      - .offset:         0
        .size:           4
        .value_kind:     by_value
      - .offset:         4
        .size:           4
        .value_kind:     by_value
      - .offset:         8
        .size:           4
        .value_kind:     by_value
      - .offset:         12
        .size:           4
        .value_kind:     by_value
      - .actual_access:  read_only
        .address_space:  global
        .offset:         16
        .size:           8
        .value_kind:     global_buffer
      - .actual_access:  read_only
        .address_space:  global
        .offset:         24
        .size:           8
        .value_kind:     global_buffer
      - .actual_access:  read_only
        .address_space:  global
        .offset:         32
        .size:           8
        .value_kind:     global_buffer
      - .offset:         40
        .size:           4
        .value_kind:     by_value
      - .offset:         44
        .size:           4
        .value_kind:     by_value
      - .actual_access:  write_only
        .address_space:  global
        .offset:         48
        .size:           8
        .value_kind:     global_buffer
      - .actual_access:  write_only
        .address_space:  global
        .offset:         56
        .size:           8
        .value_kind:     global_buffer
      - .actual_access:  write_only
        .address_space:  global
        .offset:         64
        .size:           8
        .value_kind:     global_buffer
    .group_segment_fixed_size: 0
    .kernarg_segment_align: 8
    .kernarg_segment_size: 72
    .language:       OpenCL C
    .language_version:
      - 2
      - 0
    .max_flat_workgroup_size: 1024
    .name:           _ZN9rocsparseL35bsr2csr_block_per_row_33_256_kernelILj1024ELj256ELj32EiliEEv20rocsparse_direction_T4_S2_21rocsparse_index_base_PKT2_PKT3_PKS2_S2_S3_PS4_PS7_PS2_
    .private_segment_fixed_size: 0
    .sgpr_count:     100
    .sgpr_spill_count: 97
    .symbol:         _ZN9rocsparseL35bsr2csr_block_per_row_33_256_kernelILj1024ELj256ELj32EiliEEv20rocsparse_direction_T4_S2_21rocsparse_index_base_PKT2_PKT3_PKS2_S2_S3_PS4_PS7_PS2_.kd
    .uniform_work_group_size: 1
    .uses_dynamic_stack: false
    .vgpr_count:     79
    .vgpr_spill_count: 0
    .wavefront_size: 64
  - .agpr_count:     0
    .args:
      - .offset:         0
        .size:           8
        .value_kind:     by_value
      - .offset:         8
        .size:           8
        .value_kind:     by_value
      - .offset:         16
        .size:           4
        .value_kind:     by_value
      - .actual_access:  read_only
        .address_space:  global
        .offset:         24
        .size:           8
        .value_kind:     global_buffer
      - .actual_access:  read_only
        .address_space:  global
        .offset:         32
        .size:           8
        .value_kind:     global_buffer
      - .actual_access:  read_only
        .address_space:  global
        .offset:         40
        .size:           8
        .value_kind:     global_buffer
      - .offset:         48
        .size:           4
        .value_kind:     by_value
      - .actual_access:  write_only
        .address_space:  global
        .offset:         56
        .size:           8
        .value_kind:     global_buffer
      - .actual_access:  write_only
        .address_space:  global
        .offset:         64
        .size:           8
        .value_kind:     global_buffer
      - .actual_access:  write_only
        .address_space:  global
        .offset:         72
        .size:           8
        .value_kind:     global_buffer
      - .offset:         80
        .size:           4
        .value_kind:     hidden_block_count_x
      - .offset:         84
        .size:           4
        .value_kind:     hidden_block_count_y
      - .offset:         88
        .size:           4
        .value_kind:     hidden_block_count_z
      - .offset:         92
        .size:           2
        .value_kind:     hidden_group_size_x
      - .offset:         94
        .size:           2
        .value_kind:     hidden_group_size_y
      - .offset:         96
        .size:           2
        .value_kind:     hidden_group_size_z
      - .offset:         98
        .size:           2
        .value_kind:     hidden_remainder_x
      - .offset:         100
        .size:           2
        .value_kind:     hidden_remainder_y
      - .offset:         102
        .size:           2
        .value_kind:     hidden_remainder_z
      - .offset:         120
        .size:           8
        .value_kind:     hidden_global_offset_x
      - .offset:         128
        .size:           8
        .value_kind:     hidden_global_offset_y
      - .offset:         136
        .size:           8
        .value_kind:     hidden_global_offset_z
      - .offset:         144
        .size:           2
        .value_kind:     hidden_grid_dims
    .group_segment_fixed_size: 0
    .kernarg_segment_align: 8
    .kernarg_segment_size: 336
    .language:       OpenCL C
    .language_version:
      - 2
      - 0
    .max_flat_workgroup_size: 1024
    .name:           _ZN9rocsparseL35bsr2csr_block_dim_equals_one_kernelILj1024EiilEEvT2_S1_21rocsparse_index_base_PKT0_PKT1_PKS1_S2_PS3_PS6_PS1_
    .private_segment_fixed_size: 0
    .sgpr_count:     28
    .sgpr_spill_count: 0
    .symbol:         _ZN9rocsparseL35bsr2csr_block_dim_equals_one_kernelILj1024EiilEEvT2_S1_21rocsparse_index_base_PKT0_PKT1_PKS1_S2_PS3_PS6_PS1_.kd
    .uniform_work_group_size: 1
    .uses_dynamic_stack: false
    .vgpr_count:     21
    .vgpr_spill_count: 0
    .wavefront_size: 64
  - .agpr_count:     0
    .args:
      - .offset:         0
        .size:           4
        .value_kind:     by_value
      - .offset:         8
        .size:           8
        .value_kind:     by_value
      - .offset:         16
        .size:           8
        .value_kind:     by_value
      - .offset:         24
        .size:           4
        .value_kind:     by_value
      - .actual_access:  read_only
        .address_space:  global
        .offset:         32
        .size:           8
        .value_kind:     global_buffer
      - .actual_access:  read_only
        .address_space:  global
        .offset:         40
        .size:           8
        .value_kind:     global_buffer
      - .actual_access:  read_only
        .address_space:  global
        .offset:         48
        .size:           8
        .value_kind:     global_buffer
      - .offset:         56
        .size:           8
        .value_kind:     by_value
      - .offset:         64
        .size:           4
        .value_kind:     by_value
      - .actual_access:  write_only
        .address_space:  global
        .offset:         72
        .size:           8
        .value_kind:     global_buffer
      - .actual_access:  write_only
        .address_space:  global
        .offset:         80
        .size:           8
        .value_kind:     global_buffer
      - .actual_access:  write_only
        .address_space:  global
        .offset:         88
        .size:           8
        .value_kind:     global_buffer
    .group_segment_fixed_size: 0
    .kernarg_segment_align: 8
    .kernarg_segment_size: 96
    .language:       OpenCL C
    .language_version:
      - 2
      - 0
    .max_flat_workgroup_size: 256
    .name:           _ZN9rocsparseL32bsr2csr_block_per_row_2_7_kernelILj256ELj2EiilEEv20rocsparse_direction_T3_S2_21rocsparse_index_base_PKT1_PKT2_PKS2_S2_S3_PS4_PS7_PS2_
    .private_segment_fixed_size: 0
    .sgpr_count:     24
    .sgpr_spill_count: 0
    .symbol:         _ZN9rocsparseL32bsr2csr_block_per_row_2_7_kernelILj256ELj2EiilEEv20rocsparse_direction_T3_S2_21rocsparse_index_base_PKT1_PKT2_PKS2_S2_S3_PS4_PS7_PS2_.kd
    .uniform_work_group_size: 1
    .uses_dynamic_stack: false
    .vgpr_count:     30
    .vgpr_spill_count: 0
    .wavefront_size: 64
  - .agpr_count:     0
    .args:
      - .offset:         0
        .size:           4
        .value_kind:     by_value
      - .offset:         8
        .size:           8
        .value_kind:     by_value
      - .offset:         16
        .size:           8
        .value_kind:     by_value
      - .offset:         24
        .size:           4
        .value_kind:     by_value
      - .actual_access:  read_only
        .address_space:  global
        .offset:         32
        .size:           8
        .value_kind:     global_buffer
      - .actual_access:  read_only
        .address_space:  global
        .offset:         40
        .size:           8
        .value_kind:     global_buffer
      - .actual_access:  read_only
        .address_space:  global
        .offset:         48
        .size:           8
        .value_kind:     global_buffer
      - .offset:         56
        .size:           8
        .value_kind:     by_value
      - .offset:         64
        .size:           4
        .value_kind:     by_value
      - .actual_access:  write_only
        .address_space:  global
        .offset:         72
        .size:           8
        .value_kind:     global_buffer
      - .actual_access:  write_only
        .address_space:  global
        .offset:         80
        .size:           8
        .value_kind:     global_buffer
      - .actual_access:  write_only
        .address_space:  global
        .offset:         88
        .size:           8
        .value_kind:     global_buffer
    .group_segment_fixed_size: 0
    .kernarg_segment_align: 8
    .kernarg_segment_size: 96
    .language:       OpenCL C
    .language_version:
      - 2
      - 0
    .max_flat_workgroup_size: 256
    .name:           _ZN9rocsparseL32bsr2csr_block_per_row_2_7_kernelILj256ELj3EiilEEv20rocsparse_direction_T3_S2_21rocsparse_index_base_PKT1_PKT2_PKS2_S2_S3_PS4_PS7_PS2_
    .private_segment_fixed_size: 0
    .sgpr_count:     21
    .sgpr_spill_count: 0
    .symbol:         _ZN9rocsparseL32bsr2csr_block_per_row_2_7_kernelILj256ELj3EiilEEv20rocsparse_direction_T3_S2_21rocsparse_index_base_PKT1_PKT2_PKS2_S2_S3_PS4_PS7_PS2_.kd
    .uniform_work_group_size: 1
    .uses_dynamic_stack: false
    .vgpr_count:     27
    .vgpr_spill_count: 0
    .wavefront_size: 64
  - .agpr_count:     0
    .args:
      - .offset:         0
        .size:           4
        .value_kind:     by_value
      - .offset:         8
        .size:           8
        .value_kind:     by_value
      - .offset:         16
        .size:           8
        .value_kind:     by_value
      - .offset:         24
        .size:           4
        .value_kind:     by_value
      - .actual_access:  read_only
        .address_space:  global
        .offset:         32
        .size:           8
        .value_kind:     global_buffer
      - .actual_access:  read_only
        .address_space:  global
        .offset:         40
        .size:           8
        .value_kind:     global_buffer
      - .actual_access:  read_only
        .address_space:  global
        .offset:         48
        .size:           8
        .value_kind:     global_buffer
      - .offset:         56
        .size:           8
        .value_kind:     by_value
      - .offset:         64
        .size:           4
        .value_kind:     by_value
      - .actual_access:  write_only
        .address_space:  global
        .offset:         72
        .size:           8
        .value_kind:     global_buffer
      - .actual_access:  write_only
        .address_space:  global
        .offset:         80
        .size:           8
        .value_kind:     global_buffer
      - .actual_access:  write_only
        .address_space:  global
        .offset:         88
        .size:           8
        .value_kind:     global_buffer
    .group_segment_fixed_size: 0
    .kernarg_segment_align: 8
    .kernarg_segment_size: 96
    .language:       OpenCL C
    .language_version:
      - 2
      - 0
    .max_flat_workgroup_size: 256
    .name:           _ZN9rocsparseL32bsr2csr_block_per_row_2_7_kernelILj256ELj4EiilEEv20rocsparse_direction_T3_S2_21rocsparse_index_base_PKT1_PKT2_PKS2_S2_S3_PS4_PS7_PS2_
    .private_segment_fixed_size: 0
    .sgpr_count:     20
    .sgpr_spill_count: 0
    .symbol:         _ZN9rocsparseL32bsr2csr_block_per_row_2_7_kernelILj256ELj4EiilEEv20rocsparse_direction_T3_S2_21rocsparse_index_base_PKT1_PKT2_PKS2_S2_S3_PS4_PS7_PS2_.kd
    .uniform_work_group_size: 1
    .uses_dynamic_stack: false
    .vgpr_count:     30
    .vgpr_spill_count: 0
    .wavefront_size: 64
  - .agpr_count:     0
    .args:
      - .offset:         0
        .size:           4
        .value_kind:     by_value
      - .offset:         8
        .size:           8
        .value_kind:     by_value
      - .offset:         16
        .size:           8
        .value_kind:     by_value
      - .offset:         24
        .size:           4
        .value_kind:     by_value
      - .actual_access:  read_only
        .address_space:  global
        .offset:         32
        .size:           8
        .value_kind:     global_buffer
      - .actual_access:  read_only
        .address_space:  global
        .offset:         40
        .size:           8
        .value_kind:     global_buffer
      - .actual_access:  read_only
        .address_space:  global
        .offset:         48
        .size:           8
        .value_kind:     global_buffer
      - .offset:         56
        .size:           8
        .value_kind:     by_value
      - .offset:         64
        .size:           4
        .value_kind:     by_value
      - .actual_access:  write_only
        .address_space:  global
        .offset:         72
        .size:           8
        .value_kind:     global_buffer
      - .actual_access:  write_only
        .address_space:  global
        .offset:         80
        .size:           8
        .value_kind:     global_buffer
      - .actual_access:  write_only
        .address_space:  global
        .offset:         88
        .size:           8
        .value_kind:     global_buffer
    .group_segment_fixed_size: 0
    .kernarg_segment_align: 8
    .kernarg_segment_size: 96
    .language:       OpenCL C
    .language_version:
      - 2
      - 0
    .max_flat_workgroup_size: 256
    .name:           _ZN9rocsparseL32bsr2csr_block_per_row_2_7_kernelILj256ELj5EiilEEv20rocsparse_direction_T3_S2_21rocsparse_index_base_PKT1_PKT2_PKS2_S2_S3_PS4_PS7_PS2_
    .private_segment_fixed_size: 0
    .sgpr_count:     24
    .sgpr_spill_count: 0
    .symbol:         _ZN9rocsparseL32bsr2csr_block_per_row_2_7_kernelILj256ELj5EiilEEv20rocsparse_direction_T3_S2_21rocsparse_index_base_PKT1_PKT2_PKS2_S2_S3_PS4_PS7_PS2_.kd
    .uniform_work_group_size: 1
    .uses_dynamic_stack: false
    .vgpr_count:     36
    .vgpr_spill_count: 0
    .wavefront_size: 64
  - .agpr_count:     0
    .args:
      - .offset:         0
        .size:           4
        .value_kind:     by_value
      - .offset:         8
        .size:           8
        .value_kind:     by_value
      - .offset:         16
        .size:           8
        .value_kind:     by_value
      - .offset:         24
        .size:           4
        .value_kind:     by_value
      - .actual_access:  read_only
        .address_space:  global
        .offset:         32
        .size:           8
        .value_kind:     global_buffer
      - .actual_access:  read_only
        .address_space:  global
        .offset:         40
        .size:           8
        .value_kind:     global_buffer
      - .actual_access:  read_only
        .address_space:  global
        .offset:         48
        .size:           8
        .value_kind:     global_buffer
      - .offset:         56
        .size:           8
        .value_kind:     by_value
      - .offset:         64
        .size:           4
        .value_kind:     by_value
      - .actual_access:  write_only
        .address_space:  global
        .offset:         72
        .size:           8
        .value_kind:     global_buffer
      - .actual_access:  write_only
        .address_space:  global
        .offset:         80
        .size:           8
        .value_kind:     global_buffer
      - .actual_access:  write_only
        .address_space:  global
        .offset:         88
        .size:           8
        .value_kind:     global_buffer
    .group_segment_fixed_size: 0
    .kernarg_segment_align: 8
    .kernarg_segment_size: 96
    .language:       OpenCL C
    .language_version:
      - 2
      - 0
    .max_flat_workgroup_size: 256
    .name:           _ZN9rocsparseL32bsr2csr_block_per_row_2_7_kernelILj256ELj6EiilEEv20rocsparse_direction_T3_S2_21rocsparse_index_base_PKT1_PKT2_PKS2_S2_S3_PS4_PS7_PS2_
    .private_segment_fixed_size: 0
    .sgpr_count:     26
    .sgpr_spill_count: 0
    .symbol:         _ZN9rocsparseL32bsr2csr_block_per_row_2_7_kernelILj256ELj6EiilEEv20rocsparse_direction_T3_S2_21rocsparse_index_base_PKT1_PKT2_PKS2_S2_S3_PS4_PS7_PS2_.kd
    .uniform_work_group_size: 1
    .uses_dynamic_stack: false
    .vgpr_count:     40
    .vgpr_spill_count: 0
    .wavefront_size: 64
  - .agpr_count:     0
    .args:
      - .offset:         0
        .size:           4
        .value_kind:     by_value
      - .offset:         8
        .size:           8
        .value_kind:     by_value
      - .offset:         16
        .size:           8
        .value_kind:     by_value
      - .offset:         24
        .size:           4
        .value_kind:     by_value
      - .actual_access:  read_only
        .address_space:  global
        .offset:         32
        .size:           8
        .value_kind:     global_buffer
      - .actual_access:  read_only
        .address_space:  global
        .offset:         40
        .size:           8
        .value_kind:     global_buffer
      - .actual_access:  read_only
        .address_space:  global
        .offset:         48
        .size:           8
        .value_kind:     global_buffer
      - .offset:         56
        .size:           8
        .value_kind:     by_value
      - .offset:         64
        .size:           4
        .value_kind:     by_value
      - .actual_access:  write_only
        .address_space:  global
        .offset:         72
        .size:           8
        .value_kind:     global_buffer
      - .actual_access:  write_only
        .address_space:  global
        .offset:         80
        .size:           8
        .value_kind:     global_buffer
      - .actual_access:  write_only
        .address_space:  global
        .offset:         88
        .size:           8
        .value_kind:     global_buffer
    .group_segment_fixed_size: 0
    .kernarg_segment_align: 8
    .kernarg_segment_size: 96
    .language:       OpenCL C
    .language_version:
      - 2
      - 0
    .max_flat_workgroup_size: 256
    .name:           _ZN9rocsparseL32bsr2csr_block_per_row_2_7_kernelILj256ELj7EiilEEv20rocsparse_direction_T3_S2_21rocsparse_index_base_PKT1_PKT2_PKS2_S2_S3_PS4_PS7_PS2_
    .private_segment_fixed_size: 0
    .sgpr_count:     29
    .sgpr_spill_count: 0
    .symbol:         _ZN9rocsparseL32bsr2csr_block_per_row_2_7_kernelILj256ELj7EiilEEv20rocsparse_direction_T3_S2_21rocsparse_index_base_PKT1_PKT2_PKS2_S2_S3_PS4_PS7_PS2_.kd
    .uniform_work_group_size: 1
    .uses_dynamic_stack: false
    .vgpr_count:     44
    .vgpr_spill_count: 0
    .wavefront_size: 64
  - .agpr_count:     0
    .args:
      - .offset:         0
        .size:           4
        .value_kind:     by_value
      - .offset:         8
        .size:           8
        .value_kind:     by_value
      - .offset:         16
        .size:           8
        .value_kind:     by_value
      - .offset:         24
        .size:           4
        .value_kind:     by_value
      - .actual_access:  read_only
        .address_space:  global
        .offset:         32
        .size:           8
        .value_kind:     global_buffer
      - .actual_access:  read_only
        .address_space:  global
        .offset:         40
        .size:           8
        .value_kind:     global_buffer
      - .actual_access:  read_only
        .address_space:  global
        .offset:         48
        .size:           8
        .value_kind:     global_buffer
      - .offset:         56
        .size:           8
        .value_kind:     by_value
      - .offset:         64
        .size:           4
        .value_kind:     by_value
      - .actual_access:  write_only
        .address_space:  global
        .offset:         72
        .size:           8
        .value_kind:     global_buffer
      - .actual_access:  write_only
        .address_space:  global
        .offset:         80
        .size:           8
        .value_kind:     global_buffer
      - .actual_access:  write_only
        .address_space:  global
        .offset:         88
        .size:           8
        .value_kind:     global_buffer
    .group_segment_fixed_size: 0
    .kernarg_segment_align: 8
    .kernarg_segment_size: 96
    .language:       OpenCL C
    .language_version:
      - 2
      - 0
    .max_flat_workgroup_size: 1024
    .name:           _ZN9rocsparseL33bsr2csr_block_per_row_8_32_kernelILj1024ELj8EiilEEv20rocsparse_direction_T3_S2_21rocsparse_index_base_PKT1_PKT2_PKS2_S2_S3_PS4_PS7_PS2_
    .private_segment_fixed_size: 0
    .sgpr_count:     25
    .sgpr_spill_count: 0
    .symbol:         _ZN9rocsparseL33bsr2csr_block_per_row_8_32_kernelILj1024ELj8EiilEEv20rocsparse_direction_T3_S2_21rocsparse_index_base_PKT1_PKT2_PKS2_S2_S3_PS4_PS7_PS2_.kd
    .uniform_work_group_size: 1
    .uses_dynamic_stack: false
    .vgpr_count:     22
    .vgpr_spill_count: 0
    .wavefront_size: 64
  - .agpr_count:     0
    .args:
      - .offset:         0
        .size:           4
        .value_kind:     by_value
      - .offset:         8
        .size:           8
        .value_kind:     by_value
      - .offset:         16
        .size:           8
        .value_kind:     by_value
      - .offset:         24
        .size:           4
        .value_kind:     by_value
      - .actual_access:  read_only
        .address_space:  global
        .offset:         32
        .size:           8
        .value_kind:     global_buffer
      - .actual_access:  read_only
        .address_space:  global
        .offset:         40
        .size:           8
        .value_kind:     global_buffer
      - .actual_access:  read_only
        .address_space:  global
        .offset:         48
        .size:           8
        .value_kind:     global_buffer
      - .offset:         56
        .size:           8
        .value_kind:     by_value
      - .offset:         64
        .size:           4
        .value_kind:     by_value
      - .actual_access:  write_only
        .address_space:  global
        .offset:         72
        .size:           8
        .value_kind:     global_buffer
      - .actual_access:  write_only
        .address_space:  global
        .offset:         80
        .size:           8
        .value_kind:     global_buffer
      - .actual_access:  write_only
        .address_space:  global
        .offset:         88
        .size:           8
        .value_kind:     global_buffer
    .group_segment_fixed_size: 0
    .kernarg_segment_align: 8
    .kernarg_segment_size: 96
    .language:       OpenCL C
    .language_version:
      - 2
      - 0
    .max_flat_workgroup_size: 1024
    .name:           _ZN9rocsparseL33bsr2csr_block_per_row_8_32_kernelILj1024ELj16EiilEEv20rocsparse_direction_T3_S2_21rocsparse_index_base_PKT1_PKT2_PKS2_S2_S3_PS4_PS7_PS2_
    .private_segment_fixed_size: 0
    .sgpr_count:     25
    .sgpr_spill_count: 0
    .symbol:         _ZN9rocsparseL33bsr2csr_block_per_row_8_32_kernelILj1024ELj16EiilEEv20rocsparse_direction_T3_S2_21rocsparse_index_base_PKT1_PKT2_PKS2_S2_S3_PS4_PS7_PS2_.kd
    .uniform_work_group_size: 1
    .uses_dynamic_stack: false
    .vgpr_count:     22
    .vgpr_spill_count: 0
    .wavefront_size: 64
  - .agpr_count:     0
    .args:
      - .offset:         0
        .size:           4
        .value_kind:     by_value
      - .offset:         8
        .size:           8
        .value_kind:     by_value
      - .offset:         16
        .size:           8
        .value_kind:     by_value
      - .offset:         24
        .size:           4
        .value_kind:     by_value
      - .actual_access:  read_only
        .address_space:  global
        .offset:         32
        .size:           8
        .value_kind:     global_buffer
      - .actual_access:  read_only
        .address_space:  global
        .offset:         40
        .size:           8
        .value_kind:     global_buffer
      - .actual_access:  read_only
        .address_space:  global
        .offset:         48
        .size:           8
        .value_kind:     global_buffer
      - .offset:         56
        .size:           8
        .value_kind:     by_value
      - .offset:         64
        .size:           4
        .value_kind:     by_value
      - .actual_access:  write_only
        .address_space:  global
        .offset:         72
        .size:           8
        .value_kind:     global_buffer
      - .actual_access:  write_only
        .address_space:  global
        .offset:         80
        .size:           8
        .value_kind:     global_buffer
      - .actual_access:  write_only
        .address_space:  global
        .offset:         88
        .size:           8
        .value_kind:     global_buffer
    .group_segment_fixed_size: 0
    .kernarg_segment_align: 8
    .kernarg_segment_size: 96
    .language:       OpenCL C
    .language_version:
      - 2
      - 0
    .max_flat_workgroup_size: 1024
    .name:           _ZN9rocsparseL33bsr2csr_block_per_row_8_32_kernelILj1024ELj32EiilEEv20rocsparse_direction_T3_S2_21rocsparse_index_base_PKT1_PKT2_PKS2_S2_S3_PS4_PS7_PS2_
    .private_segment_fixed_size: 0
    .sgpr_count:     24
    .sgpr_spill_count: 0
    .symbol:         _ZN9rocsparseL33bsr2csr_block_per_row_8_32_kernelILj1024ELj32EiilEEv20rocsparse_direction_T3_S2_21rocsparse_index_base_PKT1_PKT2_PKS2_S2_S3_PS4_PS7_PS2_.kd
    .uniform_work_group_size: 1
    .uses_dynamic_stack: false
    .vgpr_count:     18
    .vgpr_spill_count: 0
    .wavefront_size: 64
  - .agpr_count:     0
    .args:
      - .offset:         0
        .size:           4
        .value_kind:     by_value
      - .offset:         8
        .size:           8
        .value_kind:     by_value
      - .offset:         16
        .size:           8
        .value_kind:     by_value
      - .offset:         24
        .size:           4
        .value_kind:     by_value
      - .actual_access:  read_only
        .address_space:  global
        .offset:         32
        .size:           8
        .value_kind:     global_buffer
      - .actual_access:  read_only
        .address_space:  global
        .offset:         40
        .size:           8
        .value_kind:     global_buffer
      - .actual_access:  read_only
        .address_space:  global
        .offset:         48
        .size:           8
        .value_kind:     global_buffer
      - .offset:         56
        .size:           8
        .value_kind:     by_value
      - .offset:         64
        .size:           4
        .value_kind:     by_value
      - .actual_access:  write_only
        .address_space:  global
        .offset:         72
        .size:           8
        .value_kind:     global_buffer
      - .actual_access:  write_only
        .address_space:  global
        .offset:         80
        .size:           8
        .value_kind:     global_buffer
      - .actual_access:  write_only
        .address_space:  global
        .offset:         88
        .size:           8
        .value_kind:     global_buffer
    .group_segment_fixed_size: 0
    .kernarg_segment_align: 8
    .kernarg_segment_size: 96
    .language:       OpenCL C
    .language_version:
      - 2
      - 0
    .max_flat_workgroup_size: 1024
    .name:           _ZN9rocsparseL35bsr2csr_block_per_row_33_256_kernelILj1024ELj64ELj32EiilEEv20rocsparse_direction_T4_S2_21rocsparse_index_base_PKT2_PKT3_PKS2_S2_S3_PS4_PS7_PS2_
    .private_segment_fixed_size: 0
    .sgpr_count:     36
    .sgpr_spill_count: 0
    .symbol:         _ZN9rocsparseL35bsr2csr_block_per_row_33_256_kernelILj1024ELj64ELj32EiilEEv20rocsparse_direction_T4_S2_21rocsparse_index_base_PKT2_PKT3_PKS2_S2_S3_PS4_PS7_PS2_.kd
    .uniform_work_group_size: 1
    .uses_dynamic_stack: false
    .vgpr_count:     24
    .vgpr_spill_count: 0
    .wavefront_size: 64
  - .agpr_count:     0
    .args:
      - .offset:         0
        .size:           4
        .value_kind:     by_value
      - .offset:         8
        .size:           8
        .value_kind:     by_value
      - .offset:         16
        .size:           8
        .value_kind:     by_value
      - .offset:         24
        .size:           4
        .value_kind:     by_value
      - .actual_access:  read_only
        .address_space:  global
        .offset:         32
        .size:           8
        .value_kind:     global_buffer
      - .actual_access:  read_only
        .address_space:  global
        .offset:         40
        .size:           8
        .value_kind:     global_buffer
      - .actual_access:  read_only
        .address_space:  global
        .offset:         48
        .size:           8
        .value_kind:     global_buffer
      - .offset:         56
        .size:           8
        .value_kind:     by_value
      - .offset:         64
        .size:           4
        .value_kind:     by_value
      - .actual_access:  write_only
        .address_space:  global
        .offset:         72
        .size:           8
        .value_kind:     global_buffer
      - .actual_access:  write_only
        .address_space:  global
        .offset:         80
        .size:           8
        .value_kind:     global_buffer
      - .actual_access:  write_only
        .address_space:  global
        .offset:         88
        .size:           8
        .value_kind:     global_buffer
    .group_segment_fixed_size: 0
    .kernarg_segment_align: 8
    .kernarg_segment_size: 96
    .language:       OpenCL C
    .language_version:
      - 2
      - 0
    .max_flat_workgroup_size: 1024
    .name:           _ZN9rocsparseL35bsr2csr_block_per_row_33_256_kernelILj1024ELj128ELj32EiilEEv20rocsparse_direction_T4_S2_21rocsparse_index_base_PKT2_PKT3_PKS2_S2_S3_PS4_PS7_PS2_
    .private_segment_fixed_size: 0
    .sgpr_count:     64
    .sgpr_spill_count: 0
    .symbol:         _ZN9rocsparseL35bsr2csr_block_per_row_33_256_kernelILj1024ELj128ELj32EiilEEv20rocsparse_direction_T4_S2_21rocsparse_index_base_PKT2_PKT3_PKS2_S2_S3_PS4_PS7_PS2_.kd
    .uniform_work_group_size: 1
    .uses_dynamic_stack: false
    .vgpr_count:     41
    .vgpr_spill_count: 0
    .wavefront_size: 64
  - .agpr_count:     0
    .args:
      - .offset:         0
        .size:           4
        .value_kind:     by_value
      - .offset:         8
        .size:           8
        .value_kind:     by_value
      - .offset:         16
        .size:           8
        .value_kind:     by_value
      - .offset:         24
        .size:           4
        .value_kind:     by_value
      - .actual_access:  read_only
        .address_space:  global
        .offset:         32
        .size:           8
        .value_kind:     global_buffer
      - .actual_access:  read_only
        .address_space:  global
        .offset:         40
        .size:           8
        .value_kind:     global_buffer
      - .actual_access:  read_only
        .address_space:  global
        .offset:         48
        .size:           8
        .value_kind:     global_buffer
      - .offset:         56
        .size:           8
        .value_kind:     by_value
      - .offset:         64
        .size:           4
        .value_kind:     by_value
      - .actual_access:  write_only
        .address_space:  global
        .offset:         72
        .size:           8
        .value_kind:     global_buffer
      - .actual_access:  write_only
        .address_space:  global
        .offset:         80
        .size:           8
        .value_kind:     global_buffer
      - .actual_access:  write_only
        .address_space:  global
        .offset:         88
        .size:           8
        .value_kind:     global_buffer
    .group_segment_fixed_size: 0
    .kernarg_segment_align: 8
    .kernarg_segment_size: 96
    .language:       OpenCL C
    .language_version:
      - 2
      - 0
    .max_flat_workgroup_size: 1024
    .name:           _ZN9rocsparseL35bsr2csr_block_per_row_33_256_kernelILj1024ELj256ELj32EiilEEv20rocsparse_direction_T4_S2_21rocsparse_index_base_PKT2_PKT3_PKS2_S2_S3_PS4_PS7_PS2_
    .private_segment_fixed_size: 0
    .sgpr_count:     100
    .sgpr_spill_count: 63
    .symbol:         _ZN9rocsparseL35bsr2csr_block_per_row_33_256_kernelILj1024ELj256ELj32EiilEEv20rocsparse_direction_T4_S2_21rocsparse_index_base_PKT2_PKT3_PKS2_S2_S3_PS4_PS7_PS2_.kd
    .uniform_work_group_size: 1
    .uses_dynamic_stack: false
    .vgpr_count:     85
    .vgpr_spill_count: 0
    .wavefront_size: 64
  - .agpr_count:     0
    .args:
      - .offset:         0
        .size:           8
        .value_kind:     by_value
      - .offset:         8
        .size:           8
        .value_kind:     by_value
      - .offset:         16
        .size:           4
        .value_kind:     by_value
      - .actual_access:  read_only
        .address_space:  global
        .offset:         24
        .size:           8
        .value_kind:     global_buffer
      - .actual_access:  read_only
        .address_space:  global
        .offset:         32
        .size:           8
        .value_kind:     global_buffer
      - .actual_access:  read_only
        .address_space:  global
        .offset:         40
        .size:           8
        .value_kind:     global_buffer
      - .offset:         48
        .size:           4
        .value_kind:     by_value
      - .actual_access:  write_only
        .address_space:  global
        .offset:         56
        .size:           8
        .value_kind:     global_buffer
      - .actual_access:  write_only
        .address_space:  global
        .offset:         64
        .size:           8
        .value_kind:     global_buffer
      - .actual_access:  write_only
        .address_space:  global
        .offset:         72
        .size:           8
        .value_kind:     global_buffer
      - .offset:         80
        .size:           4
        .value_kind:     hidden_block_count_x
      - .offset:         84
        .size:           4
        .value_kind:     hidden_block_count_y
      - .offset:         88
        .size:           4
        .value_kind:     hidden_block_count_z
      - .offset:         92
        .size:           2
        .value_kind:     hidden_group_size_x
      - .offset:         94
        .size:           2
        .value_kind:     hidden_group_size_y
      - .offset:         96
        .size:           2
        .value_kind:     hidden_group_size_z
      - .offset:         98
        .size:           2
        .value_kind:     hidden_remainder_x
      - .offset:         100
        .size:           2
        .value_kind:     hidden_remainder_y
      - .offset:         102
        .size:           2
        .value_kind:     hidden_remainder_z
      - .offset:         120
        .size:           8
        .value_kind:     hidden_global_offset_x
      - .offset:         128
        .size:           8
        .value_kind:     hidden_global_offset_y
      - .offset:         136
        .size:           8
        .value_kind:     hidden_global_offset_z
      - .offset:         144
        .size:           2
        .value_kind:     hidden_grid_dims
    .group_segment_fixed_size: 0
    .kernarg_segment_align: 8
    .kernarg_segment_size: 336
    .language:       OpenCL C
    .language_version:
      - 2
      - 0
    .max_flat_workgroup_size: 1024
    .name:           _ZN9rocsparseL35bsr2csr_block_dim_equals_one_kernelILj1024EillEEvT2_S1_21rocsparse_index_base_PKT0_PKT1_PKS1_S2_PS3_PS6_PS1_
    .private_segment_fixed_size: 0
    .sgpr_count:     30
    .sgpr_spill_count: 0
    .symbol:         _ZN9rocsparseL35bsr2csr_block_dim_equals_one_kernelILj1024EillEEvT2_S1_21rocsparse_index_base_PKT0_PKT1_PKS1_S2_PS3_PS6_PS1_.kd
    .uniform_work_group_size: 1
    .uses_dynamic_stack: false
    .vgpr_count:     21
    .vgpr_spill_count: 0
    .wavefront_size: 64
  - .agpr_count:     0
    .args:
      - .offset:         0
        .size:           4
        .value_kind:     by_value
      - .offset:         8
        .size:           8
        .value_kind:     by_value
      - .offset:         16
        .size:           8
        .value_kind:     by_value
      - .offset:         24
        .size:           4
        .value_kind:     by_value
      - .actual_access:  read_only
        .address_space:  global
        .offset:         32
        .size:           8
        .value_kind:     global_buffer
      - .actual_access:  read_only
        .address_space:  global
        .offset:         40
        .size:           8
        .value_kind:     global_buffer
      - .actual_access:  read_only
        .address_space:  global
        .offset:         48
        .size:           8
        .value_kind:     global_buffer
      - .offset:         56
        .size:           8
        .value_kind:     by_value
      - .offset:         64
        .size:           4
        .value_kind:     by_value
      - .actual_access:  write_only
        .address_space:  global
        .offset:         72
        .size:           8
        .value_kind:     global_buffer
      - .actual_access:  write_only
        .address_space:  global
        .offset:         80
        .size:           8
        .value_kind:     global_buffer
      - .actual_access:  write_only
        .address_space:  global
        .offset:         88
        .size:           8
        .value_kind:     global_buffer
    .group_segment_fixed_size: 0
    .kernarg_segment_align: 8
    .kernarg_segment_size: 96
    .language:       OpenCL C
    .language_version:
      - 2
      - 0
    .max_flat_workgroup_size: 256
    .name:           _ZN9rocsparseL32bsr2csr_block_per_row_2_7_kernelILj256ELj2EillEEv20rocsparse_direction_T3_S2_21rocsparse_index_base_PKT1_PKT2_PKS2_S2_S3_PS4_PS7_PS2_
    .private_segment_fixed_size: 0
    .sgpr_count:     28
    .sgpr_spill_count: 0
    .symbol:         _ZN9rocsparseL32bsr2csr_block_per_row_2_7_kernelILj256ELj2EillEEv20rocsparse_direction_T3_S2_21rocsparse_index_base_PKT1_PKT2_PKS2_S2_S3_PS4_PS7_PS2_.kd
    .uniform_work_group_size: 1
    .uses_dynamic_stack: false
    .vgpr_count:     24
    .vgpr_spill_count: 0
    .wavefront_size: 64
  - .agpr_count:     0
    .args:
      - .offset:         0
        .size:           4
        .value_kind:     by_value
      - .offset:         8
        .size:           8
        .value_kind:     by_value
      - .offset:         16
        .size:           8
        .value_kind:     by_value
      - .offset:         24
        .size:           4
        .value_kind:     by_value
      - .actual_access:  read_only
        .address_space:  global
        .offset:         32
        .size:           8
        .value_kind:     global_buffer
      - .actual_access:  read_only
        .address_space:  global
        .offset:         40
        .size:           8
        .value_kind:     global_buffer
      - .actual_access:  read_only
        .address_space:  global
        .offset:         48
        .size:           8
        .value_kind:     global_buffer
      - .offset:         56
        .size:           8
        .value_kind:     by_value
      - .offset:         64
        .size:           4
        .value_kind:     by_value
      - .actual_access:  write_only
        .address_space:  global
        .offset:         72
        .size:           8
        .value_kind:     global_buffer
      - .actual_access:  write_only
        .address_space:  global
        .offset:         80
        .size:           8
        .value_kind:     global_buffer
      - .actual_access:  write_only
        .address_space:  global
        .offset:         88
        .size:           8
        .value_kind:     global_buffer
    .group_segment_fixed_size: 0
    .kernarg_segment_align: 8
    .kernarg_segment_size: 96
    .language:       OpenCL C
    .language_version:
      - 2
      - 0
    .max_flat_workgroup_size: 256
    .name:           _ZN9rocsparseL32bsr2csr_block_per_row_2_7_kernelILj256ELj3EillEEv20rocsparse_direction_T3_S2_21rocsparse_index_base_PKT1_PKT2_PKS2_S2_S3_PS4_PS7_PS2_
    .private_segment_fixed_size: 0
    .sgpr_count:     26
    .sgpr_spill_count: 0
    .symbol:         _ZN9rocsparseL32bsr2csr_block_per_row_2_7_kernelILj256ELj3EillEEv20rocsparse_direction_T3_S2_21rocsparse_index_base_PKT1_PKT2_PKS2_S2_S3_PS4_PS7_PS2_.kd
    .uniform_work_group_size: 1
    .uses_dynamic_stack: false
    .vgpr_count:     25
    .vgpr_spill_count: 0
    .wavefront_size: 64
  - .agpr_count:     0
    .args:
      - .offset:         0
        .size:           4
        .value_kind:     by_value
      - .offset:         8
        .size:           8
        .value_kind:     by_value
      - .offset:         16
        .size:           8
        .value_kind:     by_value
      - .offset:         24
        .size:           4
        .value_kind:     by_value
      - .actual_access:  read_only
        .address_space:  global
        .offset:         32
        .size:           8
        .value_kind:     global_buffer
      - .actual_access:  read_only
        .address_space:  global
        .offset:         40
        .size:           8
        .value_kind:     global_buffer
      - .actual_access:  read_only
        .address_space:  global
        .offset:         48
        .size:           8
        .value_kind:     global_buffer
      - .offset:         56
        .size:           8
        .value_kind:     by_value
      - .offset:         64
        .size:           4
        .value_kind:     by_value
      - .actual_access:  write_only
        .address_space:  global
        .offset:         72
        .size:           8
        .value_kind:     global_buffer
      - .actual_access:  write_only
        .address_space:  global
        .offset:         80
        .size:           8
        .value_kind:     global_buffer
      - .actual_access:  write_only
        .address_space:  global
        .offset:         88
        .size:           8
        .value_kind:     global_buffer
    .group_segment_fixed_size: 0
    .kernarg_segment_align: 8
    .kernarg_segment_size: 96
    .language:       OpenCL C
    .language_version:
      - 2
      - 0
    .max_flat_workgroup_size: 256
    .name:           _ZN9rocsparseL32bsr2csr_block_per_row_2_7_kernelILj256ELj4EillEEv20rocsparse_direction_T3_S2_21rocsparse_index_base_PKT1_PKT2_PKS2_S2_S3_PS4_PS7_PS2_
    .private_segment_fixed_size: 0
    .sgpr_count:     34
    .sgpr_spill_count: 0
    .symbol:         _ZN9rocsparseL32bsr2csr_block_per_row_2_7_kernelILj256ELj4EillEEv20rocsparse_direction_T3_S2_21rocsparse_index_base_PKT1_PKT2_PKS2_S2_S3_PS4_PS7_PS2_.kd
    .uniform_work_group_size: 1
    .uses_dynamic_stack: false
    .vgpr_count:     26
    .vgpr_spill_count: 0
    .wavefront_size: 64
  - .agpr_count:     0
    .args:
      - .offset:         0
        .size:           4
        .value_kind:     by_value
      - .offset:         8
        .size:           8
        .value_kind:     by_value
      - .offset:         16
        .size:           8
        .value_kind:     by_value
      - .offset:         24
        .size:           4
        .value_kind:     by_value
      - .actual_access:  read_only
        .address_space:  global
        .offset:         32
        .size:           8
        .value_kind:     global_buffer
      - .actual_access:  read_only
        .address_space:  global
        .offset:         40
        .size:           8
        .value_kind:     global_buffer
      - .actual_access:  read_only
        .address_space:  global
        .offset:         48
        .size:           8
        .value_kind:     global_buffer
      - .offset:         56
        .size:           8
        .value_kind:     by_value
      - .offset:         64
        .size:           4
        .value_kind:     by_value
      - .actual_access:  write_only
        .address_space:  global
        .offset:         72
        .size:           8
        .value_kind:     global_buffer
      - .actual_access:  write_only
        .address_space:  global
        .offset:         80
        .size:           8
        .value_kind:     global_buffer
      - .actual_access:  write_only
        .address_space:  global
        .offset:         88
        .size:           8
        .value_kind:     global_buffer
    .group_segment_fixed_size: 0
    .kernarg_segment_align: 8
    .kernarg_segment_size: 96
    .language:       OpenCL C
    .language_version:
      - 2
      - 0
    .max_flat_workgroup_size: 256
    .name:           _ZN9rocsparseL32bsr2csr_block_per_row_2_7_kernelILj256ELj5EillEEv20rocsparse_direction_T3_S2_21rocsparse_index_base_PKT1_PKT2_PKS2_S2_S3_PS4_PS7_PS2_
    .private_segment_fixed_size: 0
    .sgpr_count:     26
    .sgpr_spill_count: 0
    .symbol:         _ZN9rocsparseL32bsr2csr_block_per_row_2_7_kernelILj256ELj5EillEEv20rocsparse_direction_T3_S2_21rocsparse_index_base_PKT1_PKT2_PKS2_S2_S3_PS4_PS7_PS2_.kd
    .uniform_work_group_size: 1
    .uses_dynamic_stack: false
    .vgpr_count:     27
    .vgpr_spill_count: 0
    .wavefront_size: 64
  - .agpr_count:     0
    .args:
      - .offset:         0
        .size:           4
        .value_kind:     by_value
      - .offset:         8
        .size:           8
        .value_kind:     by_value
      - .offset:         16
        .size:           8
        .value_kind:     by_value
      - .offset:         24
        .size:           4
        .value_kind:     by_value
      - .actual_access:  read_only
        .address_space:  global
        .offset:         32
        .size:           8
        .value_kind:     global_buffer
      - .actual_access:  read_only
        .address_space:  global
        .offset:         40
        .size:           8
        .value_kind:     global_buffer
      - .actual_access:  read_only
        .address_space:  global
        .offset:         48
        .size:           8
        .value_kind:     global_buffer
      - .offset:         56
        .size:           8
        .value_kind:     by_value
      - .offset:         64
        .size:           4
        .value_kind:     by_value
      - .actual_access:  write_only
        .address_space:  global
        .offset:         72
        .size:           8
        .value_kind:     global_buffer
      - .actual_access:  write_only
        .address_space:  global
        .offset:         80
        .size:           8
        .value_kind:     global_buffer
      - .actual_access:  write_only
        .address_space:  global
        .offset:         88
        .size:           8
        .value_kind:     global_buffer
    .group_segment_fixed_size: 0
    .kernarg_segment_align: 8
    .kernarg_segment_size: 96
    .language:       OpenCL C
    .language_version:
      - 2
      - 0
    .max_flat_workgroup_size: 256
    .name:           _ZN9rocsparseL32bsr2csr_block_per_row_2_7_kernelILj256ELj6EillEEv20rocsparse_direction_T3_S2_21rocsparse_index_base_PKT1_PKT2_PKS2_S2_S3_PS4_PS7_PS2_
    .private_segment_fixed_size: 0
    .sgpr_count:     26
    .sgpr_spill_count: 0
    .symbol:         _ZN9rocsparseL32bsr2csr_block_per_row_2_7_kernelILj256ELj6EillEEv20rocsparse_direction_T3_S2_21rocsparse_index_base_PKT1_PKT2_PKS2_S2_S3_PS4_PS7_PS2_.kd
    .uniform_work_group_size: 1
    .uses_dynamic_stack: false
    .vgpr_count:     37
    .vgpr_spill_count: 0
    .wavefront_size: 64
  - .agpr_count:     0
    .args:
      - .offset:         0
        .size:           4
        .value_kind:     by_value
      - .offset:         8
        .size:           8
        .value_kind:     by_value
      - .offset:         16
        .size:           8
        .value_kind:     by_value
      - .offset:         24
        .size:           4
        .value_kind:     by_value
      - .actual_access:  read_only
        .address_space:  global
        .offset:         32
        .size:           8
        .value_kind:     global_buffer
      - .actual_access:  read_only
        .address_space:  global
        .offset:         40
        .size:           8
        .value_kind:     global_buffer
      - .actual_access:  read_only
        .address_space:  global
        .offset:         48
        .size:           8
        .value_kind:     global_buffer
      - .offset:         56
        .size:           8
        .value_kind:     by_value
      - .offset:         64
        .size:           4
        .value_kind:     by_value
      - .actual_access:  write_only
        .address_space:  global
        .offset:         72
        .size:           8
        .value_kind:     global_buffer
      - .actual_access:  write_only
        .address_space:  global
        .offset:         80
        .size:           8
        .value_kind:     global_buffer
      - .actual_access:  write_only
        .address_space:  global
        .offset:         88
        .size:           8
        .value_kind:     global_buffer
    .group_segment_fixed_size: 0
    .kernarg_segment_align: 8
    .kernarg_segment_size: 96
    .language:       OpenCL C
    .language_version:
      - 2
      - 0
    .max_flat_workgroup_size: 256
    .name:           _ZN9rocsparseL32bsr2csr_block_per_row_2_7_kernelILj256ELj7EillEEv20rocsparse_direction_T3_S2_21rocsparse_index_base_PKT1_PKT2_PKS2_S2_S3_PS4_PS7_PS2_
    .private_segment_fixed_size: 0
    .sgpr_count:     26
    .sgpr_spill_count: 0
    .symbol:         _ZN9rocsparseL32bsr2csr_block_per_row_2_7_kernelILj256ELj7EillEEv20rocsparse_direction_T3_S2_21rocsparse_index_base_PKT1_PKT2_PKS2_S2_S3_PS4_PS7_PS2_.kd
    .uniform_work_group_size: 1
    .uses_dynamic_stack: false
    .vgpr_count:     30
    .vgpr_spill_count: 0
    .wavefront_size: 64
  - .agpr_count:     0
    .args:
      - .offset:         0
        .size:           4
        .value_kind:     by_value
      - .offset:         8
        .size:           8
        .value_kind:     by_value
      - .offset:         16
        .size:           8
        .value_kind:     by_value
      - .offset:         24
        .size:           4
        .value_kind:     by_value
      - .actual_access:  read_only
        .address_space:  global
        .offset:         32
        .size:           8
        .value_kind:     global_buffer
      - .actual_access:  read_only
        .address_space:  global
        .offset:         40
        .size:           8
        .value_kind:     global_buffer
      - .actual_access:  read_only
        .address_space:  global
        .offset:         48
        .size:           8
        .value_kind:     global_buffer
      - .offset:         56
        .size:           8
        .value_kind:     by_value
      - .offset:         64
        .size:           4
        .value_kind:     by_value
      - .actual_access:  write_only
        .address_space:  global
        .offset:         72
        .size:           8
        .value_kind:     global_buffer
      - .actual_access:  write_only
        .address_space:  global
        .offset:         80
        .size:           8
        .value_kind:     global_buffer
      - .actual_access:  write_only
        .address_space:  global
        .offset:         88
        .size:           8
        .value_kind:     global_buffer
    .group_segment_fixed_size: 0
    .kernarg_segment_align: 8
    .kernarg_segment_size: 96
    .language:       OpenCL C
    .language_version:
      - 2
      - 0
    .max_flat_workgroup_size: 1024
    .name:           _ZN9rocsparseL33bsr2csr_block_per_row_8_32_kernelILj1024ELj8EillEEv20rocsparse_direction_T3_S2_21rocsparse_index_base_PKT1_PKT2_PKS2_S2_S3_PS4_PS7_PS2_
    .private_segment_fixed_size: 0
    .sgpr_count:     29
    .sgpr_spill_count: 0
    .symbol:         _ZN9rocsparseL33bsr2csr_block_per_row_8_32_kernelILj1024ELj8EillEEv20rocsparse_direction_T3_S2_21rocsparse_index_base_PKT1_PKT2_PKS2_S2_S3_PS4_PS7_PS2_.kd
    .uniform_work_group_size: 1
    .uses_dynamic_stack: false
    .vgpr_count:     19
    .vgpr_spill_count: 0
    .wavefront_size: 64
  - .agpr_count:     0
    .args:
      - .offset:         0
        .size:           4
        .value_kind:     by_value
      - .offset:         8
        .size:           8
        .value_kind:     by_value
      - .offset:         16
        .size:           8
        .value_kind:     by_value
      - .offset:         24
        .size:           4
        .value_kind:     by_value
      - .actual_access:  read_only
        .address_space:  global
        .offset:         32
        .size:           8
        .value_kind:     global_buffer
      - .actual_access:  read_only
        .address_space:  global
        .offset:         40
        .size:           8
        .value_kind:     global_buffer
      - .actual_access:  read_only
        .address_space:  global
        .offset:         48
        .size:           8
        .value_kind:     global_buffer
      - .offset:         56
        .size:           8
        .value_kind:     by_value
      - .offset:         64
        .size:           4
        .value_kind:     by_value
      - .actual_access:  write_only
        .address_space:  global
        .offset:         72
        .size:           8
        .value_kind:     global_buffer
      - .actual_access:  write_only
        .address_space:  global
        .offset:         80
        .size:           8
        .value_kind:     global_buffer
      - .actual_access:  write_only
        .address_space:  global
        .offset:         88
        .size:           8
        .value_kind:     global_buffer
    .group_segment_fixed_size: 0
    .kernarg_segment_align: 8
    .kernarg_segment_size: 96
    .language:       OpenCL C
    .language_version:
      - 2
      - 0
    .max_flat_workgroup_size: 1024
    .name:           _ZN9rocsparseL33bsr2csr_block_per_row_8_32_kernelILj1024ELj16EillEEv20rocsparse_direction_T3_S2_21rocsparse_index_base_PKT1_PKT2_PKS2_S2_S3_PS4_PS7_PS2_
    .private_segment_fixed_size: 0
    .sgpr_count:     29
    .sgpr_spill_count: 0
    .symbol:         _ZN9rocsparseL33bsr2csr_block_per_row_8_32_kernelILj1024ELj16EillEEv20rocsparse_direction_T3_S2_21rocsparse_index_base_PKT1_PKT2_PKS2_S2_S3_PS4_PS7_PS2_.kd
    .uniform_work_group_size: 1
    .uses_dynamic_stack: false
    .vgpr_count:     19
    .vgpr_spill_count: 0
    .wavefront_size: 64
  - .agpr_count:     0
    .args:
      - .offset:         0
        .size:           4
        .value_kind:     by_value
      - .offset:         8
        .size:           8
        .value_kind:     by_value
      - .offset:         16
        .size:           8
        .value_kind:     by_value
      - .offset:         24
        .size:           4
        .value_kind:     by_value
      - .actual_access:  read_only
        .address_space:  global
        .offset:         32
        .size:           8
        .value_kind:     global_buffer
      - .actual_access:  read_only
        .address_space:  global
        .offset:         40
        .size:           8
        .value_kind:     global_buffer
      - .actual_access:  read_only
        .address_space:  global
        .offset:         48
        .size:           8
        .value_kind:     global_buffer
      - .offset:         56
        .size:           8
        .value_kind:     by_value
      - .offset:         64
        .size:           4
        .value_kind:     by_value
      - .actual_access:  write_only
        .address_space:  global
        .offset:         72
        .size:           8
        .value_kind:     global_buffer
      - .actual_access:  write_only
        .address_space:  global
        .offset:         80
        .size:           8
        .value_kind:     global_buffer
      - .actual_access:  write_only
        .address_space:  global
        .offset:         88
        .size:           8
        .value_kind:     global_buffer
    .group_segment_fixed_size: 0
    .kernarg_segment_align: 8
    .kernarg_segment_size: 96
    .language:       OpenCL C
    .language_version:
      - 2
      - 0
    .max_flat_workgroup_size: 1024
    .name:           _ZN9rocsparseL33bsr2csr_block_per_row_8_32_kernelILj1024ELj32EillEEv20rocsparse_direction_T3_S2_21rocsparse_index_base_PKT1_PKT2_PKS2_S2_S3_PS4_PS7_PS2_
    .private_segment_fixed_size: 0
    .sgpr_count:     33
    .sgpr_spill_count: 0
    .symbol:         _ZN9rocsparseL33bsr2csr_block_per_row_8_32_kernelILj1024ELj32EillEEv20rocsparse_direction_T3_S2_21rocsparse_index_base_PKT1_PKT2_PKS2_S2_S3_PS4_PS7_PS2_.kd
    .uniform_work_group_size: 1
    .uses_dynamic_stack: false
    .vgpr_count:     17
    .vgpr_spill_count: 0
    .wavefront_size: 64
  - .agpr_count:     0
    .args:
      - .offset:         0
        .size:           4
        .value_kind:     by_value
      - .offset:         8
        .size:           8
        .value_kind:     by_value
      - .offset:         16
        .size:           8
        .value_kind:     by_value
      - .offset:         24
        .size:           4
        .value_kind:     by_value
      - .actual_access:  read_only
        .address_space:  global
        .offset:         32
        .size:           8
        .value_kind:     global_buffer
      - .actual_access:  read_only
        .address_space:  global
        .offset:         40
        .size:           8
        .value_kind:     global_buffer
      - .actual_access:  read_only
        .address_space:  global
        .offset:         48
        .size:           8
        .value_kind:     global_buffer
      - .offset:         56
        .size:           8
        .value_kind:     by_value
      - .offset:         64
        .size:           4
        .value_kind:     by_value
      - .actual_access:  write_only
        .address_space:  global
        .offset:         72
        .size:           8
        .value_kind:     global_buffer
      - .actual_access:  write_only
        .address_space:  global
        .offset:         80
        .size:           8
        .value_kind:     global_buffer
      - .actual_access:  write_only
        .address_space:  global
        .offset:         88
        .size:           8
        .value_kind:     global_buffer
    .group_segment_fixed_size: 0
    .kernarg_segment_align: 8
    .kernarg_segment_size: 96
    .language:       OpenCL C
    .language_version:
      - 2
      - 0
    .max_flat_workgroup_size: 1024
    .name:           _ZN9rocsparseL35bsr2csr_block_per_row_33_256_kernelILj1024ELj64ELj32EillEEv20rocsparse_direction_T4_S2_21rocsparse_index_base_PKT2_PKT3_PKS2_S2_S3_PS4_PS7_PS2_
    .private_segment_fixed_size: 0
    .sgpr_count:     46
    .sgpr_spill_count: 0
    .symbol:         _ZN9rocsparseL35bsr2csr_block_per_row_33_256_kernelILj1024ELj64ELj32EillEEv20rocsparse_direction_T4_S2_21rocsparse_index_base_PKT2_PKT3_PKS2_S2_S3_PS4_PS7_PS2_.kd
    .uniform_work_group_size: 1
    .uses_dynamic_stack: false
    .vgpr_count:     27
    .vgpr_spill_count: 0
    .wavefront_size: 64
  - .agpr_count:     0
    .args:
      - .offset:         0
        .size:           4
        .value_kind:     by_value
      - .offset:         8
        .size:           8
        .value_kind:     by_value
      - .offset:         16
        .size:           8
        .value_kind:     by_value
      - .offset:         24
        .size:           4
        .value_kind:     by_value
      - .actual_access:  read_only
        .address_space:  global
        .offset:         32
        .size:           8
        .value_kind:     global_buffer
      - .actual_access:  read_only
        .address_space:  global
        .offset:         40
        .size:           8
        .value_kind:     global_buffer
      - .actual_access:  read_only
        .address_space:  global
        .offset:         48
        .size:           8
        .value_kind:     global_buffer
      - .offset:         56
        .size:           8
        .value_kind:     by_value
      - .offset:         64
        .size:           4
        .value_kind:     by_value
      - .actual_access:  write_only
        .address_space:  global
        .offset:         72
        .size:           8
        .value_kind:     global_buffer
      - .actual_access:  write_only
        .address_space:  global
        .offset:         80
        .size:           8
        .value_kind:     global_buffer
      - .actual_access:  write_only
        .address_space:  global
        .offset:         88
        .size:           8
        .value_kind:     global_buffer
    .group_segment_fixed_size: 0
    .kernarg_segment_align: 8
    .kernarg_segment_size: 96
    .language:       OpenCL C
    .language_version:
      - 2
      - 0
    .max_flat_workgroup_size: 1024
    .name:           _ZN9rocsparseL35bsr2csr_block_per_row_33_256_kernelILj1024ELj128ELj32EillEEv20rocsparse_direction_T4_S2_21rocsparse_index_base_PKT2_PKT3_PKS2_S2_S3_PS4_PS7_PS2_
    .private_segment_fixed_size: 0
    .sgpr_count:     73
    .sgpr_spill_count: 0
    .symbol:         _ZN9rocsparseL35bsr2csr_block_per_row_33_256_kernelILj1024ELj128ELj32EillEEv20rocsparse_direction_T4_S2_21rocsparse_index_base_PKT2_PKT3_PKS2_S2_S3_PS4_PS7_PS2_.kd
    .uniform_work_group_size: 1
    .uses_dynamic_stack: false
    .vgpr_count:     48
    .vgpr_spill_count: 0
    .wavefront_size: 64
  - .agpr_count:     0
    .args:
      - .offset:         0
        .size:           4
        .value_kind:     by_value
      - .offset:         8
        .size:           8
        .value_kind:     by_value
      - .offset:         16
        .size:           8
        .value_kind:     by_value
      - .offset:         24
        .size:           4
        .value_kind:     by_value
      - .actual_access:  read_only
        .address_space:  global
        .offset:         32
        .size:           8
        .value_kind:     global_buffer
      - .actual_access:  read_only
        .address_space:  global
        .offset:         40
        .size:           8
        .value_kind:     global_buffer
      - .actual_access:  read_only
        .address_space:  global
        .offset:         48
        .size:           8
        .value_kind:     global_buffer
      - .offset:         56
        .size:           8
        .value_kind:     by_value
      - .offset:         64
        .size:           4
        .value_kind:     by_value
      - .actual_access:  write_only
        .address_space:  global
        .offset:         72
        .size:           8
        .value_kind:     global_buffer
      - .actual_access:  write_only
        .address_space:  global
        .offset:         80
        .size:           8
        .value_kind:     global_buffer
      - .actual_access:  write_only
        .address_space:  global
        .offset:         88
        .size:           8
        .value_kind:     global_buffer
    .group_segment_fixed_size: 0
    .kernarg_segment_align: 8
    .kernarg_segment_size: 96
    .language:       OpenCL C
    .language_version:
      - 2
      - 0
    .max_flat_workgroup_size: 1024
    .name:           _ZN9rocsparseL35bsr2csr_block_per_row_33_256_kernelILj1024ELj256ELj32EillEEv20rocsparse_direction_T4_S2_21rocsparse_index_base_PKT2_PKT3_PKS2_S2_S3_PS4_PS7_PS2_
    .private_segment_fixed_size: 0
    .sgpr_count:     100
    .sgpr_spill_count: 104
    .symbol:         _ZN9rocsparseL35bsr2csr_block_per_row_33_256_kernelILj1024ELj256ELj32EillEEv20rocsparse_direction_T4_S2_21rocsparse_index_base_PKT2_PKT3_PKS2_S2_S3_PS4_PS7_PS2_.kd
    .uniform_work_group_size: 1
    .uses_dynamic_stack: false
    .vgpr_count:     76
    .vgpr_spill_count: 0
    .wavefront_size: 64
  - .agpr_count:     0
    .args:
      - .offset:         0
        .size:           4
        .value_kind:     by_value
      - .offset:         4
        .size:           4
        .value_kind:     by_value
      - .offset:         8
        .size:           4
        .value_kind:     by_value
      - .actual_access:  read_only
        .address_space:  global
        .offset:         16
        .size:           8
        .value_kind:     global_buffer
      - .actual_access:  read_only
        .address_space:  global
        .offset:         24
        .size:           8
        .value_kind:     global_buffer
      - .actual_access:  read_only
        .address_space:  global
        .offset:         32
        .size:           8
        .value_kind:     global_buffer
      - .offset:         40
        .size:           4
        .value_kind:     by_value
      - .actual_access:  write_only
        .address_space:  global
        .offset:         48
        .size:           8
        .value_kind:     global_buffer
      - .actual_access:  write_only
        .address_space:  global
        .offset:         56
        .size:           8
        .value_kind:     global_buffer
      - .actual_access:  write_only
        .address_space:  global
        .offset:         64
        .size:           8
        .value_kind:     global_buffer
      - .offset:         72
        .size:           4
        .value_kind:     hidden_block_count_x
      - .offset:         76
        .size:           4
        .value_kind:     hidden_block_count_y
      - .offset:         80
        .size:           4
        .value_kind:     hidden_block_count_z
      - .offset:         84
        .size:           2
        .value_kind:     hidden_group_size_x
      - .offset:         86
        .size:           2
        .value_kind:     hidden_group_size_y
      - .offset:         88
        .size:           2
        .value_kind:     hidden_group_size_z
      - .offset:         90
        .size:           2
        .value_kind:     hidden_remainder_x
      - .offset:         92
        .size:           2
        .value_kind:     hidden_remainder_y
      - .offset:         94
        .size:           2
        .value_kind:     hidden_remainder_z
      - .offset:         112
        .size:           8
        .value_kind:     hidden_global_offset_x
      - .offset:         120
        .size:           8
        .value_kind:     hidden_global_offset_y
      - .offset:         128
        .size:           8
        .value_kind:     hidden_global_offset_z
      - .offset:         136
        .size:           2
        .value_kind:     hidden_grid_dims
    .group_segment_fixed_size: 0
    .kernarg_segment_align: 8
    .kernarg_segment_size: 328
    .language:       OpenCL C
    .language_version:
      - 2
      - 0
    .max_flat_workgroup_size: 1024
    .name:           _ZN9rocsparseL35bsr2csr_block_dim_equals_one_kernelILj1024EliiEEvT2_S1_21rocsparse_index_base_PKT0_PKT1_PKS1_S2_PS3_PS6_PS1_
    .private_segment_fixed_size: 0
    .sgpr_count:     27
    .sgpr_spill_count: 0
    .symbol:         _ZN9rocsparseL35bsr2csr_block_dim_equals_one_kernelILj1024EliiEEvT2_S1_21rocsparse_index_base_PKT0_PKT1_PKS1_S2_PS3_PS6_PS1_.kd
    .uniform_work_group_size: 1
    .uses_dynamic_stack: false
    .vgpr_count:     13
    .vgpr_spill_count: 0
    .wavefront_size: 64
  - .agpr_count:     0
    .args:
      - .offset:         0
        .size:           4
        .value_kind:     by_value
      - .offset:         4
        .size:           4
        .value_kind:     by_value
      - .offset:         8
        .size:           4
        .value_kind:     by_value
      - .offset:         12
        .size:           4
        .value_kind:     by_value
      - .actual_access:  read_only
        .address_space:  global
        .offset:         16
        .size:           8
        .value_kind:     global_buffer
      - .actual_access:  read_only
        .address_space:  global
        .offset:         24
        .size:           8
        .value_kind:     global_buffer
      - .actual_access:  read_only
        .address_space:  global
        .offset:         32
        .size:           8
        .value_kind:     global_buffer
      - .offset:         40
        .size:           4
        .value_kind:     by_value
      - .offset:         44
        .size:           4
        .value_kind:     by_value
      - .actual_access:  write_only
        .address_space:  global
        .offset:         48
        .size:           8
        .value_kind:     global_buffer
      - .actual_access:  write_only
        .address_space:  global
        .offset:         56
        .size:           8
        .value_kind:     global_buffer
      - .actual_access:  write_only
        .address_space:  global
        .offset:         64
        .size:           8
        .value_kind:     global_buffer
    .group_segment_fixed_size: 0
    .kernarg_segment_align: 8
    .kernarg_segment_size: 72
    .language:       OpenCL C
    .language_version:
      - 2
      - 0
    .max_flat_workgroup_size: 256
    .name:           _ZN9rocsparseL32bsr2csr_block_per_row_2_7_kernelILj256ELj2EliiEEv20rocsparse_direction_T3_S2_21rocsparse_index_base_PKT1_PKT2_PKS2_S2_S3_PS4_PS7_PS2_
    .private_segment_fixed_size: 0
    .sgpr_count:     19
    .sgpr_spill_count: 0
    .symbol:         _ZN9rocsparseL32bsr2csr_block_per_row_2_7_kernelILj256ELj2EliiEEv20rocsparse_direction_T3_S2_21rocsparse_index_base_PKT1_PKT2_PKS2_S2_S3_PS4_PS7_PS2_.kd
    .uniform_work_group_size: 1
    .uses_dynamic_stack: false
    .vgpr_count:     22
    .vgpr_spill_count: 0
    .wavefront_size: 64
  - .agpr_count:     0
    .args:
      - .offset:         0
        .size:           4
        .value_kind:     by_value
      - .offset:         4
        .size:           4
        .value_kind:     by_value
      - .offset:         8
        .size:           4
        .value_kind:     by_value
      - .offset:         12
        .size:           4
        .value_kind:     by_value
      - .actual_access:  read_only
        .address_space:  global
        .offset:         16
        .size:           8
        .value_kind:     global_buffer
      - .actual_access:  read_only
        .address_space:  global
        .offset:         24
        .size:           8
        .value_kind:     global_buffer
      - .actual_access:  read_only
        .address_space:  global
        .offset:         32
        .size:           8
        .value_kind:     global_buffer
      - .offset:         40
        .size:           4
        .value_kind:     by_value
      - .offset:         44
        .size:           4
        .value_kind:     by_value
      - .actual_access:  write_only
        .address_space:  global
        .offset:         48
        .size:           8
        .value_kind:     global_buffer
      - .actual_access:  write_only
        .address_space:  global
        .offset:         56
        .size:           8
        .value_kind:     global_buffer
      - .actual_access:  write_only
        .address_space:  global
        .offset:         64
        .size:           8
        .value_kind:     global_buffer
    .group_segment_fixed_size: 0
    .kernarg_segment_align: 8
    .kernarg_segment_size: 72
    .language:       OpenCL C
    .language_version:
      - 2
      - 0
    .max_flat_workgroup_size: 256
    .name:           _ZN9rocsparseL32bsr2csr_block_per_row_2_7_kernelILj256ELj3EliiEEv20rocsparse_direction_T3_S2_21rocsparse_index_base_PKT1_PKT2_PKS2_S2_S3_PS4_PS7_PS2_
    .private_segment_fixed_size: 0
    .sgpr_count:     20
    .sgpr_spill_count: 0
    .symbol:         _ZN9rocsparseL32bsr2csr_block_per_row_2_7_kernelILj256ELj3EliiEEv20rocsparse_direction_T3_S2_21rocsparse_index_base_PKT1_PKT2_PKS2_S2_S3_PS4_PS7_PS2_.kd
    .uniform_work_group_size: 1
    .uses_dynamic_stack: false
    .vgpr_count:     28
    .vgpr_spill_count: 0
    .wavefront_size: 64
  - .agpr_count:     0
    .args:
      - .offset:         0
        .size:           4
        .value_kind:     by_value
      - .offset:         4
        .size:           4
        .value_kind:     by_value
      - .offset:         8
        .size:           4
        .value_kind:     by_value
      - .offset:         12
        .size:           4
        .value_kind:     by_value
      - .actual_access:  read_only
        .address_space:  global
        .offset:         16
        .size:           8
        .value_kind:     global_buffer
      - .actual_access:  read_only
        .address_space:  global
        .offset:         24
        .size:           8
        .value_kind:     global_buffer
      - .actual_access:  read_only
        .address_space:  global
        .offset:         32
        .size:           8
        .value_kind:     global_buffer
      - .offset:         40
        .size:           4
        .value_kind:     by_value
      - .offset:         44
        .size:           4
        .value_kind:     by_value
      - .actual_access:  write_only
        .address_space:  global
        .offset:         48
        .size:           8
        .value_kind:     global_buffer
      - .actual_access:  write_only
        .address_space:  global
        .offset:         56
        .size:           8
        .value_kind:     global_buffer
      - .actual_access:  write_only
        .address_space:  global
        .offset:         64
        .size:           8
        .value_kind:     global_buffer
    .group_segment_fixed_size: 0
    .kernarg_segment_align: 8
    .kernarg_segment_size: 72
    .language:       OpenCL C
    .language_version:
      - 2
      - 0
    .max_flat_workgroup_size: 256
    .name:           _ZN9rocsparseL32bsr2csr_block_per_row_2_7_kernelILj256ELj4EliiEEv20rocsparse_direction_T3_S2_21rocsparse_index_base_PKT1_PKT2_PKS2_S2_S3_PS4_PS7_PS2_
    .private_segment_fixed_size: 0
    .sgpr_count:     19
    .sgpr_spill_count: 0
    .symbol:         _ZN9rocsparseL32bsr2csr_block_per_row_2_7_kernelILj256ELj4EliiEEv20rocsparse_direction_T3_S2_21rocsparse_index_base_PKT1_PKT2_PKS2_S2_S3_PS4_PS7_PS2_.kd
    .uniform_work_group_size: 1
    .uses_dynamic_stack: false
    .vgpr_count:     30
    .vgpr_spill_count: 0
    .wavefront_size: 64
  - .agpr_count:     0
    .args:
      - .offset:         0
        .size:           4
        .value_kind:     by_value
      - .offset:         4
        .size:           4
        .value_kind:     by_value
      - .offset:         8
        .size:           4
        .value_kind:     by_value
      - .offset:         12
        .size:           4
        .value_kind:     by_value
      - .actual_access:  read_only
        .address_space:  global
        .offset:         16
        .size:           8
        .value_kind:     global_buffer
      - .actual_access:  read_only
        .address_space:  global
        .offset:         24
        .size:           8
        .value_kind:     global_buffer
      - .actual_access:  read_only
        .address_space:  global
        .offset:         32
        .size:           8
        .value_kind:     global_buffer
      - .offset:         40
        .size:           4
        .value_kind:     by_value
      - .offset:         44
        .size:           4
        .value_kind:     by_value
      - .actual_access:  write_only
        .address_space:  global
        .offset:         48
        .size:           8
        .value_kind:     global_buffer
      - .actual_access:  write_only
        .address_space:  global
        .offset:         56
        .size:           8
        .value_kind:     global_buffer
      - .actual_access:  write_only
        .address_space:  global
        .offset:         64
        .size:           8
        .value_kind:     global_buffer
    .group_segment_fixed_size: 0
    .kernarg_segment_align: 8
    .kernarg_segment_size: 72
    .language:       OpenCL C
    .language_version:
      - 2
      - 0
    .max_flat_workgroup_size: 256
    .name:           _ZN9rocsparseL32bsr2csr_block_per_row_2_7_kernelILj256ELj5EliiEEv20rocsparse_direction_T3_S2_21rocsparse_index_base_PKT1_PKT2_PKS2_S2_S3_PS4_PS7_PS2_
    .private_segment_fixed_size: 0
    .sgpr_count:     20
    .sgpr_spill_count: 0
    .symbol:         _ZN9rocsparseL32bsr2csr_block_per_row_2_7_kernelILj256ELj5EliiEEv20rocsparse_direction_T3_S2_21rocsparse_index_base_PKT1_PKT2_PKS2_S2_S3_PS4_PS7_PS2_.kd
    .uniform_work_group_size: 1
    .uses_dynamic_stack: false
    .vgpr_count:     32
    .vgpr_spill_count: 0
    .wavefront_size: 64
  - .agpr_count:     0
    .args:
      - .offset:         0
        .size:           4
        .value_kind:     by_value
      - .offset:         4
        .size:           4
        .value_kind:     by_value
      - .offset:         8
        .size:           4
        .value_kind:     by_value
      - .offset:         12
        .size:           4
        .value_kind:     by_value
      - .actual_access:  read_only
        .address_space:  global
        .offset:         16
        .size:           8
        .value_kind:     global_buffer
      - .actual_access:  read_only
        .address_space:  global
        .offset:         24
        .size:           8
        .value_kind:     global_buffer
      - .actual_access:  read_only
        .address_space:  global
        .offset:         32
        .size:           8
        .value_kind:     global_buffer
      - .offset:         40
        .size:           4
        .value_kind:     by_value
      - .offset:         44
        .size:           4
        .value_kind:     by_value
      - .actual_access:  write_only
        .address_space:  global
        .offset:         48
        .size:           8
        .value_kind:     global_buffer
      - .actual_access:  write_only
        .address_space:  global
        .offset:         56
        .size:           8
        .value_kind:     global_buffer
      - .actual_access:  write_only
        .address_space:  global
        .offset:         64
        .size:           8
        .value_kind:     global_buffer
    .group_segment_fixed_size: 0
    .kernarg_segment_align: 8
    .kernarg_segment_size: 72
    .language:       OpenCL C
    .language_version:
      - 2
      - 0
    .max_flat_workgroup_size: 256
    .name:           _ZN9rocsparseL32bsr2csr_block_per_row_2_7_kernelILj256ELj6EliiEEv20rocsparse_direction_T3_S2_21rocsparse_index_base_PKT1_PKT2_PKS2_S2_S3_PS4_PS7_PS2_
    .private_segment_fixed_size: 0
    .sgpr_count:     20
    .sgpr_spill_count: 0
    .symbol:         _ZN9rocsparseL32bsr2csr_block_per_row_2_7_kernelILj256ELj6EliiEEv20rocsparse_direction_T3_S2_21rocsparse_index_base_PKT1_PKT2_PKS2_S2_S3_PS4_PS7_PS2_.kd
    .uniform_work_group_size: 1
    .uses_dynamic_stack: false
    .vgpr_count:     34
    .vgpr_spill_count: 0
    .wavefront_size: 64
  - .agpr_count:     0
    .args:
      - .offset:         0
        .size:           4
        .value_kind:     by_value
      - .offset:         4
        .size:           4
        .value_kind:     by_value
      - .offset:         8
        .size:           4
        .value_kind:     by_value
      - .offset:         12
        .size:           4
        .value_kind:     by_value
      - .actual_access:  read_only
        .address_space:  global
        .offset:         16
        .size:           8
        .value_kind:     global_buffer
      - .actual_access:  read_only
        .address_space:  global
        .offset:         24
        .size:           8
        .value_kind:     global_buffer
      - .actual_access:  read_only
        .address_space:  global
        .offset:         32
        .size:           8
        .value_kind:     global_buffer
      - .offset:         40
        .size:           4
        .value_kind:     by_value
      - .offset:         44
        .size:           4
        .value_kind:     by_value
      - .actual_access:  write_only
        .address_space:  global
        .offset:         48
        .size:           8
        .value_kind:     global_buffer
      - .actual_access:  write_only
        .address_space:  global
        .offset:         56
        .size:           8
        .value_kind:     global_buffer
      - .actual_access:  write_only
        .address_space:  global
        .offset:         64
        .size:           8
        .value_kind:     global_buffer
    .group_segment_fixed_size: 0
    .kernarg_segment_align: 8
    .kernarg_segment_size: 72
    .language:       OpenCL C
    .language_version:
      - 2
      - 0
    .max_flat_workgroup_size: 256
    .name:           _ZN9rocsparseL32bsr2csr_block_per_row_2_7_kernelILj256ELj7EliiEEv20rocsparse_direction_T3_S2_21rocsparse_index_base_PKT1_PKT2_PKS2_S2_S3_PS4_PS7_PS2_
    .private_segment_fixed_size: 0
    .sgpr_count:     20
    .sgpr_spill_count: 0
    .symbol:         _ZN9rocsparseL32bsr2csr_block_per_row_2_7_kernelILj256ELj7EliiEEv20rocsparse_direction_T3_S2_21rocsparse_index_base_PKT1_PKT2_PKS2_S2_S3_PS4_PS7_PS2_.kd
    .uniform_work_group_size: 1
    .uses_dynamic_stack: false
    .vgpr_count:     36
    .vgpr_spill_count: 0
    .wavefront_size: 64
  - .agpr_count:     0
    .args:
      - .offset:         0
        .size:           4
        .value_kind:     by_value
      - .offset:         4
        .size:           4
        .value_kind:     by_value
      - .offset:         8
        .size:           4
        .value_kind:     by_value
      - .offset:         12
        .size:           4
        .value_kind:     by_value
      - .actual_access:  read_only
        .address_space:  global
        .offset:         16
        .size:           8
        .value_kind:     global_buffer
      - .actual_access:  read_only
        .address_space:  global
        .offset:         24
        .size:           8
        .value_kind:     global_buffer
      - .actual_access:  read_only
        .address_space:  global
        .offset:         32
        .size:           8
        .value_kind:     global_buffer
      - .offset:         40
        .size:           4
        .value_kind:     by_value
      - .offset:         44
        .size:           4
        .value_kind:     by_value
      - .actual_access:  write_only
        .address_space:  global
        .offset:         48
        .size:           8
        .value_kind:     global_buffer
      - .actual_access:  write_only
        .address_space:  global
        .offset:         56
        .size:           8
        .value_kind:     global_buffer
      - .actual_access:  write_only
        .address_space:  global
        .offset:         64
        .size:           8
        .value_kind:     global_buffer
    .group_segment_fixed_size: 0
    .kernarg_segment_align: 8
    .kernarg_segment_size: 72
    .language:       OpenCL C
    .language_version:
      - 2
      - 0
    .max_flat_workgroup_size: 1024
    .name:           _ZN9rocsparseL33bsr2csr_block_per_row_8_32_kernelILj1024ELj8EliiEEv20rocsparse_direction_T3_S2_21rocsparse_index_base_PKT1_PKT2_PKS2_S2_S3_PS4_PS7_PS2_
    .private_segment_fixed_size: 0
    .sgpr_count:     22
    .sgpr_spill_count: 0
    .symbol:         _ZN9rocsparseL33bsr2csr_block_per_row_8_32_kernelILj1024ELj8EliiEEv20rocsparse_direction_T3_S2_21rocsparse_index_base_PKT1_PKT2_PKS2_S2_S3_PS4_PS7_PS2_.kd
    .uniform_work_group_size: 1
    .uses_dynamic_stack: false
    .vgpr_count:     18
    .vgpr_spill_count: 0
    .wavefront_size: 64
  - .agpr_count:     0
    .args:
      - .offset:         0
        .size:           4
        .value_kind:     by_value
      - .offset:         4
        .size:           4
        .value_kind:     by_value
      - .offset:         8
        .size:           4
        .value_kind:     by_value
      - .offset:         12
        .size:           4
        .value_kind:     by_value
      - .actual_access:  read_only
        .address_space:  global
        .offset:         16
        .size:           8
        .value_kind:     global_buffer
      - .actual_access:  read_only
        .address_space:  global
        .offset:         24
        .size:           8
        .value_kind:     global_buffer
      - .actual_access:  read_only
        .address_space:  global
        .offset:         32
        .size:           8
        .value_kind:     global_buffer
      - .offset:         40
        .size:           4
        .value_kind:     by_value
      - .offset:         44
        .size:           4
        .value_kind:     by_value
      - .actual_access:  write_only
        .address_space:  global
        .offset:         48
        .size:           8
        .value_kind:     global_buffer
      - .actual_access:  write_only
        .address_space:  global
        .offset:         56
        .size:           8
        .value_kind:     global_buffer
      - .actual_access:  write_only
        .address_space:  global
        .offset:         64
        .size:           8
        .value_kind:     global_buffer
    .group_segment_fixed_size: 0
    .kernarg_segment_align: 8
    .kernarg_segment_size: 72
    .language:       OpenCL C
    .language_version:
      - 2
      - 0
    .max_flat_workgroup_size: 1024
    .name:           _ZN9rocsparseL33bsr2csr_block_per_row_8_32_kernelILj1024ELj16EliiEEv20rocsparse_direction_T3_S2_21rocsparse_index_base_PKT1_PKT2_PKS2_S2_S3_PS4_PS7_PS2_
    .private_segment_fixed_size: 0
    .sgpr_count:     22
    .sgpr_spill_count: 0
    .symbol:         _ZN9rocsparseL33bsr2csr_block_per_row_8_32_kernelILj1024ELj16EliiEEv20rocsparse_direction_T3_S2_21rocsparse_index_base_PKT1_PKT2_PKS2_S2_S3_PS4_PS7_PS2_.kd
    .uniform_work_group_size: 1
    .uses_dynamic_stack: false
    .vgpr_count:     18
    .vgpr_spill_count: 0
    .wavefront_size: 64
  - .agpr_count:     0
    .args:
      - .offset:         0
        .size:           4
        .value_kind:     by_value
      - .offset:         4
        .size:           4
        .value_kind:     by_value
      - .offset:         8
        .size:           4
        .value_kind:     by_value
      - .offset:         12
        .size:           4
        .value_kind:     by_value
      - .actual_access:  read_only
        .address_space:  global
        .offset:         16
        .size:           8
        .value_kind:     global_buffer
      - .actual_access:  read_only
        .address_space:  global
        .offset:         24
        .size:           8
        .value_kind:     global_buffer
      - .actual_access:  read_only
        .address_space:  global
        .offset:         32
        .size:           8
        .value_kind:     global_buffer
      - .offset:         40
        .size:           4
        .value_kind:     by_value
      - .offset:         44
        .size:           4
        .value_kind:     by_value
      - .actual_access:  write_only
        .address_space:  global
        .offset:         48
        .size:           8
        .value_kind:     global_buffer
      - .actual_access:  write_only
        .address_space:  global
        .offset:         56
        .size:           8
        .value_kind:     global_buffer
      - .actual_access:  write_only
        .address_space:  global
        .offset:         64
        .size:           8
        .value_kind:     global_buffer
    .group_segment_fixed_size: 0
    .kernarg_segment_align: 8
    .kernarg_segment_size: 72
    .language:       OpenCL C
    .language_version:
      - 2
      - 0
    .max_flat_workgroup_size: 1024
    .name:           _ZN9rocsparseL33bsr2csr_block_per_row_8_32_kernelILj1024ELj32EliiEEv20rocsparse_direction_T3_S2_21rocsparse_index_base_PKT1_PKT2_PKS2_S2_S3_PS4_PS7_PS2_
    .private_segment_fixed_size: 0
    .sgpr_count:     23
    .sgpr_spill_count: 0
    .symbol:         _ZN9rocsparseL33bsr2csr_block_per_row_8_32_kernelILj1024ELj32EliiEEv20rocsparse_direction_T3_S2_21rocsparse_index_base_PKT1_PKT2_PKS2_S2_S3_PS4_PS7_PS2_.kd
    .uniform_work_group_size: 1
    .uses_dynamic_stack: false
    .vgpr_count:     14
    .vgpr_spill_count: 0
    .wavefront_size: 64
  - .agpr_count:     0
    .args:
      - .offset:         0
        .size:           4
        .value_kind:     by_value
      - .offset:         4
        .size:           4
        .value_kind:     by_value
      - .offset:         8
        .size:           4
        .value_kind:     by_value
      - .offset:         12
        .size:           4
        .value_kind:     by_value
      - .actual_access:  read_only
        .address_space:  global
        .offset:         16
        .size:           8
        .value_kind:     global_buffer
      - .actual_access:  read_only
        .address_space:  global
        .offset:         24
        .size:           8
        .value_kind:     global_buffer
      - .actual_access:  read_only
        .address_space:  global
        .offset:         32
        .size:           8
        .value_kind:     global_buffer
      - .offset:         40
        .size:           4
        .value_kind:     by_value
      - .offset:         44
        .size:           4
        .value_kind:     by_value
      - .actual_access:  write_only
        .address_space:  global
        .offset:         48
        .size:           8
        .value_kind:     global_buffer
      - .actual_access:  write_only
        .address_space:  global
        .offset:         56
        .size:           8
        .value_kind:     global_buffer
      - .actual_access:  write_only
        .address_space:  global
        .offset:         64
        .size:           8
        .value_kind:     global_buffer
    .group_segment_fixed_size: 0
    .kernarg_segment_align: 8
    .kernarg_segment_size: 72
    .language:       OpenCL C
    .language_version:
      - 2
      - 0
    .max_flat_workgroup_size: 1024
    .name:           _ZN9rocsparseL35bsr2csr_block_per_row_33_256_kernelILj1024ELj64ELj32EliiEEv20rocsparse_direction_T4_S2_21rocsparse_index_base_PKT2_PKT3_PKS2_S2_S3_PS4_PS7_PS2_
    .private_segment_fixed_size: 0
    .sgpr_count:     34
    .sgpr_spill_count: 0
    .symbol:         _ZN9rocsparseL35bsr2csr_block_per_row_33_256_kernelILj1024ELj64ELj32EliiEEv20rocsparse_direction_T4_S2_21rocsparse_index_base_PKT2_PKT3_PKS2_S2_S3_PS4_PS7_PS2_.kd
    .uniform_work_group_size: 1
    .uses_dynamic_stack: false
    .vgpr_count:     20
    .vgpr_spill_count: 0
    .wavefront_size: 64
  - .agpr_count:     0
    .args:
      - .offset:         0
        .size:           4
        .value_kind:     by_value
      - .offset:         4
        .size:           4
        .value_kind:     by_value
      - .offset:         8
        .size:           4
        .value_kind:     by_value
      - .offset:         12
        .size:           4
        .value_kind:     by_value
      - .actual_access:  read_only
        .address_space:  global
        .offset:         16
        .size:           8
        .value_kind:     global_buffer
      - .actual_access:  read_only
        .address_space:  global
        .offset:         24
        .size:           8
        .value_kind:     global_buffer
      - .actual_access:  read_only
        .address_space:  global
        .offset:         32
        .size:           8
        .value_kind:     global_buffer
      - .offset:         40
        .size:           4
        .value_kind:     by_value
      - .offset:         44
        .size:           4
        .value_kind:     by_value
      - .actual_access:  write_only
        .address_space:  global
        .offset:         48
        .size:           8
        .value_kind:     global_buffer
      - .actual_access:  write_only
        .address_space:  global
        .offset:         56
        .size:           8
        .value_kind:     global_buffer
      - .actual_access:  write_only
        .address_space:  global
        .offset:         64
        .size:           8
        .value_kind:     global_buffer
    .group_segment_fixed_size: 0
    .kernarg_segment_align: 8
    .kernarg_segment_size: 72
    .language:       OpenCL C
    .language_version:
      - 2
      - 0
    .max_flat_workgroup_size: 1024
    .name:           _ZN9rocsparseL35bsr2csr_block_per_row_33_256_kernelILj1024ELj128ELj32EliiEEv20rocsparse_direction_T4_S2_21rocsparse_index_base_PKT2_PKT3_PKS2_S2_S3_PS4_PS7_PS2_
    .private_segment_fixed_size: 0
    .sgpr_count:     60
    .sgpr_spill_count: 0
    .symbol:         _ZN9rocsparseL35bsr2csr_block_per_row_33_256_kernelILj1024ELj128ELj32EliiEEv20rocsparse_direction_T4_S2_21rocsparse_index_base_PKT2_PKT3_PKS2_S2_S3_PS4_PS7_PS2_.kd
    .uniform_work_group_size: 1
    .uses_dynamic_stack: false
    .vgpr_count:     32
    .vgpr_spill_count: 0
    .wavefront_size: 64
  - .agpr_count:     0
    .args:
      - .offset:         0
        .size:           4
        .value_kind:     by_value
      - .offset:         4
        .size:           4
        .value_kind:     by_value
      - .offset:         8
        .size:           4
        .value_kind:     by_value
      - .offset:         12
        .size:           4
        .value_kind:     by_value
      - .actual_access:  read_only
        .address_space:  global
        .offset:         16
        .size:           8
        .value_kind:     global_buffer
      - .actual_access:  read_only
        .address_space:  global
        .offset:         24
        .size:           8
        .value_kind:     global_buffer
      - .actual_access:  read_only
        .address_space:  global
        .offset:         32
        .size:           8
        .value_kind:     global_buffer
      - .offset:         40
        .size:           4
        .value_kind:     by_value
      - .offset:         44
        .size:           4
        .value_kind:     by_value
      - .actual_access:  write_only
        .address_space:  global
        .offset:         48
        .size:           8
        .value_kind:     global_buffer
      - .actual_access:  write_only
        .address_space:  global
        .offset:         56
        .size:           8
        .value_kind:     global_buffer
      - .actual_access:  write_only
        .address_space:  global
        .offset:         64
        .size:           8
        .value_kind:     global_buffer
    .group_segment_fixed_size: 0
    .kernarg_segment_align: 8
    .kernarg_segment_size: 72
    .language:       OpenCL C
    .language_version:
      - 2
      - 0
    .max_flat_workgroup_size: 1024
    .name:           _ZN9rocsparseL35bsr2csr_block_per_row_33_256_kernelILj1024ELj256ELj32EliiEEv20rocsparse_direction_T4_S2_21rocsparse_index_base_PKT2_PKT3_PKS2_S2_S3_PS4_PS7_PS2_
    .private_segment_fixed_size: 0
    .sgpr_count:     100
    .sgpr_spill_count: 57
    .symbol:         _ZN9rocsparseL35bsr2csr_block_per_row_33_256_kernelILj1024ELj256ELj32EliiEEv20rocsparse_direction_T4_S2_21rocsparse_index_base_PKT2_PKT3_PKS2_S2_S3_PS4_PS7_PS2_.kd
    .uniform_work_group_size: 1
    .uses_dynamic_stack: false
    .vgpr_count:     58
    .vgpr_spill_count: 0
    .wavefront_size: 64
  - .agpr_count:     0
    .args:
      - .offset:         0
        .size:           4
        .value_kind:     by_value
      - .offset:         4
        .size:           4
        .value_kind:     by_value
      - .offset:         8
        .size:           4
        .value_kind:     by_value
      - .actual_access:  read_only
        .address_space:  global
        .offset:         16
        .size:           8
        .value_kind:     global_buffer
      - .actual_access:  read_only
        .address_space:  global
        .offset:         24
        .size:           8
        .value_kind:     global_buffer
      - .actual_access:  read_only
        .address_space:  global
        .offset:         32
        .size:           8
        .value_kind:     global_buffer
      - .offset:         40
        .size:           4
        .value_kind:     by_value
      - .actual_access:  write_only
        .address_space:  global
        .offset:         48
        .size:           8
        .value_kind:     global_buffer
      - .actual_access:  write_only
        .address_space:  global
        .offset:         56
        .size:           8
        .value_kind:     global_buffer
      - .actual_access:  write_only
        .address_space:  global
        .offset:         64
        .size:           8
        .value_kind:     global_buffer
      - .offset:         72
        .size:           4
        .value_kind:     hidden_block_count_x
      - .offset:         76
        .size:           4
        .value_kind:     hidden_block_count_y
      - .offset:         80
        .size:           4
        .value_kind:     hidden_block_count_z
      - .offset:         84
        .size:           2
        .value_kind:     hidden_group_size_x
      - .offset:         86
        .size:           2
        .value_kind:     hidden_group_size_y
      - .offset:         88
        .size:           2
        .value_kind:     hidden_group_size_z
      - .offset:         90
        .size:           2
        .value_kind:     hidden_remainder_x
      - .offset:         92
        .size:           2
        .value_kind:     hidden_remainder_y
      - .offset:         94
        .size:           2
        .value_kind:     hidden_remainder_z
      - .offset:         112
        .size:           8
        .value_kind:     hidden_global_offset_x
      - .offset:         120
        .size:           8
        .value_kind:     hidden_global_offset_y
      - .offset:         128
        .size:           8
        .value_kind:     hidden_global_offset_z
      - .offset:         136
        .size:           2
        .value_kind:     hidden_grid_dims
    .group_segment_fixed_size: 0
    .kernarg_segment_align: 8
    .kernarg_segment_size: 328
    .language:       OpenCL C
    .language_version:
      - 2
      - 0
    .max_flat_workgroup_size: 1024
    .name:           _ZN9rocsparseL35bsr2csr_block_dim_equals_one_kernelILj1024ElliEEvT2_S1_21rocsparse_index_base_PKT0_PKT1_PKS1_S2_PS3_PS6_PS1_
    .private_segment_fixed_size: 0
    .sgpr_count:     32
    .sgpr_spill_count: 0
    .symbol:         _ZN9rocsparseL35bsr2csr_block_dim_equals_one_kernelILj1024ElliEEvT2_S1_21rocsparse_index_base_PKT0_PKT1_PKS1_S2_PS3_PS6_PS1_.kd
    .uniform_work_group_size: 1
    .uses_dynamic_stack: false
    .vgpr_count:     17
    .vgpr_spill_count: 0
    .wavefront_size: 64
  - .agpr_count:     0
    .args:
      - .offset:         0
        .size:           4
        .value_kind:     by_value
      - .offset:         4
        .size:           4
        .value_kind:     by_value
      - .offset:         8
        .size:           4
        .value_kind:     by_value
      - .offset:         12
        .size:           4
        .value_kind:     by_value
      - .actual_access:  read_only
        .address_space:  global
        .offset:         16
        .size:           8
        .value_kind:     global_buffer
      - .actual_access:  read_only
        .address_space:  global
        .offset:         24
        .size:           8
        .value_kind:     global_buffer
      - .actual_access:  read_only
        .address_space:  global
        .offset:         32
        .size:           8
        .value_kind:     global_buffer
      - .offset:         40
        .size:           4
        .value_kind:     by_value
      - .offset:         44
        .size:           4
        .value_kind:     by_value
      - .actual_access:  write_only
        .address_space:  global
        .offset:         48
        .size:           8
        .value_kind:     global_buffer
      - .actual_access:  write_only
        .address_space:  global
        .offset:         56
        .size:           8
        .value_kind:     global_buffer
      - .actual_access:  write_only
        .address_space:  global
        .offset:         64
        .size:           8
        .value_kind:     global_buffer
    .group_segment_fixed_size: 0
    .kernarg_segment_align: 8
    .kernarg_segment_size: 72
    .language:       OpenCL C
    .language_version:
      - 2
      - 0
    .max_flat_workgroup_size: 256
    .name:           _ZN9rocsparseL32bsr2csr_block_per_row_2_7_kernelILj256ELj2ElliEEv20rocsparse_direction_T3_S2_21rocsparse_index_base_PKT1_PKT2_PKS2_S2_S3_PS4_PS7_PS2_
    .private_segment_fixed_size: 0
    .sgpr_count:     28
    .sgpr_spill_count: 0
    .symbol:         _ZN9rocsparseL32bsr2csr_block_per_row_2_7_kernelILj256ELj2ElliEEv20rocsparse_direction_T3_S2_21rocsparse_index_base_PKT1_PKT2_PKS2_S2_S3_PS4_PS7_PS2_.kd
    .uniform_work_group_size: 1
    .uses_dynamic_stack: false
    .vgpr_count:     20
    .vgpr_spill_count: 0
    .wavefront_size: 64
  - .agpr_count:     0
    .args:
      - .offset:         0
        .size:           4
        .value_kind:     by_value
      - .offset:         4
        .size:           4
        .value_kind:     by_value
      - .offset:         8
        .size:           4
        .value_kind:     by_value
      - .offset:         12
        .size:           4
        .value_kind:     by_value
      - .actual_access:  read_only
        .address_space:  global
        .offset:         16
        .size:           8
        .value_kind:     global_buffer
      - .actual_access:  read_only
        .address_space:  global
        .offset:         24
        .size:           8
        .value_kind:     global_buffer
      - .actual_access:  read_only
        .address_space:  global
        .offset:         32
        .size:           8
        .value_kind:     global_buffer
      - .offset:         40
        .size:           4
        .value_kind:     by_value
      - .offset:         44
        .size:           4
        .value_kind:     by_value
      - .actual_access:  write_only
        .address_space:  global
        .offset:         48
        .size:           8
        .value_kind:     global_buffer
      - .actual_access:  write_only
        .address_space:  global
        .offset:         56
        .size:           8
        .value_kind:     global_buffer
      - .actual_access:  write_only
        .address_space:  global
        .offset:         64
        .size:           8
        .value_kind:     global_buffer
    .group_segment_fixed_size: 0
    .kernarg_segment_align: 8
    .kernarg_segment_size: 72
    .language:       OpenCL C
    .language_version:
      - 2
      - 0
    .max_flat_workgroup_size: 256
    .name:           _ZN9rocsparseL32bsr2csr_block_per_row_2_7_kernelILj256ELj3ElliEEv20rocsparse_direction_T3_S2_21rocsparse_index_base_PKT1_PKT2_PKS2_S2_S3_PS4_PS7_PS2_
    .private_segment_fixed_size: 0
    .sgpr_count:     26
    .sgpr_spill_count: 0
    .symbol:         _ZN9rocsparseL32bsr2csr_block_per_row_2_7_kernelILj256ELj3ElliEEv20rocsparse_direction_T3_S2_21rocsparse_index_base_PKT1_PKT2_PKS2_S2_S3_PS4_PS7_PS2_.kd
    .uniform_work_group_size: 1
    .uses_dynamic_stack: false
    .vgpr_count:     26
    .vgpr_spill_count: 0
    .wavefront_size: 64
  - .agpr_count:     0
    .args:
      - .offset:         0
        .size:           4
        .value_kind:     by_value
      - .offset:         4
        .size:           4
        .value_kind:     by_value
      - .offset:         8
        .size:           4
        .value_kind:     by_value
      - .offset:         12
        .size:           4
        .value_kind:     by_value
      - .actual_access:  read_only
        .address_space:  global
        .offset:         16
        .size:           8
        .value_kind:     global_buffer
      - .actual_access:  read_only
        .address_space:  global
        .offset:         24
        .size:           8
        .value_kind:     global_buffer
      - .actual_access:  read_only
        .address_space:  global
        .offset:         32
        .size:           8
        .value_kind:     global_buffer
      - .offset:         40
        .size:           4
        .value_kind:     by_value
      - .offset:         44
        .size:           4
        .value_kind:     by_value
      - .actual_access:  write_only
        .address_space:  global
        .offset:         48
        .size:           8
        .value_kind:     global_buffer
      - .actual_access:  write_only
        .address_space:  global
        .offset:         56
        .size:           8
        .value_kind:     global_buffer
      - .actual_access:  write_only
        .address_space:  global
        .offset:         64
        .size:           8
        .value_kind:     global_buffer
    .group_segment_fixed_size: 0
    .kernarg_segment_align: 8
    .kernarg_segment_size: 72
    .language:       OpenCL C
    .language_version:
      - 2
      - 0
    .max_flat_workgroup_size: 256
    .name:           _ZN9rocsparseL32bsr2csr_block_per_row_2_7_kernelILj256ELj4ElliEEv20rocsparse_direction_T3_S2_21rocsparse_index_base_PKT1_PKT2_PKS2_S2_S3_PS4_PS7_PS2_
    .private_segment_fixed_size: 0
    .sgpr_count:     32
    .sgpr_spill_count: 0
    .symbol:         _ZN9rocsparseL32bsr2csr_block_per_row_2_7_kernelILj256ELj4ElliEEv20rocsparse_direction_T3_S2_21rocsparse_index_base_PKT1_PKT2_PKS2_S2_S3_PS4_PS7_PS2_.kd
    .uniform_work_group_size: 1
    .uses_dynamic_stack: false
    .vgpr_count:     23
    .vgpr_spill_count: 0
    .wavefront_size: 64
  - .agpr_count:     0
    .args:
      - .offset:         0
        .size:           4
        .value_kind:     by_value
      - .offset:         4
        .size:           4
        .value_kind:     by_value
      - .offset:         8
        .size:           4
        .value_kind:     by_value
      - .offset:         12
        .size:           4
        .value_kind:     by_value
      - .actual_access:  read_only
        .address_space:  global
        .offset:         16
        .size:           8
        .value_kind:     global_buffer
      - .actual_access:  read_only
        .address_space:  global
        .offset:         24
        .size:           8
        .value_kind:     global_buffer
      - .actual_access:  read_only
        .address_space:  global
        .offset:         32
        .size:           8
        .value_kind:     global_buffer
      - .offset:         40
        .size:           4
        .value_kind:     by_value
      - .offset:         44
        .size:           4
        .value_kind:     by_value
      - .actual_access:  write_only
        .address_space:  global
        .offset:         48
        .size:           8
        .value_kind:     global_buffer
      - .actual_access:  write_only
        .address_space:  global
        .offset:         56
        .size:           8
        .value_kind:     global_buffer
      - .actual_access:  write_only
        .address_space:  global
        .offset:         64
        .size:           8
        .value_kind:     global_buffer
    .group_segment_fixed_size: 0
    .kernarg_segment_align: 8
    .kernarg_segment_size: 72
    .language:       OpenCL C
    .language_version:
      - 2
      - 0
    .max_flat_workgroup_size: 256
    .name:           _ZN9rocsparseL32bsr2csr_block_per_row_2_7_kernelILj256ELj5ElliEEv20rocsparse_direction_T3_S2_21rocsparse_index_base_PKT1_PKT2_PKS2_S2_S3_PS4_PS7_PS2_
    .private_segment_fixed_size: 0
    .sgpr_count:     26
    .sgpr_spill_count: 0
    .symbol:         _ZN9rocsparseL32bsr2csr_block_per_row_2_7_kernelILj256ELj5ElliEEv20rocsparse_direction_T3_S2_21rocsparse_index_base_PKT1_PKT2_PKS2_S2_S3_PS4_PS7_PS2_.kd
    .uniform_work_group_size: 1
    .uses_dynamic_stack: false
    .vgpr_count:     34
    .vgpr_spill_count: 0
    .wavefront_size: 64
  - .agpr_count:     0
    .args:
      - .offset:         0
        .size:           4
        .value_kind:     by_value
      - .offset:         4
        .size:           4
        .value_kind:     by_value
      - .offset:         8
        .size:           4
        .value_kind:     by_value
      - .offset:         12
        .size:           4
        .value_kind:     by_value
      - .actual_access:  read_only
        .address_space:  global
        .offset:         16
        .size:           8
        .value_kind:     global_buffer
      - .actual_access:  read_only
        .address_space:  global
        .offset:         24
        .size:           8
        .value_kind:     global_buffer
      - .actual_access:  read_only
        .address_space:  global
        .offset:         32
        .size:           8
        .value_kind:     global_buffer
      - .offset:         40
        .size:           4
        .value_kind:     by_value
      - .offset:         44
        .size:           4
        .value_kind:     by_value
      - .actual_access:  write_only
        .address_space:  global
        .offset:         48
        .size:           8
        .value_kind:     global_buffer
      - .actual_access:  write_only
        .address_space:  global
        .offset:         56
        .size:           8
        .value_kind:     global_buffer
      - .actual_access:  write_only
        .address_space:  global
        .offset:         64
        .size:           8
        .value_kind:     global_buffer
    .group_segment_fixed_size: 0
    .kernarg_segment_align: 8
    .kernarg_segment_size: 72
    .language:       OpenCL C
    .language_version:
      - 2
      - 0
    .max_flat_workgroup_size: 256
    .name:           _ZN9rocsparseL32bsr2csr_block_per_row_2_7_kernelILj256ELj6ElliEEv20rocsparse_direction_T3_S2_21rocsparse_index_base_PKT1_PKT2_PKS2_S2_S3_PS4_PS7_PS2_
    .private_segment_fixed_size: 0
    .sgpr_count:     26
    .sgpr_spill_count: 0
    .symbol:         _ZN9rocsparseL32bsr2csr_block_per_row_2_7_kernelILj256ELj6ElliEEv20rocsparse_direction_T3_S2_21rocsparse_index_base_PKT1_PKT2_PKS2_S2_S3_PS4_PS7_PS2_.kd
    .uniform_work_group_size: 1
    .uses_dynamic_stack: false
    .vgpr_count:     40
    .vgpr_spill_count: 0
    .wavefront_size: 64
  - .agpr_count:     0
    .args:
      - .offset:         0
        .size:           4
        .value_kind:     by_value
      - .offset:         4
        .size:           4
        .value_kind:     by_value
      - .offset:         8
        .size:           4
        .value_kind:     by_value
      - .offset:         12
        .size:           4
        .value_kind:     by_value
      - .actual_access:  read_only
        .address_space:  global
        .offset:         16
        .size:           8
        .value_kind:     global_buffer
      - .actual_access:  read_only
        .address_space:  global
        .offset:         24
        .size:           8
        .value_kind:     global_buffer
      - .actual_access:  read_only
        .address_space:  global
        .offset:         32
        .size:           8
        .value_kind:     global_buffer
      - .offset:         40
        .size:           4
        .value_kind:     by_value
      - .offset:         44
        .size:           4
        .value_kind:     by_value
      - .actual_access:  write_only
        .address_space:  global
        .offset:         48
        .size:           8
        .value_kind:     global_buffer
      - .actual_access:  write_only
        .address_space:  global
        .offset:         56
        .size:           8
        .value_kind:     global_buffer
      - .actual_access:  write_only
        .address_space:  global
        .offset:         64
        .size:           8
        .value_kind:     global_buffer
    .group_segment_fixed_size: 0
    .kernarg_segment_align: 8
    .kernarg_segment_size: 72
    .language:       OpenCL C
    .language_version:
      - 2
      - 0
    .max_flat_workgroup_size: 256
    .name:           _ZN9rocsparseL32bsr2csr_block_per_row_2_7_kernelILj256ELj7ElliEEv20rocsparse_direction_T3_S2_21rocsparse_index_base_PKT1_PKT2_PKS2_S2_S3_PS4_PS7_PS2_
    .private_segment_fixed_size: 0
    .sgpr_count:     26
    .sgpr_spill_count: 0
    .symbol:         _ZN9rocsparseL32bsr2csr_block_per_row_2_7_kernelILj256ELj7ElliEEv20rocsparse_direction_T3_S2_21rocsparse_index_base_PKT1_PKT2_PKS2_S2_S3_PS4_PS7_PS2_.kd
    .uniform_work_group_size: 1
    .uses_dynamic_stack: false
    .vgpr_count:     44
    .vgpr_spill_count: 0
    .wavefront_size: 64
  - .agpr_count:     0
    .args:
      - .offset:         0
        .size:           4
        .value_kind:     by_value
      - .offset:         4
        .size:           4
        .value_kind:     by_value
      - .offset:         8
        .size:           4
        .value_kind:     by_value
      - .offset:         12
        .size:           4
        .value_kind:     by_value
      - .actual_access:  read_only
        .address_space:  global
        .offset:         16
        .size:           8
        .value_kind:     global_buffer
      - .actual_access:  read_only
        .address_space:  global
        .offset:         24
        .size:           8
        .value_kind:     global_buffer
      - .actual_access:  read_only
        .address_space:  global
        .offset:         32
        .size:           8
        .value_kind:     global_buffer
      - .offset:         40
        .size:           4
        .value_kind:     by_value
      - .offset:         44
        .size:           4
        .value_kind:     by_value
      - .actual_access:  write_only
        .address_space:  global
        .offset:         48
        .size:           8
        .value_kind:     global_buffer
      - .actual_access:  write_only
        .address_space:  global
        .offset:         56
        .size:           8
        .value_kind:     global_buffer
      - .actual_access:  write_only
        .address_space:  global
        .offset:         64
        .size:           8
        .value_kind:     global_buffer
    .group_segment_fixed_size: 0
    .kernarg_segment_align: 8
    .kernarg_segment_size: 72
    .language:       OpenCL C
    .language_version:
      - 2
      - 0
    .max_flat_workgroup_size: 1024
    .name:           _ZN9rocsparseL33bsr2csr_block_per_row_8_32_kernelILj1024ELj8ElliEEv20rocsparse_direction_T3_S2_21rocsparse_index_base_PKT1_PKT2_PKS2_S2_S3_PS4_PS7_PS2_
    .private_segment_fixed_size: 0
    .sgpr_count:     28
    .sgpr_spill_count: 0
    .symbol:         _ZN9rocsparseL33bsr2csr_block_per_row_8_32_kernelILj1024ELj8ElliEEv20rocsparse_direction_T3_S2_21rocsparse_index_base_PKT1_PKT2_PKS2_S2_S3_PS4_PS7_PS2_.kd
    .uniform_work_group_size: 1
    .uses_dynamic_stack: false
    .vgpr_count:     17
    .vgpr_spill_count: 0
    .wavefront_size: 64
  - .agpr_count:     0
    .args:
      - .offset:         0
        .size:           4
        .value_kind:     by_value
      - .offset:         4
        .size:           4
        .value_kind:     by_value
      - .offset:         8
        .size:           4
        .value_kind:     by_value
      - .offset:         12
        .size:           4
        .value_kind:     by_value
      - .actual_access:  read_only
        .address_space:  global
        .offset:         16
        .size:           8
        .value_kind:     global_buffer
      - .actual_access:  read_only
        .address_space:  global
        .offset:         24
        .size:           8
        .value_kind:     global_buffer
      - .actual_access:  read_only
        .address_space:  global
        .offset:         32
        .size:           8
        .value_kind:     global_buffer
      - .offset:         40
        .size:           4
        .value_kind:     by_value
      - .offset:         44
        .size:           4
        .value_kind:     by_value
      - .actual_access:  write_only
        .address_space:  global
        .offset:         48
        .size:           8
        .value_kind:     global_buffer
      - .actual_access:  write_only
        .address_space:  global
        .offset:         56
        .size:           8
        .value_kind:     global_buffer
      - .actual_access:  write_only
        .address_space:  global
        .offset:         64
        .size:           8
        .value_kind:     global_buffer
    .group_segment_fixed_size: 0
    .kernarg_segment_align: 8
    .kernarg_segment_size: 72
    .language:       OpenCL C
    .language_version:
      - 2
      - 0
    .max_flat_workgroup_size: 1024
    .name:           _ZN9rocsparseL33bsr2csr_block_per_row_8_32_kernelILj1024ELj16ElliEEv20rocsparse_direction_T3_S2_21rocsparse_index_base_PKT1_PKT2_PKS2_S2_S3_PS4_PS7_PS2_
    .private_segment_fixed_size: 0
    .sgpr_count:     28
    .sgpr_spill_count: 0
    .symbol:         _ZN9rocsparseL33bsr2csr_block_per_row_8_32_kernelILj1024ELj16ElliEEv20rocsparse_direction_T3_S2_21rocsparse_index_base_PKT1_PKT2_PKS2_S2_S3_PS4_PS7_PS2_.kd
    .uniform_work_group_size: 1
    .uses_dynamic_stack: false
    .vgpr_count:     17
    .vgpr_spill_count: 0
    .wavefront_size: 64
  - .agpr_count:     0
    .args:
      - .offset:         0
        .size:           4
        .value_kind:     by_value
      - .offset:         4
        .size:           4
        .value_kind:     by_value
      - .offset:         8
        .size:           4
        .value_kind:     by_value
      - .offset:         12
        .size:           4
        .value_kind:     by_value
      - .actual_access:  read_only
        .address_space:  global
        .offset:         16
        .size:           8
        .value_kind:     global_buffer
      - .actual_access:  read_only
        .address_space:  global
        .offset:         24
        .size:           8
        .value_kind:     global_buffer
      - .actual_access:  read_only
        .address_space:  global
        .offset:         32
        .size:           8
        .value_kind:     global_buffer
      - .offset:         40
        .size:           4
        .value_kind:     by_value
      - .offset:         44
        .size:           4
        .value_kind:     by_value
      - .actual_access:  write_only
        .address_space:  global
        .offset:         48
        .size:           8
        .value_kind:     global_buffer
      - .actual_access:  write_only
        .address_space:  global
        .offset:         56
        .size:           8
        .value_kind:     global_buffer
      - .actual_access:  write_only
        .address_space:  global
        .offset:         64
        .size:           8
        .value_kind:     global_buffer
    .group_segment_fixed_size: 0
    .kernarg_segment_align: 8
    .kernarg_segment_size: 72
    .language:       OpenCL C
    .language_version:
      - 2
      - 0
    .max_flat_workgroup_size: 1024
    .name:           _ZN9rocsparseL33bsr2csr_block_per_row_8_32_kernelILj1024ELj32ElliEEv20rocsparse_direction_T3_S2_21rocsparse_index_base_PKT1_PKT2_PKS2_S2_S3_PS4_PS7_PS2_
    .private_segment_fixed_size: 0
    .sgpr_count:     31
    .sgpr_spill_count: 0
    .symbol:         _ZN9rocsparseL33bsr2csr_block_per_row_8_32_kernelILj1024ELj32ElliEEv20rocsparse_direction_T3_S2_21rocsparse_index_base_PKT1_PKT2_PKS2_S2_S3_PS4_PS7_PS2_.kd
    .uniform_work_group_size: 1
    .uses_dynamic_stack: false
    .vgpr_count:     15
    .vgpr_spill_count: 0
    .wavefront_size: 64
  - .agpr_count:     0
    .args:
      - .offset:         0
        .size:           4
        .value_kind:     by_value
      - .offset:         4
        .size:           4
        .value_kind:     by_value
      - .offset:         8
        .size:           4
        .value_kind:     by_value
      - .offset:         12
        .size:           4
        .value_kind:     by_value
      - .actual_access:  read_only
        .address_space:  global
        .offset:         16
        .size:           8
        .value_kind:     global_buffer
      - .actual_access:  read_only
        .address_space:  global
        .offset:         24
        .size:           8
        .value_kind:     global_buffer
      - .actual_access:  read_only
        .address_space:  global
        .offset:         32
        .size:           8
        .value_kind:     global_buffer
      - .offset:         40
        .size:           4
        .value_kind:     by_value
      - .offset:         44
        .size:           4
        .value_kind:     by_value
      - .actual_access:  write_only
        .address_space:  global
        .offset:         48
        .size:           8
        .value_kind:     global_buffer
      - .actual_access:  write_only
        .address_space:  global
        .offset:         56
        .size:           8
        .value_kind:     global_buffer
      - .actual_access:  write_only
        .address_space:  global
        .offset:         64
        .size:           8
        .value_kind:     global_buffer
    .group_segment_fixed_size: 0
    .kernarg_segment_align: 8
    .kernarg_segment_size: 72
    .language:       OpenCL C
    .language_version:
      - 2
      - 0
    .max_flat_workgroup_size: 1024
    .name:           _ZN9rocsparseL35bsr2csr_block_per_row_33_256_kernelILj1024ELj64ELj32ElliEEv20rocsparse_direction_T4_S2_21rocsparse_index_base_PKT2_PKT3_PKS2_S2_S3_PS4_PS7_PS2_
    .private_segment_fixed_size: 0
    .sgpr_count:     44
    .sgpr_spill_count: 0
    .symbol:         _ZN9rocsparseL35bsr2csr_block_per_row_33_256_kernelILj1024ELj64ELj32ElliEEv20rocsparse_direction_T4_S2_21rocsparse_index_base_PKT2_PKT3_PKS2_S2_S3_PS4_PS7_PS2_.kd
    .uniform_work_group_size: 1
    .uses_dynamic_stack: false
    .vgpr_count:     26
    .vgpr_spill_count: 0
    .wavefront_size: 64
  - .agpr_count:     0
    .args:
      - .offset:         0
        .size:           4
        .value_kind:     by_value
      - .offset:         4
        .size:           4
        .value_kind:     by_value
      - .offset:         8
        .size:           4
        .value_kind:     by_value
      - .offset:         12
        .size:           4
        .value_kind:     by_value
      - .actual_access:  read_only
        .address_space:  global
        .offset:         16
        .size:           8
        .value_kind:     global_buffer
      - .actual_access:  read_only
        .address_space:  global
        .offset:         24
        .size:           8
        .value_kind:     global_buffer
      - .actual_access:  read_only
        .address_space:  global
        .offset:         32
        .size:           8
        .value_kind:     global_buffer
      - .offset:         40
        .size:           4
        .value_kind:     by_value
      - .offset:         44
        .size:           4
        .value_kind:     by_value
      - .actual_access:  write_only
        .address_space:  global
        .offset:         48
        .size:           8
        .value_kind:     global_buffer
      - .actual_access:  write_only
        .address_space:  global
        .offset:         56
        .size:           8
        .value_kind:     global_buffer
      - .actual_access:  write_only
        .address_space:  global
        .offset:         64
        .size:           8
        .value_kind:     global_buffer
    .group_segment_fixed_size: 0
    .kernarg_segment_align: 8
    .kernarg_segment_size: 72
    .language:       OpenCL C
    .language_version:
      - 2
      - 0
    .max_flat_workgroup_size: 1024
    .name:           _ZN9rocsparseL35bsr2csr_block_per_row_33_256_kernelILj1024ELj128ELj32ElliEEv20rocsparse_direction_T4_S2_21rocsparse_index_base_PKT2_PKT3_PKS2_S2_S3_PS4_PS7_PS2_
    .private_segment_fixed_size: 0
    .sgpr_count:     68
    .sgpr_spill_count: 0
    .symbol:         _ZN9rocsparseL35bsr2csr_block_per_row_33_256_kernelILj1024ELj128ELj32ElliEEv20rocsparse_direction_T4_S2_21rocsparse_index_base_PKT2_PKT3_PKS2_S2_S3_PS4_PS7_PS2_.kd
    .uniform_work_group_size: 1
    .uses_dynamic_stack: false
    .vgpr_count:     44
    .vgpr_spill_count: 0
    .wavefront_size: 64
  - .agpr_count:     0
    .args:
      - .offset:         0
        .size:           4
        .value_kind:     by_value
      - .offset:         4
        .size:           4
        .value_kind:     by_value
      - .offset:         8
        .size:           4
        .value_kind:     by_value
      - .offset:         12
        .size:           4
        .value_kind:     by_value
      - .actual_access:  read_only
        .address_space:  global
        .offset:         16
        .size:           8
        .value_kind:     global_buffer
      - .actual_access:  read_only
        .address_space:  global
        .offset:         24
        .size:           8
        .value_kind:     global_buffer
      - .actual_access:  read_only
        .address_space:  global
        .offset:         32
        .size:           8
        .value_kind:     global_buffer
      - .offset:         40
        .size:           4
        .value_kind:     by_value
      - .offset:         44
        .size:           4
        .value_kind:     by_value
      - .actual_access:  write_only
        .address_space:  global
        .offset:         48
        .size:           8
        .value_kind:     global_buffer
      - .actual_access:  write_only
        .address_space:  global
        .offset:         56
        .size:           8
        .value_kind:     global_buffer
      - .actual_access:  write_only
        .address_space:  global
        .offset:         64
        .size:           8
        .value_kind:     global_buffer
    .group_segment_fixed_size: 0
    .kernarg_segment_align: 8
    .kernarg_segment_size: 72
    .language:       OpenCL C
    .language_version:
      - 2
      - 0
    .max_flat_workgroup_size: 1024
    .name:           _ZN9rocsparseL35bsr2csr_block_per_row_33_256_kernelILj1024ELj256ELj32ElliEEv20rocsparse_direction_T4_S2_21rocsparse_index_base_PKT2_PKT3_PKS2_S2_S3_PS4_PS7_PS2_
    .private_segment_fixed_size: 0
    .sgpr_count:     100
    .sgpr_spill_count: 97
    .symbol:         _ZN9rocsparseL35bsr2csr_block_per_row_33_256_kernelILj1024ELj256ELj32ElliEEv20rocsparse_direction_T4_S2_21rocsparse_index_base_PKT2_PKT3_PKS2_S2_S3_PS4_PS7_PS2_.kd
    .uniform_work_group_size: 1
    .uses_dynamic_stack: false
    .vgpr_count:     81
    .vgpr_spill_count: 0
    .wavefront_size: 64
  - .agpr_count:     0
    .args:
      - .offset:         0
        .size:           8
        .value_kind:     by_value
      - .offset:         8
        .size:           8
        .value_kind:     by_value
      - .offset:         16
        .size:           4
        .value_kind:     by_value
      - .actual_access:  read_only
        .address_space:  global
        .offset:         24
        .size:           8
        .value_kind:     global_buffer
      - .actual_access:  read_only
        .address_space:  global
        .offset:         32
        .size:           8
        .value_kind:     global_buffer
      - .actual_access:  read_only
        .address_space:  global
        .offset:         40
        .size:           8
        .value_kind:     global_buffer
      - .offset:         48
        .size:           4
        .value_kind:     by_value
      - .actual_access:  write_only
        .address_space:  global
        .offset:         56
        .size:           8
        .value_kind:     global_buffer
      - .actual_access:  write_only
        .address_space:  global
        .offset:         64
        .size:           8
        .value_kind:     global_buffer
      - .actual_access:  write_only
        .address_space:  global
        .offset:         72
        .size:           8
        .value_kind:     global_buffer
      - .offset:         80
        .size:           4
        .value_kind:     hidden_block_count_x
      - .offset:         84
        .size:           4
        .value_kind:     hidden_block_count_y
      - .offset:         88
        .size:           4
        .value_kind:     hidden_block_count_z
      - .offset:         92
        .size:           2
        .value_kind:     hidden_group_size_x
      - .offset:         94
        .size:           2
        .value_kind:     hidden_group_size_y
      - .offset:         96
        .size:           2
        .value_kind:     hidden_group_size_z
      - .offset:         98
        .size:           2
        .value_kind:     hidden_remainder_x
      - .offset:         100
        .size:           2
        .value_kind:     hidden_remainder_y
      - .offset:         102
        .size:           2
        .value_kind:     hidden_remainder_z
      - .offset:         120
        .size:           8
        .value_kind:     hidden_global_offset_x
      - .offset:         128
        .size:           8
        .value_kind:     hidden_global_offset_y
      - .offset:         136
        .size:           8
        .value_kind:     hidden_global_offset_z
      - .offset:         144
        .size:           2
        .value_kind:     hidden_grid_dims
    .group_segment_fixed_size: 0
    .kernarg_segment_align: 8
    .kernarg_segment_size: 336
    .language:       OpenCL C
    .language_version:
      - 2
      - 0
    .max_flat_workgroup_size: 1024
    .name:           _ZN9rocsparseL35bsr2csr_block_dim_equals_one_kernelILj1024ElilEEvT2_S1_21rocsparse_index_base_PKT0_PKT1_PKS1_S2_PS3_PS6_PS1_
    .private_segment_fixed_size: 0
    .sgpr_count:     28
    .sgpr_spill_count: 0
    .symbol:         _ZN9rocsparseL35bsr2csr_block_dim_equals_one_kernelILj1024ElilEEvT2_S1_21rocsparse_index_base_PKT0_PKT1_PKS1_S2_PS3_PS6_PS1_.kd
    .uniform_work_group_size: 1
    .uses_dynamic_stack: false
    .vgpr_count:     20
    .vgpr_spill_count: 0
    .wavefront_size: 64
  - .agpr_count:     0
    .args:
      - .offset:         0
        .size:           4
        .value_kind:     by_value
      - .offset:         8
        .size:           8
        .value_kind:     by_value
      - .offset:         16
        .size:           8
        .value_kind:     by_value
      - .offset:         24
        .size:           4
        .value_kind:     by_value
      - .actual_access:  read_only
        .address_space:  global
        .offset:         32
        .size:           8
        .value_kind:     global_buffer
      - .actual_access:  read_only
        .address_space:  global
        .offset:         40
        .size:           8
        .value_kind:     global_buffer
      - .actual_access:  read_only
        .address_space:  global
        .offset:         48
        .size:           8
        .value_kind:     global_buffer
      - .offset:         56
        .size:           8
        .value_kind:     by_value
      - .offset:         64
        .size:           4
        .value_kind:     by_value
      - .actual_access:  write_only
        .address_space:  global
        .offset:         72
        .size:           8
        .value_kind:     global_buffer
      - .actual_access:  write_only
        .address_space:  global
        .offset:         80
        .size:           8
        .value_kind:     global_buffer
      - .actual_access:  write_only
        .address_space:  global
        .offset:         88
        .size:           8
        .value_kind:     global_buffer
    .group_segment_fixed_size: 0
    .kernarg_segment_align: 8
    .kernarg_segment_size: 96
    .language:       OpenCL C
    .language_version:
      - 2
      - 0
    .max_flat_workgroup_size: 256
    .name:           _ZN9rocsparseL32bsr2csr_block_per_row_2_7_kernelILj256ELj2ElilEEv20rocsparse_direction_T3_S2_21rocsparse_index_base_PKT1_PKT2_PKS2_S2_S3_PS4_PS7_PS2_
    .private_segment_fixed_size: 0
    .sgpr_count:     24
    .sgpr_spill_count: 0
    .symbol:         _ZN9rocsparseL32bsr2csr_block_per_row_2_7_kernelILj256ELj2ElilEEv20rocsparse_direction_T3_S2_21rocsparse_index_base_PKT1_PKT2_PKS2_S2_S3_PS4_PS7_PS2_.kd
    .uniform_work_group_size: 1
    .uses_dynamic_stack: false
    .vgpr_count:     30
    .vgpr_spill_count: 0
    .wavefront_size: 64
  - .agpr_count:     0
    .args:
      - .offset:         0
        .size:           4
        .value_kind:     by_value
      - .offset:         8
        .size:           8
        .value_kind:     by_value
      - .offset:         16
        .size:           8
        .value_kind:     by_value
      - .offset:         24
        .size:           4
        .value_kind:     by_value
      - .actual_access:  read_only
        .address_space:  global
        .offset:         32
        .size:           8
        .value_kind:     global_buffer
      - .actual_access:  read_only
        .address_space:  global
        .offset:         40
        .size:           8
        .value_kind:     global_buffer
      - .actual_access:  read_only
        .address_space:  global
        .offset:         48
        .size:           8
        .value_kind:     global_buffer
      - .offset:         56
        .size:           8
        .value_kind:     by_value
      - .offset:         64
        .size:           4
        .value_kind:     by_value
      - .actual_access:  write_only
        .address_space:  global
        .offset:         72
        .size:           8
        .value_kind:     global_buffer
      - .actual_access:  write_only
        .address_space:  global
        .offset:         80
        .size:           8
        .value_kind:     global_buffer
      - .actual_access:  write_only
        .address_space:  global
        .offset:         88
        .size:           8
        .value_kind:     global_buffer
    .group_segment_fixed_size: 0
    .kernarg_segment_align: 8
    .kernarg_segment_size: 96
    .language:       OpenCL C
    .language_version:
      - 2
      - 0
    .max_flat_workgroup_size: 256
    .name:           _ZN9rocsparseL32bsr2csr_block_per_row_2_7_kernelILj256ELj3ElilEEv20rocsparse_direction_T3_S2_21rocsparse_index_base_PKT1_PKT2_PKS2_S2_S3_PS4_PS7_PS2_
    .private_segment_fixed_size: 0
    .sgpr_count:     21
    .sgpr_spill_count: 0
    .symbol:         _ZN9rocsparseL32bsr2csr_block_per_row_2_7_kernelILj256ELj3ElilEEv20rocsparse_direction_T3_S2_21rocsparse_index_base_PKT1_PKT2_PKS2_S2_S3_PS4_PS7_PS2_.kd
    .uniform_work_group_size: 1
    .uses_dynamic_stack: false
    .vgpr_count:     28
    .vgpr_spill_count: 0
    .wavefront_size: 64
  - .agpr_count:     0
    .args:
      - .offset:         0
        .size:           4
        .value_kind:     by_value
      - .offset:         8
        .size:           8
        .value_kind:     by_value
      - .offset:         16
        .size:           8
        .value_kind:     by_value
      - .offset:         24
        .size:           4
        .value_kind:     by_value
      - .actual_access:  read_only
        .address_space:  global
        .offset:         32
        .size:           8
        .value_kind:     global_buffer
      - .actual_access:  read_only
        .address_space:  global
        .offset:         40
        .size:           8
        .value_kind:     global_buffer
      - .actual_access:  read_only
        .address_space:  global
        .offset:         48
        .size:           8
        .value_kind:     global_buffer
      - .offset:         56
        .size:           8
        .value_kind:     by_value
      - .offset:         64
        .size:           4
        .value_kind:     by_value
      - .actual_access:  write_only
        .address_space:  global
        .offset:         72
        .size:           8
        .value_kind:     global_buffer
      - .actual_access:  write_only
        .address_space:  global
        .offset:         80
        .size:           8
        .value_kind:     global_buffer
      - .actual_access:  write_only
        .address_space:  global
        .offset:         88
        .size:           8
        .value_kind:     global_buffer
    .group_segment_fixed_size: 0
    .kernarg_segment_align: 8
    .kernarg_segment_size: 96
    .language:       OpenCL C
    .language_version:
      - 2
      - 0
    .max_flat_workgroup_size: 256
    .name:           _ZN9rocsparseL32bsr2csr_block_per_row_2_7_kernelILj256ELj4ElilEEv20rocsparse_direction_T3_S2_21rocsparse_index_base_PKT1_PKT2_PKS2_S2_S3_PS4_PS7_PS2_
    .private_segment_fixed_size: 0
    .sgpr_count:     20
    .sgpr_spill_count: 0
    .symbol:         _ZN9rocsparseL32bsr2csr_block_per_row_2_7_kernelILj256ELj4ElilEEv20rocsparse_direction_T3_S2_21rocsparse_index_base_PKT1_PKT2_PKS2_S2_S3_PS4_PS7_PS2_.kd
    .uniform_work_group_size: 1
    .uses_dynamic_stack: false
    .vgpr_count:     34
    .vgpr_spill_count: 0
    .wavefront_size: 64
  - .agpr_count:     0
    .args:
      - .offset:         0
        .size:           4
        .value_kind:     by_value
      - .offset:         8
        .size:           8
        .value_kind:     by_value
      - .offset:         16
        .size:           8
        .value_kind:     by_value
      - .offset:         24
        .size:           4
        .value_kind:     by_value
      - .actual_access:  read_only
        .address_space:  global
        .offset:         32
        .size:           8
        .value_kind:     global_buffer
      - .actual_access:  read_only
        .address_space:  global
        .offset:         40
        .size:           8
        .value_kind:     global_buffer
      - .actual_access:  read_only
        .address_space:  global
        .offset:         48
        .size:           8
        .value_kind:     global_buffer
      - .offset:         56
        .size:           8
        .value_kind:     by_value
      - .offset:         64
        .size:           4
        .value_kind:     by_value
      - .actual_access:  write_only
        .address_space:  global
        .offset:         72
        .size:           8
        .value_kind:     global_buffer
      - .actual_access:  write_only
        .address_space:  global
        .offset:         80
        .size:           8
        .value_kind:     global_buffer
      - .actual_access:  write_only
        .address_space:  global
        .offset:         88
        .size:           8
        .value_kind:     global_buffer
    .group_segment_fixed_size: 0
    .kernarg_segment_align: 8
    .kernarg_segment_size: 96
    .language:       OpenCL C
    .language_version:
      - 2
      - 0
    .max_flat_workgroup_size: 256
    .name:           _ZN9rocsparseL32bsr2csr_block_per_row_2_7_kernelILj256ELj5ElilEEv20rocsparse_direction_T3_S2_21rocsparse_index_base_PKT1_PKT2_PKS2_S2_S3_PS4_PS7_PS2_
    .private_segment_fixed_size: 0
    .sgpr_count:     24
    .sgpr_spill_count: 0
    .symbol:         _ZN9rocsparseL32bsr2csr_block_per_row_2_7_kernelILj256ELj5ElilEEv20rocsparse_direction_T3_S2_21rocsparse_index_base_PKT1_PKT2_PKS2_S2_S3_PS4_PS7_PS2_.kd
    .uniform_work_group_size: 1
    .uses_dynamic_stack: false
    .vgpr_count:     36
    .vgpr_spill_count: 0
    .wavefront_size: 64
  - .agpr_count:     0
    .args:
      - .offset:         0
        .size:           4
        .value_kind:     by_value
      - .offset:         8
        .size:           8
        .value_kind:     by_value
      - .offset:         16
        .size:           8
        .value_kind:     by_value
      - .offset:         24
        .size:           4
        .value_kind:     by_value
      - .actual_access:  read_only
        .address_space:  global
        .offset:         32
        .size:           8
        .value_kind:     global_buffer
      - .actual_access:  read_only
        .address_space:  global
        .offset:         40
        .size:           8
        .value_kind:     global_buffer
      - .actual_access:  read_only
        .address_space:  global
        .offset:         48
        .size:           8
        .value_kind:     global_buffer
      - .offset:         56
        .size:           8
        .value_kind:     by_value
      - .offset:         64
        .size:           4
        .value_kind:     by_value
      - .actual_access:  write_only
        .address_space:  global
        .offset:         72
        .size:           8
        .value_kind:     global_buffer
      - .actual_access:  write_only
        .address_space:  global
        .offset:         80
        .size:           8
        .value_kind:     global_buffer
      - .actual_access:  write_only
        .address_space:  global
        .offset:         88
        .size:           8
        .value_kind:     global_buffer
    .group_segment_fixed_size: 0
    .kernarg_segment_align: 8
    .kernarg_segment_size: 96
    .language:       OpenCL C
    .language_version:
      - 2
      - 0
    .max_flat_workgroup_size: 256
    .name:           _ZN9rocsparseL32bsr2csr_block_per_row_2_7_kernelILj256ELj6ElilEEv20rocsparse_direction_T3_S2_21rocsparse_index_base_PKT1_PKT2_PKS2_S2_S3_PS4_PS7_PS2_
    .private_segment_fixed_size: 0
    .sgpr_count:     27
    .sgpr_spill_count: 0
    .symbol:         _ZN9rocsparseL32bsr2csr_block_per_row_2_7_kernelILj256ELj6ElilEEv20rocsparse_direction_T3_S2_21rocsparse_index_base_PKT1_PKT2_PKS2_S2_S3_PS4_PS7_PS2_.kd
    .uniform_work_group_size: 1
    .uses_dynamic_stack: false
    .vgpr_count:     42
    .vgpr_spill_count: 0
    .wavefront_size: 64
  - .agpr_count:     0
    .args:
      - .offset:         0
        .size:           4
        .value_kind:     by_value
      - .offset:         8
        .size:           8
        .value_kind:     by_value
      - .offset:         16
        .size:           8
        .value_kind:     by_value
      - .offset:         24
        .size:           4
        .value_kind:     by_value
      - .actual_access:  read_only
        .address_space:  global
        .offset:         32
        .size:           8
        .value_kind:     global_buffer
      - .actual_access:  read_only
        .address_space:  global
        .offset:         40
        .size:           8
        .value_kind:     global_buffer
      - .actual_access:  read_only
        .address_space:  global
        .offset:         48
        .size:           8
        .value_kind:     global_buffer
      - .offset:         56
        .size:           8
        .value_kind:     by_value
      - .offset:         64
        .size:           4
        .value_kind:     by_value
      - .actual_access:  write_only
        .address_space:  global
        .offset:         72
        .size:           8
        .value_kind:     global_buffer
      - .actual_access:  write_only
        .address_space:  global
        .offset:         80
        .size:           8
        .value_kind:     global_buffer
      - .actual_access:  write_only
        .address_space:  global
        .offset:         88
        .size:           8
        .value_kind:     global_buffer
    .group_segment_fixed_size: 0
    .kernarg_segment_align: 8
    .kernarg_segment_size: 96
    .language:       OpenCL C
    .language_version:
      - 2
      - 0
    .max_flat_workgroup_size: 256
    .name:           _ZN9rocsparseL32bsr2csr_block_per_row_2_7_kernelILj256ELj7ElilEEv20rocsparse_direction_T3_S2_21rocsparse_index_base_PKT1_PKT2_PKS2_S2_S3_PS4_PS7_PS2_
    .private_segment_fixed_size: 0
    .sgpr_count:     30
    .sgpr_spill_count: 0
    .symbol:         _ZN9rocsparseL32bsr2csr_block_per_row_2_7_kernelILj256ELj7ElilEEv20rocsparse_direction_T3_S2_21rocsparse_index_base_PKT1_PKT2_PKS2_S2_S3_PS4_PS7_PS2_.kd
    .uniform_work_group_size: 1
    .uses_dynamic_stack: false
    .vgpr_count:     46
    .vgpr_spill_count: 0
    .wavefront_size: 64
  - .agpr_count:     0
    .args:
      - .offset:         0
        .size:           4
        .value_kind:     by_value
      - .offset:         8
        .size:           8
        .value_kind:     by_value
      - .offset:         16
        .size:           8
        .value_kind:     by_value
      - .offset:         24
        .size:           4
        .value_kind:     by_value
      - .actual_access:  read_only
        .address_space:  global
        .offset:         32
        .size:           8
        .value_kind:     global_buffer
      - .actual_access:  read_only
        .address_space:  global
        .offset:         40
        .size:           8
        .value_kind:     global_buffer
      - .actual_access:  read_only
        .address_space:  global
        .offset:         48
        .size:           8
        .value_kind:     global_buffer
      - .offset:         56
        .size:           8
        .value_kind:     by_value
      - .offset:         64
        .size:           4
        .value_kind:     by_value
      - .actual_access:  write_only
        .address_space:  global
        .offset:         72
        .size:           8
        .value_kind:     global_buffer
      - .actual_access:  write_only
        .address_space:  global
        .offset:         80
        .size:           8
        .value_kind:     global_buffer
      - .actual_access:  write_only
        .address_space:  global
        .offset:         88
        .size:           8
        .value_kind:     global_buffer
    .group_segment_fixed_size: 0
    .kernarg_segment_align: 8
    .kernarg_segment_size: 96
    .language:       OpenCL C
    .language_version:
      - 2
      - 0
    .max_flat_workgroup_size: 1024
    .name:           _ZN9rocsparseL33bsr2csr_block_per_row_8_32_kernelILj1024ELj8ElilEEv20rocsparse_direction_T3_S2_21rocsparse_index_base_PKT1_PKT2_PKS2_S2_S3_PS4_PS7_PS2_
    .private_segment_fixed_size: 0
    .sgpr_count:     25
    .sgpr_spill_count: 0
    .symbol:         _ZN9rocsparseL33bsr2csr_block_per_row_8_32_kernelILj1024ELj8ElilEEv20rocsparse_direction_T3_S2_21rocsparse_index_base_PKT1_PKT2_PKS2_S2_S3_PS4_PS7_PS2_.kd
    .uniform_work_group_size: 1
    .uses_dynamic_stack: false
    .vgpr_count:     23
    .vgpr_spill_count: 0
    .wavefront_size: 64
  - .agpr_count:     0
    .args:
      - .offset:         0
        .size:           4
        .value_kind:     by_value
      - .offset:         8
        .size:           8
        .value_kind:     by_value
      - .offset:         16
        .size:           8
        .value_kind:     by_value
      - .offset:         24
        .size:           4
        .value_kind:     by_value
      - .actual_access:  read_only
        .address_space:  global
        .offset:         32
        .size:           8
        .value_kind:     global_buffer
      - .actual_access:  read_only
        .address_space:  global
        .offset:         40
        .size:           8
        .value_kind:     global_buffer
      - .actual_access:  read_only
        .address_space:  global
        .offset:         48
        .size:           8
        .value_kind:     global_buffer
      - .offset:         56
        .size:           8
        .value_kind:     by_value
      - .offset:         64
        .size:           4
        .value_kind:     by_value
      - .actual_access:  write_only
        .address_space:  global
        .offset:         72
        .size:           8
        .value_kind:     global_buffer
      - .actual_access:  write_only
        .address_space:  global
        .offset:         80
        .size:           8
        .value_kind:     global_buffer
      - .actual_access:  write_only
        .address_space:  global
        .offset:         88
        .size:           8
        .value_kind:     global_buffer
    .group_segment_fixed_size: 0
    .kernarg_segment_align: 8
    .kernarg_segment_size: 96
    .language:       OpenCL C
    .language_version:
      - 2
      - 0
    .max_flat_workgroup_size: 1024
    .name:           _ZN9rocsparseL33bsr2csr_block_per_row_8_32_kernelILj1024ELj16ElilEEv20rocsparse_direction_T3_S2_21rocsparse_index_base_PKT1_PKT2_PKS2_S2_S3_PS4_PS7_PS2_
    .private_segment_fixed_size: 0
    .sgpr_count:     25
    .sgpr_spill_count: 0
    .symbol:         _ZN9rocsparseL33bsr2csr_block_per_row_8_32_kernelILj1024ELj16ElilEEv20rocsparse_direction_T3_S2_21rocsparse_index_base_PKT1_PKT2_PKS2_S2_S3_PS4_PS7_PS2_.kd
    .uniform_work_group_size: 1
    .uses_dynamic_stack: false
    .vgpr_count:     23
    .vgpr_spill_count: 0
    .wavefront_size: 64
  - .agpr_count:     0
    .args:
      - .offset:         0
        .size:           4
        .value_kind:     by_value
      - .offset:         8
        .size:           8
        .value_kind:     by_value
      - .offset:         16
        .size:           8
        .value_kind:     by_value
      - .offset:         24
        .size:           4
        .value_kind:     by_value
      - .actual_access:  read_only
        .address_space:  global
        .offset:         32
        .size:           8
        .value_kind:     global_buffer
      - .actual_access:  read_only
        .address_space:  global
        .offset:         40
        .size:           8
        .value_kind:     global_buffer
      - .actual_access:  read_only
        .address_space:  global
        .offset:         48
        .size:           8
        .value_kind:     global_buffer
      - .offset:         56
        .size:           8
        .value_kind:     by_value
      - .offset:         64
        .size:           4
        .value_kind:     by_value
      - .actual_access:  write_only
        .address_space:  global
        .offset:         72
        .size:           8
        .value_kind:     global_buffer
      - .actual_access:  write_only
        .address_space:  global
        .offset:         80
        .size:           8
        .value_kind:     global_buffer
      - .actual_access:  write_only
        .address_space:  global
        .offset:         88
        .size:           8
        .value_kind:     global_buffer
    .group_segment_fixed_size: 0
    .kernarg_segment_align: 8
    .kernarg_segment_size: 96
    .language:       OpenCL C
    .language_version:
      - 2
      - 0
    .max_flat_workgroup_size: 1024
    .name:           _ZN9rocsparseL33bsr2csr_block_per_row_8_32_kernelILj1024ELj32ElilEEv20rocsparse_direction_T3_S2_21rocsparse_index_base_PKT1_PKT2_PKS2_S2_S3_PS4_PS7_PS2_
    .private_segment_fixed_size: 0
    .sgpr_count:     24
    .sgpr_spill_count: 0
    .symbol:         _ZN9rocsparseL33bsr2csr_block_per_row_8_32_kernelILj1024ELj32ElilEEv20rocsparse_direction_T3_S2_21rocsparse_index_base_PKT1_PKT2_PKS2_S2_S3_PS4_PS7_PS2_.kd
    .uniform_work_group_size: 1
    .uses_dynamic_stack: false
    .vgpr_count:     20
    .vgpr_spill_count: 0
    .wavefront_size: 64
  - .agpr_count:     0
    .args:
      - .offset:         0
        .size:           4
        .value_kind:     by_value
      - .offset:         8
        .size:           8
        .value_kind:     by_value
      - .offset:         16
        .size:           8
        .value_kind:     by_value
      - .offset:         24
        .size:           4
        .value_kind:     by_value
      - .actual_access:  read_only
        .address_space:  global
        .offset:         32
        .size:           8
        .value_kind:     global_buffer
      - .actual_access:  read_only
        .address_space:  global
        .offset:         40
        .size:           8
        .value_kind:     global_buffer
      - .actual_access:  read_only
        .address_space:  global
        .offset:         48
        .size:           8
        .value_kind:     global_buffer
      - .offset:         56
        .size:           8
        .value_kind:     by_value
      - .offset:         64
        .size:           4
        .value_kind:     by_value
      - .actual_access:  write_only
        .address_space:  global
        .offset:         72
        .size:           8
        .value_kind:     global_buffer
      - .actual_access:  write_only
        .address_space:  global
        .offset:         80
        .size:           8
        .value_kind:     global_buffer
      - .actual_access:  write_only
        .address_space:  global
        .offset:         88
        .size:           8
        .value_kind:     global_buffer
    .group_segment_fixed_size: 0
    .kernarg_segment_align: 8
    .kernarg_segment_size: 96
    .language:       OpenCL C
    .language_version:
      - 2
      - 0
    .max_flat_workgroup_size: 1024
    .name:           _ZN9rocsparseL35bsr2csr_block_per_row_33_256_kernelILj1024ELj64ELj32ElilEEv20rocsparse_direction_T4_S2_21rocsparse_index_base_PKT2_PKT3_PKS2_S2_S3_PS4_PS7_PS2_
    .private_segment_fixed_size: 0
    .sgpr_count:     36
    .sgpr_spill_count: 0
    .symbol:         _ZN9rocsparseL35bsr2csr_block_per_row_33_256_kernelILj1024ELj64ELj32ElilEEv20rocsparse_direction_T4_S2_21rocsparse_index_base_PKT2_PKT3_PKS2_S2_S3_PS4_PS7_PS2_.kd
    .uniform_work_group_size: 1
    .uses_dynamic_stack: false
    .vgpr_count:     24
    .vgpr_spill_count: 0
    .wavefront_size: 64
  - .agpr_count:     0
    .args:
      - .offset:         0
        .size:           4
        .value_kind:     by_value
      - .offset:         8
        .size:           8
        .value_kind:     by_value
      - .offset:         16
        .size:           8
        .value_kind:     by_value
      - .offset:         24
        .size:           4
        .value_kind:     by_value
      - .actual_access:  read_only
        .address_space:  global
        .offset:         32
        .size:           8
        .value_kind:     global_buffer
      - .actual_access:  read_only
        .address_space:  global
        .offset:         40
        .size:           8
        .value_kind:     global_buffer
      - .actual_access:  read_only
        .address_space:  global
        .offset:         48
        .size:           8
        .value_kind:     global_buffer
      - .offset:         56
        .size:           8
        .value_kind:     by_value
      - .offset:         64
        .size:           4
        .value_kind:     by_value
      - .actual_access:  write_only
        .address_space:  global
        .offset:         72
        .size:           8
        .value_kind:     global_buffer
      - .actual_access:  write_only
        .address_space:  global
        .offset:         80
        .size:           8
        .value_kind:     global_buffer
      - .actual_access:  write_only
        .address_space:  global
        .offset:         88
        .size:           8
        .value_kind:     global_buffer
    .group_segment_fixed_size: 0
    .kernarg_segment_align: 8
    .kernarg_segment_size: 96
    .language:       OpenCL C
    .language_version:
      - 2
      - 0
    .max_flat_workgroup_size: 1024
    .name:           _ZN9rocsparseL35bsr2csr_block_per_row_33_256_kernelILj1024ELj128ELj32ElilEEv20rocsparse_direction_T4_S2_21rocsparse_index_base_PKT2_PKT3_PKS2_S2_S3_PS4_PS7_PS2_
    .private_segment_fixed_size: 0
    .sgpr_count:     64
    .sgpr_spill_count: 0
    .symbol:         _ZN9rocsparseL35bsr2csr_block_per_row_33_256_kernelILj1024ELj128ELj32ElilEEv20rocsparse_direction_T4_S2_21rocsparse_index_base_PKT2_PKT3_PKS2_S2_S3_PS4_PS7_PS2_.kd
    .uniform_work_group_size: 1
    .uses_dynamic_stack: false
    .vgpr_count:     42
    .vgpr_spill_count: 0
    .wavefront_size: 64
  - .agpr_count:     0
    .args:
      - .offset:         0
        .size:           4
        .value_kind:     by_value
      - .offset:         8
        .size:           8
        .value_kind:     by_value
      - .offset:         16
        .size:           8
        .value_kind:     by_value
      - .offset:         24
        .size:           4
        .value_kind:     by_value
      - .actual_access:  read_only
        .address_space:  global
        .offset:         32
        .size:           8
        .value_kind:     global_buffer
      - .actual_access:  read_only
        .address_space:  global
        .offset:         40
        .size:           8
        .value_kind:     global_buffer
      - .actual_access:  read_only
        .address_space:  global
        .offset:         48
        .size:           8
        .value_kind:     global_buffer
      - .offset:         56
        .size:           8
        .value_kind:     by_value
      - .offset:         64
        .size:           4
        .value_kind:     by_value
      - .actual_access:  write_only
        .address_space:  global
        .offset:         72
        .size:           8
        .value_kind:     global_buffer
      - .actual_access:  write_only
        .address_space:  global
        .offset:         80
        .size:           8
        .value_kind:     global_buffer
      - .actual_access:  write_only
        .address_space:  global
        .offset:         88
        .size:           8
        .value_kind:     global_buffer
    .group_segment_fixed_size: 0
    .kernarg_segment_align: 8
    .kernarg_segment_size: 96
    .language:       OpenCL C
    .language_version:
      - 2
      - 0
    .max_flat_workgroup_size: 1024
    .name:           _ZN9rocsparseL35bsr2csr_block_per_row_33_256_kernelILj1024ELj256ELj32ElilEEv20rocsparse_direction_T4_S2_21rocsparse_index_base_PKT2_PKT3_PKS2_S2_S3_PS4_PS7_PS2_
    .private_segment_fixed_size: 0
    .sgpr_count:     100
    .sgpr_spill_count: 63
    .symbol:         _ZN9rocsparseL35bsr2csr_block_per_row_33_256_kernelILj1024ELj256ELj32ElilEEv20rocsparse_direction_T4_S2_21rocsparse_index_base_PKT2_PKT3_PKS2_S2_S3_PS4_PS7_PS2_.kd
    .uniform_work_group_size: 1
    .uses_dynamic_stack: false
    .vgpr_count:     87
    .vgpr_spill_count: 0
    .wavefront_size: 64
  - .agpr_count:     0
    .args:
      - .offset:         0
        .size:           8
        .value_kind:     by_value
      - .offset:         8
        .size:           8
        .value_kind:     by_value
      - .offset:         16
        .size:           4
        .value_kind:     by_value
      - .actual_access:  read_only
        .address_space:  global
        .offset:         24
        .size:           8
        .value_kind:     global_buffer
      - .actual_access:  read_only
        .address_space:  global
        .offset:         32
        .size:           8
        .value_kind:     global_buffer
      - .actual_access:  read_only
        .address_space:  global
        .offset:         40
        .size:           8
        .value_kind:     global_buffer
      - .offset:         48
        .size:           4
        .value_kind:     by_value
      - .actual_access:  write_only
        .address_space:  global
        .offset:         56
        .size:           8
        .value_kind:     global_buffer
      - .actual_access:  write_only
        .address_space:  global
        .offset:         64
        .size:           8
        .value_kind:     global_buffer
      - .actual_access:  write_only
        .address_space:  global
        .offset:         72
        .size:           8
        .value_kind:     global_buffer
      - .offset:         80
        .size:           4
        .value_kind:     hidden_block_count_x
      - .offset:         84
        .size:           4
        .value_kind:     hidden_block_count_y
      - .offset:         88
        .size:           4
        .value_kind:     hidden_block_count_z
      - .offset:         92
        .size:           2
        .value_kind:     hidden_group_size_x
      - .offset:         94
        .size:           2
        .value_kind:     hidden_group_size_y
      - .offset:         96
        .size:           2
        .value_kind:     hidden_group_size_z
      - .offset:         98
        .size:           2
        .value_kind:     hidden_remainder_x
      - .offset:         100
        .size:           2
        .value_kind:     hidden_remainder_y
      - .offset:         102
        .size:           2
        .value_kind:     hidden_remainder_z
      - .offset:         120
        .size:           8
        .value_kind:     hidden_global_offset_x
      - .offset:         128
        .size:           8
        .value_kind:     hidden_global_offset_y
      - .offset:         136
        .size:           8
        .value_kind:     hidden_global_offset_z
      - .offset:         144
        .size:           2
        .value_kind:     hidden_grid_dims
    .group_segment_fixed_size: 0
    .kernarg_segment_align: 8
    .kernarg_segment_size: 336
    .language:       OpenCL C
    .language_version:
      - 2
      - 0
    .max_flat_workgroup_size: 1024
    .name:           _ZN9rocsparseL35bsr2csr_block_dim_equals_one_kernelILj1024ElllEEvT2_S1_21rocsparse_index_base_PKT0_PKT1_PKS1_S2_PS3_PS6_PS1_
    .private_segment_fixed_size: 0
    .sgpr_count:     30
    .sgpr_spill_count: 0
    .symbol:         _ZN9rocsparseL35bsr2csr_block_dim_equals_one_kernelILj1024ElllEEvT2_S1_21rocsparse_index_base_PKT0_PKT1_PKS1_S2_PS3_PS6_PS1_.kd
    .uniform_work_group_size: 1
    .uses_dynamic_stack: false
    .vgpr_count:     20
    .vgpr_spill_count: 0
    .wavefront_size: 64
  - .agpr_count:     0
    .args:
      - .offset:         0
        .size:           4
        .value_kind:     by_value
      - .offset:         8
        .size:           8
        .value_kind:     by_value
      - .offset:         16
        .size:           8
        .value_kind:     by_value
      - .offset:         24
        .size:           4
        .value_kind:     by_value
      - .actual_access:  read_only
        .address_space:  global
        .offset:         32
        .size:           8
        .value_kind:     global_buffer
      - .actual_access:  read_only
        .address_space:  global
        .offset:         40
        .size:           8
        .value_kind:     global_buffer
      - .actual_access:  read_only
        .address_space:  global
        .offset:         48
        .size:           8
        .value_kind:     global_buffer
      - .offset:         56
        .size:           8
        .value_kind:     by_value
      - .offset:         64
        .size:           4
        .value_kind:     by_value
      - .actual_access:  write_only
        .address_space:  global
        .offset:         72
        .size:           8
        .value_kind:     global_buffer
      - .actual_access:  write_only
        .address_space:  global
        .offset:         80
        .size:           8
        .value_kind:     global_buffer
      - .actual_access:  write_only
        .address_space:  global
        .offset:         88
        .size:           8
        .value_kind:     global_buffer
    .group_segment_fixed_size: 0
    .kernarg_segment_align: 8
    .kernarg_segment_size: 96
    .language:       OpenCL C
    .language_version:
      - 2
      - 0
    .max_flat_workgroup_size: 256
    .name:           _ZN9rocsparseL32bsr2csr_block_per_row_2_7_kernelILj256ELj2ElllEEv20rocsparse_direction_T3_S2_21rocsparse_index_base_PKT1_PKT2_PKS2_S2_S3_PS4_PS7_PS2_
    .private_segment_fixed_size: 0
    .sgpr_count:     28
    .sgpr_spill_count: 0
    .symbol:         _ZN9rocsparseL32bsr2csr_block_per_row_2_7_kernelILj256ELj2ElllEEv20rocsparse_direction_T3_S2_21rocsparse_index_base_PKT1_PKT2_PKS2_S2_S3_PS4_PS7_PS2_.kd
    .uniform_work_group_size: 1
    .uses_dynamic_stack: false
    .vgpr_count:     24
    .vgpr_spill_count: 0
    .wavefront_size: 64
  - .agpr_count:     0
    .args:
      - .offset:         0
        .size:           4
        .value_kind:     by_value
      - .offset:         8
        .size:           8
        .value_kind:     by_value
      - .offset:         16
        .size:           8
        .value_kind:     by_value
      - .offset:         24
        .size:           4
        .value_kind:     by_value
      - .actual_access:  read_only
        .address_space:  global
        .offset:         32
        .size:           8
        .value_kind:     global_buffer
      - .actual_access:  read_only
        .address_space:  global
        .offset:         40
        .size:           8
        .value_kind:     global_buffer
      - .actual_access:  read_only
        .address_space:  global
        .offset:         48
        .size:           8
        .value_kind:     global_buffer
      - .offset:         56
        .size:           8
        .value_kind:     by_value
      - .offset:         64
        .size:           4
        .value_kind:     by_value
      - .actual_access:  write_only
        .address_space:  global
        .offset:         72
        .size:           8
        .value_kind:     global_buffer
      - .actual_access:  write_only
        .address_space:  global
        .offset:         80
        .size:           8
        .value_kind:     global_buffer
      - .actual_access:  write_only
        .address_space:  global
        .offset:         88
        .size:           8
        .value_kind:     global_buffer
    .group_segment_fixed_size: 0
    .kernarg_segment_align: 8
    .kernarg_segment_size: 96
    .language:       OpenCL C
    .language_version:
      - 2
      - 0
    .max_flat_workgroup_size: 256
    .name:           _ZN9rocsparseL32bsr2csr_block_per_row_2_7_kernelILj256ELj3ElllEEv20rocsparse_direction_T3_S2_21rocsparse_index_base_PKT1_PKT2_PKS2_S2_S3_PS4_PS7_PS2_
    .private_segment_fixed_size: 0
    .sgpr_count:     26
    .sgpr_spill_count: 0
    .symbol:         _ZN9rocsparseL32bsr2csr_block_per_row_2_7_kernelILj256ELj3ElllEEv20rocsparse_direction_T3_S2_21rocsparse_index_base_PKT1_PKT2_PKS2_S2_S3_PS4_PS7_PS2_.kd
    .uniform_work_group_size: 1
    .uses_dynamic_stack: false
    .vgpr_count:     28
    .vgpr_spill_count: 0
    .wavefront_size: 64
  - .agpr_count:     0
    .args:
      - .offset:         0
        .size:           4
        .value_kind:     by_value
      - .offset:         8
        .size:           8
        .value_kind:     by_value
      - .offset:         16
        .size:           8
        .value_kind:     by_value
      - .offset:         24
        .size:           4
        .value_kind:     by_value
      - .actual_access:  read_only
        .address_space:  global
        .offset:         32
        .size:           8
        .value_kind:     global_buffer
      - .actual_access:  read_only
        .address_space:  global
        .offset:         40
        .size:           8
        .value_kind:     global_buffer
      - .actual_access:  read_only
        .address_space:  global
        .offset:         48
        .size:           8
        .value_kind:     global_buffer
      - .offset:         56
        .size:           8
        .value_kind:     by_value
      - .offset:         64
        .size:           4
        .value_kind:     by_value
      - .actual_access:  write_only
        .address_space:  global
        .offset:         72
        .size:           8
        .value_kind:     global_buffer
      - .actual_access:  write_only
        .address_space:  global
        .offset:         80
        .size:           8
        .value_kind:     global_buffer
      - .actual_access:  write_only
        .address_space:  global
        .offset:         88
        .size:           8
        .value_kind:     global_buffer
    .group_segment_fixed_size: 0
    .kernarg_segment_align: 8
    .kernarg_segment_size: 96
    .language:       OpenCL C
    .language_version:
      - 2
      - 0
    .max_flat_workgroup_size: 256
    .name:           _ZN9rocsparseL32bsr2csr_block_per_row_2_7_kernelILj256ELj4ElllEEv20rocsparse_direction_T3_S2_21rocsparse_index_base_PKT1_PKT2_PKS2_S2_S3_PS4_PS7_PS2_
    .private_segment_fixed_size: 0
    .sgpr_count:     34
    .sgpr_spill_count: 0
    .symbol:         _ZN9rocsparseL32bsr2csr_block_per_row_2_7_kernelILj256ELj4ElllEEv20rocsparse_direction_T3_S2_21rocsparse_index_base_PKT1_PKT2_PKS2_S2_S3_PS4_PS7_PS2_.kd
    .uniform_work_group_size: 1
    .uses_dynamic_stack: false
    .vgpr_count:     28
    .vgpr_spill_count: 0
    .wavefront_size: 64
  - .agpr_count:     0
    .args:
      - .offset:         0
        .size:           4
        .value_kind:     by_value
      - .offset:         8
        .size:           8
        .value_kind:     by_value
      - .offset:         16
        .size:           8
        .value_kind:     by_value
      - .offset:         24
        .size:           4
        .value_kind:     by_value
      - .actual_access:  read_only
        .address_space:  global
        .offset:         32
        .size:           8
        .value_kind:     global_buffer
      - .actual_access:  read_only
        .address_space:  global
        .offset:         40
        .size:           8
        .value_kind:     global_buffer
      - .actual_access:  read_only
        .address_space:  global
        .offset:         48
        .size:           8
        .value_kind:     global_buffer
      - .offset:         56
        .size:           8
        .value_kind:     by_value
      - .offset:         64
        .size:           4
        .value_kind:     by_value
      - .actual_access:  write_only
        .address_space:  global
        .offset:         72
        .size:           8
        .value_kind:     global_buffer
      - .actual_access:  write_only
        .address_space:  global
        .offset:         80
        .size:           8
        .value_kind:     global_buffer
      - .actual_access:  write_only
        .address_space:  global
        .offset:         88
        .size:           8
        .value_kind:     global_buffer
    .group_segment_fixed_size: 0
    .kernarg_segment_align: 8
    .kernarg_segment_size: 96
    .language:       OpenCL C
    .language_version:
      - 2
      - 0
    .max_flat_workgroup_size: 256
    .name:           _ZN9rocsparseL32bsr2csr_block_per_row_2_7_kernelILj256ELj5ElllEEv20rocsparse_direction_T3_S2_21rocsparse_index_base_PKT1_PKT2_PKS2_S2_S3_PS4_PS7_PS2_
    .private_segment_fixed_size: 0
    .sgpr_count:     26
    .sgpr_spill_count: 0
    .symbol:         _ZN9rocsparseL32bsr2csr_block_per_row_2_7_kernelILj256ELj5ElllEEv20rocsparse_direction_T3_S2_21rocsparse_index_base_PKT1_PKT2_PKS2_S2_S3_PS4_PS7_PS2_.kd
    .uniform_work_group_size: 1
    .uses_dynamic_stack: false
    .vgpr_count:     34
    .vgpr_spill_count: 0
    .wavefront_size: 64
  - .agpr_count:     0
    .args:
      - .offset:         0
        .size:           4
        .value_kind:     by_value
      - .offset:         8
        .size:           8
        .value_kind:     by_value
      - .offset:         16
        .size:           8
        .value_kind:     by_value
      - .offset:         24
        .size:           4
        .value_kind:     by_value
      - .actual_access:  read_only
        .address_space:  global
        .offset:         32
        .size:           8
        .value_kind:     global_buffer
      - .actual_access:  read_only
        .address_space:  global
        .offset:         40
        .size:           8
        .value_kind:     global_buffer
      - .actual_access:  read_only
        .address_space:  global
        .offset:         48
        .size:           8
        .value_kind:     global_buffer
      - .offset:         56
        .size:           8
        .value_kind:     by_value
      - .offset:         64
        .size:           4
        .value_kind:     by_value
      - .actual_access:  write_only
        .address_space:  global
        .offset:         72
        .size:           8
        .value_kind:     global_buffer
      - .actual_access:  write_only
        .address_space:  global
        .offset:         80
        .size:           8
        .value_kind:     global_buffer
      - .actual_access:  write_only
        .address_space:  global
        .offset:         88
        .size:           8
        .value_kind:     global_buffer
    .group_segment_fixed_size: 0
    .kernarg_segment_align: 8
    .kernarg_segment_size: 96
    .language:       OpenCL C
    .language_version:
      - 2
      - 0
    .max_flat_workgroup_size: 256
    .name:           _ZN9rocsparseL32bsr2csr_block_per_row_2_7_kernelILj256ELj6ElllEEv20rocsparse_direction_T3_S2_21rocsparse_index_base_PKT1_PKT2_PKS2_S2_S3_PS4_PS7_PS2_
    .private_segment_fixed_size: 0
    .sgpr_count:     27
    .sgpr_spill_count: 0
    .symbol:         _ZN9rocsparseL32bsr2csr_block_per_row_2_7_kernelILj256ELj6ElllEEv20rocsparse_direction_T3_S2_21rocsparse_index_base_PKT1_PKT2_PKS2_S2_S3_PS4_PS7_PS2_.kd
    .uniform_work_group_size: 1
    .uses_dynamic_stack: false
    .vgpr_count:     38
    .vgpr_spill_count: 0
    .wavefront_size: 64
  - .agpr_count:     0
    .args:
      - .offset:         0
        .size:           4
        .value_kind:     by_value
      - .offset:         8
        .size:           8
        .value_kind:     by_value
      - .offset:         16
        .size:           8
        .value_kind:     by_value
      - .offset:         24
        .size:           4
        .value_kind:     by_value
      - .actual_access:  read_only
        .address_space:  global
        .offset:         32
        .size:           8
        .value_kind:     global_buffer
      - .actual_access:  read_only
        .address_space:  global
        .offset:         40
        .size:           8
        .value_kind:     global_buffer
      - .actual_access:  read_only
        .address_space:  global
        .offset:         48
        .size:           8
        .value_kind:     global_buffer
      - .offset:         56
        .size:           8
        .value_kind:     by_value
      - .offset:         64
        .size:           4
        .value_kind:     by_value
      - .actual_access:  write_only
        .address_space:  global
        .offset:         72
        .size:           8
        .value_kind:     global_buffer
      - .actual_access:  write_only
        .address_space:  global
        .offset:         80
        .size:           8
        .value_kind:     global_buffer
      - .actual_access:  write_only
        .address_space:  global
        .offset:         88
        .size:           8
        .value_kind:     global_buffer
    .group_segment_fixed_size: 0
    .kernarg_segment_align: 8
    .kernarg_segment_size: 96
    .language:       OpenCL C
    .language_version:
      - 2
      - 0
    .max_flat_workgroup_size: 256
    .name:           _ZN9rocsparseL32bsr2csr_block_per_row_2_7_kernelILj256ELj7ElllEEv20rocsparse_direction_T3_S2_21rocsparse_index_base_PKT1_PKT2_PKS2_S2_S3_PS4_PS7_PS2_
    .private_segment_fixed_size: 0
    .sgpr_count:     30
    .sgpr_spill_count: 0
    .symbol:         _ZN9rocsparseL32bsr2csr_block_per_row_2_7_kernelILj256ELj7ElllEEv20rocsparse_direction_T3_S2_21rocsparse_index_base_PKT1_PKT2_PKS2_S2_S3_PS4_PS7_PS2_.kd
    .uniform_work_group_size: 1
    .uses_dynamic_stack: false
    .vgpr_count:     42
    .vgpr_spill_count: 0
    .wavefront_size: 64
  - .agpr_count:     0
    .args:
      - .offset:         0
        .size:           4
        .value_kind:     by_value
      - .offset:         8
        .size:           8
        .value_kind:     by_value
      - .offset:         16
        .size:           8
        .value_kind:     by_value
      - .offset:         24
        .size:           4
        .value_kind:     by_value
      - .actual_access:  read_only
        .address_space:  global
        .offset:         32
        .size:           8
        .value_kind:     global_buffer
      - .actual_access:  read_only
        .address_space:  global
        .offset:         40
        .size:           8
        .value_kind:     global_buffer
      - .actual_access:  read_only
        .address_space:  global
        .offset:         48
        .size:           8
        .value_kind:     global_buffer
      - .offset:         56
        .size:           8
        .value_kind:     by_value
      - .offset:         64
        .size:           4
        .value_kind:     by_value
      - .actual_access:  write_only
        .address_space:  global
        .offset:         72
        .size:           8
        .value_kind:     global_buffer
      - .actual_access:  write_only
        .address_space:  global
        .offset:         80
        .size:           8
        .value_kind:     global_buffer
      - .actual_access:  write_only
        .address_space:  global
        .offset:         88
        .size:           8
        .value_kind:     global_buffer
    .group_segment_fixed_size: 0
    .kernarg_segment_align: 8
    .kernarg_segment_size: 96
    .language:       OpenCL C
    .language_version:
      - 2
      - 0
    .max_flat_workgroup_size: 1024
    .name:           _ZN9rocsparseL33bsr2csr_block_per_row_8_32_kernelILj1024ELj8ElllEEv20rocsparse_direction_T3_S2_21rocsparse_index_base_PKT1_PKT2_PKS2_S2_S3_PS4_PS7_PS2_
    .private_segment_fixed_size: 0
    .sgpr_count:     30
    .sgpr_spill_count: 0
    .symbol:         _ZN9rocsparseL33bsr2csr_block_per_row_8_32_kernelILj1024ELj8ElllEEv20rocsparse_direction_T3_S2_21rocsparse_index_base_PKT1_PKT2_PKS2_S2_S3_PS4_PS7_PS2_.kd
    .uniform_work_group_size: 1
    .uses_dynamic_stack: false
    .vgpr_count:     22
    .vgpr_spill_count: 0
    .wavefront_size: 64
  - .agpr_count:     0
    .args:
      - .offset:         0
        .size:           4
        .value_kind:     by_value
      - .offset:         8
        .size:           8
        .value_kind:     by_value
      - .offset:         16
        .size:           8
        .value_kind:     by_value
      - .offset:         24
        .size:           4
        .value_kind:     by_value
      - .actual_access:  read_only
        .address_space:  global
        .offset:         32
        .size:           8
        .value_kind:     global_buffer
      - .actual_access:  read_only
        .address_space:  global
        .offset:         40
        .size:           8
        .value_kind:     global_buffer
      - .actual_access:  read_only
        .address_space:  global
        .offset:         48
        .size:           8
        .value_kind:     global_buffer
      - .offset:         56
        .size:           8
        .value_kind:     by_value
      - .offset:         64
        .size:           4
        .value_kind:     by_value
      - .actual_access:  write_only
        .address_space:  global
        .offset:         72
        .size:           8
        .value_kind:     global_buffer
      - .actual_access:  write_only
        .address_space:  global
        .offset:         80
        .size:           8
        .value_kind:     global_buffer
      - .actual_access:  write_only
        .address_space:  global
        .offset:         88
        .size:           8
        .value_kind:     global_buffer
    .group_segment_fixed_size: 0
    .kernarg_segment_align: 8
    .kernarg_segment_size: 96
    .language:       OpenCL C
    .language_version:
      - 2
      - 0
    .max_flat_workgroup_size: 1024
    .name:           _ZN9rocsparseL33bsr2csr_block_per_row_8_32_kernelILj1024ELj16ElllEEv20rocsparse_direction_T3_S2_21rocsparse_index_base_PKT1_PKT2_PKS2_S2_S3_PS4_PS7_PS2_
    .private_segment_fixed_size: 0
    .sgpr_count:     30
    .sgpr_spill_count: 0
    .symbol:         _ZN9rocsparseL33bsr2csr_block_per_row_8_32_kernelILj1024ELj16ElllEEv20rocsparse_direction_T3_S2_21rocsparse_index_base_PKT1_PKT2_PKS2_S2_S3_PS4_PS7_PS2_.kd
    .uniform_work_group_size: 1
    .uses_dynamic_stack: false
    .vgpr_count:     21
    .vgpr_spill_count: 0
    .wavefront_size: 64
  - .agpr_count:     0
    .args:
      - .offset:         0
        .size:           4
        .value_kind:     by_value
      - .offset:         8
        .size:           8
        .value_kind:     by_value
      - .offset:         16
        .size:           8
        .value_kind:     by_value
      - .offset:         24
        .size:           4
        .value_kind:     by_value
      - .actual_access:  read_only
        .address_space:  global
        .offset:         32
        .size:           8
        .value_kind:     global_buffer
      - .actual_access:  read_only
        .address_space:  global
        .offset:         40
        .size:           8
        .value_kind:     global_buffer
      - .actual_access:  read_only
        .address_space:  global
        .offset:         48
        .size:           8
        .value_kind:     global_buffer
      - .offset:         56
        .size:           8
        .value_kind:     by_value
      - .offset:         64
        .size:           4
        .value_kind:     by_value
      - .actual_access:  write_only
        .address_space:  global
        .offset:         72
        .size:           8
        .value_kind:     global_buffer
      - .actual_access:  write_only
        .address_space:  global
        .offset:         80
        .size:           8
        .value_kind:     global_buffer
      - .actual_access:  write_only
        .address_space:  global
        .offset:         88
        .size:           8
        .value_kind:     global_buffer
    .group_segment_fixed_size: 0
    .kernarg_segment_align: 8
    .kernarg_segment_size: 96
    .language:       OpenCL C
    .language_version:
      - 2
      - 0
    .max_flat_workgroup_size: 1024
    .name:           _ZN9rocsparseL33bsr2csr_block_per_row_8_32_kernelILj1024ELj32ElllEEv20rocsparse_direction_T3_S2_21rocsparse_index_base_PKT1_PKT2_PKS2_S2_S3_PS4_PS7_PS2_
    .private_segment_fixed_size: 0
    .sgpr_count:     33
    .sgpr_spill_count: 0
    .symbol:         _ZN9rocsparseL33bsr2csr_block_per_row_8_32_kernelILj1024ELj32ElllEEv20rocsparse_direction_T3_S2_21rocsparse_index_base_PKT1_PKT2_PKS2_S2_S3_PS4_PS7_PS2_.kd
    .uniform_work_group_size: 1
    .uses_dynamic_stack: false
    .vgpr_count:     22
    .vgpr_spill_count: 0
    .wavefront_size: 64
  - .agpr_count:     0
    .args:
      - .offset:         0
        .size:           4
        .value_kind:     by_value
      - .offset:         8
        .size:           8
        .value_kind:     by_value
      - .offset:         16
        .size:           8
        .value_kind:     by_value
      - .offset:         24
        .size:           4
        .value_kind:     by_value
      - .actual_access:  read_only
        .address_space:  global
        .offset:         32
        .size:           8
        .value_kind:     global_buffer
      - .actual_access:  read_only
        .address_space:  global
        .offset:         40
        .size:           8
        .value_kind:     global_buffer
      - .actual_access:  read_only
        .address_space:  global
        .offset:         48
        .size:           8
        .value_kind:     global_buffer
      - .offset:         56
        .size:           8
        .value_kind:     by_value
      - .offset:         64
        .size:           4
        .value_kind:     by_value
      - .actual_access:  write_only
        .address_space:  global
        .offset:         72
        .size:           8
        .value_kind:     global_buffer
      - .actual_access:  write_only
        .address_space:  global
        .offset:         80
        .size:           8
        .value_kind:     global_buffer
      - .actual_access:  write_only
        .address_space:  global
        .offset:         88
        .size:           8
        .value_kind:     global_buffer
    .group_segment_fixed_size: 0
    .kernarg_segment_align: 8
    .kernarg_segment_size: 96
    .language:       OpenCL C
    .language_version:
      - 2
      - 0
    .max_flat_workgroup_size: 1024
    .name:           _ZN9rocsparseL35bsr2csr_block_per_row_33_256_kernelILj1024ELj64ELj32ElllEEv20rocsparse_direction_T4_S2_21rocsparse_index_base_PKT2_PKT3_PKS2_S2_S3_PS4_PS7_PS2_
    .private_segment_fixed_size: 0
    .sgpr_count:     47
    .sgpr_spill_count: 0
    .symbol:         _ZN9rocsparseL35bsr2csr_block_per_row_33_256_kernelILj1024ELj64ELj32ElllEEv20rocsparse_direction_T4_S2_21rocsparse_index_base_PKT2_PKT3_PKS2_S2_S3_PS4_PS7_PS2_.kd
    .uniform_work_group_size: 1
    .uses_dynamic_stack: false
    .vgpr_count:     28
    .vgpr_spill_count: 0
    .wavefront_size: 64
  - .agpr_count:     0
    .args:
      - .offset:         0
        .size:           4
        .value_kind:     by_value
      - .offset:         8
        .size:           8
        .value_kind:     by_value
      - .offset:         16
        .size:           8
        .value_kind:     by_value
      - .offset:         24
        .size:           4
        .value_kind:     by_value
      - .actual_access:  read_only
        .address_space:  global
        .offset:         32
        .size:           8
        .value_kind:     global_buffer
      - .actual_access:  read_only
        .address_space:  global
        .offset:         40
        .size:           8
        .value_kind:     global_buffer
      - .actual_access:  read_only
        .address_space:  global
        .offset:         48
        .size:           8
        .value_kind:     global_buffer
      - .offset:         56
        .size:           8
        .value_kind:     by_value
      - .offset:         64
        .size:           4
        .value_kind:     by_value
      - .actual_access:  write_only
        .address_space:  global
        .offset:         72
        .size:           8
        .value_kind:     global_buffer
      - .actual_access:  write_only
        .address_space:  global
        .offset:         80
        .size:           8
        .value_kind:     global_buffer
      - .actual_access:  write_only
        .address_space:  global
        .offset:         88
        .size:           8
        .value_kind:     global_buffer
    .group_segment_fixed_size: 0
    .kernarg_segment_align: 8
    .kernarg_segment_size: 96
    .language:       OpenCL C
    .language_version:
      - 2
      - 0
    .max_flat_workgroup_size: 1024
    .name:           _ZN9rocsparseL35bsr2csr_block_per_row_33_256_kernelILj1024ELj128ELj32ElllEEv20rocsparse_direction_T4_S2_21rocsparse_index_base_PKT2_PKT3_PKS2_S2_S3_PS4_PS7_PS2_
    .private_segment_fixed_size: 0
    .sgpr_count:     73
    .sgpr_spill_count: 0
    .symbol:         _ZN9rocsparseL35bsr2csr_block_per_row_33_256_kernelILj1024ELj128ELj32ElllEEv20rocsparse_direction_T4_S2_21rocsparse_index_base_PKT2_PKT3_PKS2_S2_S3_PS4_PS7_PS2_.kd
    .uniform_work_group_size: 1
    .uses_dynamic_stack: false
    .vgpr_count:     48
    .vgpr_spill_count: 0
    .wavefront_size: 64
  - .agpr_count:     0
    .args:
      - .offset:         0
        .size:           4
        .value_kind:     by_value
      - .offset:         8
        .size:           8
        .value_kind:     by_value
      - .offset:         16
        .size:           8
        .value_kind:     by_value
      - .offset:         24
        .size:           4
        .value_kind:     by_value
      - .actual_access:  read_only
        .address_space:  global
        .offset:         32
        .size:           8
        .value_kind:     global_buffer
      - .actual_access:  read_only
        .address_space:  global
        .offset:         40
        .size:           8
        .value_kind:     global_buffer
      - .actual_access:  read_only
        .address_space:  global
        .offset:         48
        .size:           8
        .value_kind:     global_buffer
      - .offset:         56
        .size:           8
        .value_kind:     by_value
      - .offset:         64
        .size:           4
        .value_kind:     by_value
      - .actual_access:  write_only
        .address_space:  global
        .offset:         72
        .size:           8
        .value_kind:     global_buffer
      - .actual_access:  write_only
        .address_space:  global
        .offset:         80
        .size:           8
        .value_kind:     global_buffer
      - .actual_access:  write_only
        .address_space:  global
        .offset:         88
        .size:           8
        .value_kind:     global_buffer
    .group_segment_fixed_size: 0
    .kernarg_segment_align: 8
    .kernarg_segment_size: 96
    .language:       OpenCL C
    .language_version:
      - 2
      - 0
    .max_flat_workgroup_size: 1024
    .name:           _ZN9rocsparseL35bsr2csr_block_per_row_33_256_kernelILj1024ELj256ELj32ElllEEv20rocsparse_direction_T4_S2_21rocsparse_index_base_PKT2_PKT3_PKS2_S2_S3_PS4_PS7_PS2_
    .private_segment_fixed_size: 0
    .sgpr_count:     100
    .sgpr_spill_count: 104
    .symbol:         _ZN9rocsparseL35bsr2csr_block_per_row_33_256_kernelILj1024ELj256ELj32ElllEEv20rocsparse_direction_T4_S2_21rocsparse_index_base_PKT2_PKT3_PKS2_S2_S3_PS4_PS7_PS2_.kd
    .uniform_work_group_size: 1
    .uses_dynamic_stack: false
    .vgpr_count:     78
    .vgpr_spill_count: 0
    .wavefront_size: 64
  - .agpr_count:     0
    .args:
      - .offset:         0
        .size:           4
        .value_kind:     by_value
      - .offset:         4
        .size:           4
        .value_kind:     by_value
      - .offset:         8
        .size:           4
        .value_kind:     by_value
      - .actual_access:  read_only
        .address_space:  global
        .offset:         16
        .size:           8
        .value_kind:     global_buffer
      - .actual_access:  read_only
        .address_space:  global
        .offset:         24
        .size:           8
        .value_kind:     global_buffer
      - .actual_access:  read_only
        .address_space:  global
        .offset:         32
        .size:           8
        .value_kind:     global_buffer
      - .offset:         40
        .size:           4
        .value_kind:     by_value
      - .actual_access:  write_only
        .address_space:  global
        .offset:         48
        .size:           8
        .value_kind:     global_buffer
      - .actual_access:  write_only
        .address_space:  global
        .offset:         56
        .size:           8
        .value_kind:     global_buffer
      - .actual_access:  write_only
        .address_space:  global
        .offset:         64
        .size:           8
        .value_kind:     global_buffer
      - .offset:         72
        .size:           4
        .value_kind:     hidden_block_count_x
      - .offset:         76
        .size:           4
        .value_kind:     hidden_block_count_y
      - .offset:         80
        .size:           4
        .value_kind:     hidden_block_count_z
      - .offset:         84
        .size:           2
        .value_kind:     hidden_group_size_x
      - .offset:         86
        .size:           2
        .value_kind:     hidden_group_size_y
      - .offset:         88
        .size:           2
        .value_kind:     hidden_group_size_z
      - .offset:         90
        .size:           2
        .value_kind:     hidden_remainder_x
      - .offset:         92
        .size:           2
        .value_kind:     hidden_remainder_y
      - .offset:         94
        .size:           2
        .value_kind:     hidden_remainder_z
      - .offset:         112
        .size:           8
        .value_kind:     hidden_global_offset_x
      - .offset:         120
        .size:           8
        .value_kind:     hidden_global_offset_y
      - .offset:         128
        .size:           8
        .value_kind:     hidden_global_offset_z
      - .offset:         136
        .size:           2
        .value_kind:     hidden_grid_dims
    .group_segment_fixed_size: 0
    .kernarg_segment_align: 8
    .kernarg_segment_size: 328
    .language:       OpenCL C
    .language_version:
      - 2
      - 0
    .max_flat_workgroup_size: 1024
    .name:           _ZN9rocsparseL35bsr2csr_block_dim_equals_one_kernelILj1024EfiiEEvT2_S1_21rocsparse_index_base_PKT0_PKT1_PKS1_S2_PS3_PS6_PS1_
    .private_segment_fixed_size: 0
    .sgpr_count:     27
    .sgpr_spill_count: 0
    .symbol:         _ZN9rocsparseL35bsr2csr_block_dim_equals_one_kernelILj1024EfiiEEvT2_S1_21rocsparse_index_base_PKT0_PKT1_PKS1_S2_PS3_PS6_PS1_.kd
    .uniform_work_group_size: 1
    .uses_dynamic_stack: false
    .vgpr_count:     11
    .vgpr_spill_count: 0
    .wavefront_size: 64
  - .agpr_count:     0
    .args:
      - .offset:         0
        .size:           4
        .value_kind:     by_value
      - .offset:         4
        .size:           4
        .value_kind:     by_value
      - .offset:         8
        .size:           4
        .value_kind:     by_value
      - .offset:         12
        .size:           4
        .value_kind:     by_value
      - .actual_access:  read_only
        .address_space:  global
        .offset:         16
        .size:           8
        .value_kind:     global_buffer
      - .actual_access:  read_only
        .address_space:  global
        .offset:         24
        .size:           8
        .value_kind:     global_buffer
      - .actual_access:  read_only
        .address_space:  global
        .offset:         32
        .size:           8
        .value_kind:     global_buffer
      - .offset:         40
        .size:           4
        .value_kind:     by_value
      - .offset:         44
        .size:           4
        .value_kind:     by_value
      - .actual_access:  write_only
        .address_space:  global
        .offset:         48
        .size:           8
        .value_kind:     global_buffer
      - .actual_access:  write_only
        .address_space:  global
        .offset:         56
        .size:           8
        .value_kind:     global_buffer
      - .actual_access:  write_only
        .address_space:  global
        .offset:         64
        .size:           8
        .value_kind:     global_buffer
    .group_segment_fixed_size: 0
    .kernarg_segment_align: 8
    .kernarg_segment_size: 72
    .language:       OpenCL C
    .language_version:
      - 2
      - 0
    .max_flat_workgroup_size: 256
    .name:           _ZN9rocsparseL32bsr2csr_block_per_row_2_7_kernelILj256ELj2EfiiEEv20rocsparse_direction_T3_S2_21rocsparse_index_base_PKT1_PKT2_PKS2_S2_S3_PS4_PS7_PS2_
    .private_segment_fixed_size: 0
    .sgpr_count:     36
    .sgpr_spill_count: 0
    .symbol:         _ZN9rocsparseL32bsr2csr_block_per_row_2_7_kernelILj256ELj2EfiiEEv20rocsparse_direction_T3_S2_21rocsparse_index_base_PKT1_PKT2_PKS2_S2_S3_PS4_PS7_PS2_.kd
    .uniform_work_group_size: 1
    .uses_dynamic_stack: false
    .vgpr_count:     40
    .vgpr_spill_count: 0
    .wavefront_size: 64
  - .agpr_count:     0
    .args:
      - .offset:         0
        .size:           4
        .value_kind:     by_value
      - .offset:         4
        .size:           4
        .value_kind:     by_value
      - .offset:         8
        .size:           4
        .value_kind:     by_value
      - .offset:         12
        .size:           4
        .value_kind:     by_value
      - .actual_access:  read_only
        .address_space:  global
        .offset:         16
        .size:           8
        .value_kind:     global_buffer
      - .actual_access:  read_only
        .address_space:  global
        .offset:         24
        .size:           8
        .value_kind:     global_buffer
      - .actual_access:  read_only
        .address_space:  global
        .offset:         32
        .size:           8
        .value_kind:     global_buffer
      - .offset:         40
        .size:           4
        .value_kind:     by_value
      - .offset:         44
        .size:           4
        .value_kind:     by_value
      - .actual_access:  write_only
        .address_space:  global
        .offset:         48
        .size:           8
        .value_kind:     global_buffer
      - .actual_access:  write_only
        .address_space:  global
        .offset:         56
        .size:           8
        .value_kind:     global_buffer
      - .actual_access:  write_only
        .address_space:  global
        .offset:         64
        .size:           8
        .value_kind:     global_buffer
    .group_segment_fixed_size: 0
    .kernarg_segment_align: 8
    .kernarg_segment_size: 72
    .language:       OpenCL C
    .language_version:
      - 2
      - 0
    .max_flat_workgroup_size: 256
    .name:           _ZN9rocsparseL32bsr2csr_block_per_row_2_7_kernelILj256ELj3EfiiEEv20rocsparse_direction_T3_S2_21rocsparse_index_base_PKT1_PKT2_PKS2_S2_S3_PS4_PS7_PS2_
    .private_segment_fixed_size: 0
    .sgpr_count:     20
    .sgpr_spill_count: 0
    .symbol:         _ZN9rocsparseL32bsr2csr_block_per_row_2_7_kernelILj256ELj3EfiiEEv20rocsparse_direction_T3_S2_21rocsparse_index_base_PKT1_PKT2_PKS2_S2_S3_PS4_PS7_PS2_.kd
    .uniform_work_group_size: 1
    .uses_dynamic_stack: false
    .vgpr_count:     26
    .vgpr_spill_count: 0
    .wavefront_size: 64
  - .agpr_count:     0
    .args:
      - .offset:         0
        .size:           4
        .value_kind:     by_value
      - .offset:         4
        .size:           4
        .value_kind:     by_value
      - .offset:         8
        .size:           4
        .value_kind:     by_value
      - .offset:         12
        .size:           4
        .value_kind:     by_value
      - .actual_access:  read_only
        .address_space:  global
        .offset:         16
        .size:           8
        .value_kind:     global_buffer
      - .actual_access:  read_only
        .address_space:  global
        .offset:         24
        .size:           8
        .value_kind:     global_buffer
      - .actual_access:  read_only
        .address_space:  global
        .offset:         32
        .size:           8
        .value_kind:     global_buffer
      - .offset:         40
        .size:           4
        .value_kind:     by_value
      - .offset:         44
        .size:           4
        .value_kind:     by_value
      - .actual_access:  write_only
        .address_space:  global
        .offset:         48
        .size:           8
        .value_kind:     global_buffer
      - .actual_access:  write_only
        .address_space:  global
        .offset:         56
        .size:           8
        .value_kind:     global_buffer
      - .actual_access:  write_only
        .address_space:  global
        .offset:         64
        .size:           8
        .value_kind:     global_buffer
    .group_segment_fixed_size: 0
    .kernarg_segment_align: 8
    .kernarg_segment_size: 72
    .language:       OpenCL C
    .language_version:
      - 2
      - 0
    .max_flat_workgroup_size: 256
    .name:           _ZN9rocsparseL32bsr2csr_block_per_row_2_7_kernelILj256ELj4EfiiEEv20rocsparse_direction_T3_S2_21rocsparse_index_base_PKT1_PKT2_PKS2_S2_S3_PS4_PS7_PS2_
    .private_segment_fixed_size: 0
    .sgpr_count:     48
    .sgpr_spill_count: 0
    .symbol:         _ZN9rocsparseL32bsr2csr_block_per_row_2_7_kernelILj256ELj4EfiiEEv20rocsparse_direction_T3_S2_21rocsparse_index_base_PKT1_PKT2_PKS2_S2_S3_PS4_PS7_PS2_.kd
    .uniform_work_group_size: 1
    .uses_dynamic_stack: false
    .vgpr_count:     37
    .vgpr_spill_count: 0
    .wavefront_size: 64
  - .agpr_count:     0
    .args:
      - .offset:         0
        .size:           4
        .value_kind:     by_value
      - .offset:         4
        .size:           4
        .value_kind:     by_value
      - .offset:         8
        .size:           4
        .value_kind:     by_value
      - .offset:         12
        .size:           4
        .value_kind:     by_value
      - .actual_access:  read_only
        .address_space:  global
        .offset:         16
        .size:           8
        .value_kind:     global_buffer
      - .actual_access:  read_only
        .address_space:  global
        .offset:         24
        .size:           8
        .value_kind:     global_buffer
      - .actual_access:  read_only
        .address_space:  global
        .offset:         32
        .size:           8
        .value_kind:     global_buffer
      - .offset:         40
        .size:           4
        .value_kind:     by_value
      - .offset:         44
        .size:           4
        .value_kind:     by_value
      - .actual_access:  write_only
        .address_space:  global
        .offset:         48
        .size:           8
        .value_kind:     global_buffer
      - .actual_access:  write_only
        .address_space:  global
        .offset:         56
        .size:           8
        .value_kind:     global_buffer
      - .actual_access:  write_only
        .address_space:  global
        .offset:         64
        .size:           8
        .value_kind:     global_buffer
    .group_segment_fixed_size: 0
    .kernarg_segment_align: 8
    .kernarg_segment_size: 72
    .language:       OpenCL C
    .language_version:
      - 2
      - 0
    .max_flat_workgroup_size: 256
    .name:           _ZN9rocsparseL32bsr2csr_block_per_row_2_7_kernelILj256ELj5EfiiEEv20rocsparse_direction_T3_S2_21rocsparse_index_base_PKT1_PKT2_PKS2_S2_S3_PS4_PS7_PS2_
    .private_segment_fixed_size: 0
    .sgpr_count:     20
    .sgpr_spill_count: 0
    .symbol:         _ZN9rocsparseL32bsr2csr_block_per_row_2_7_kernelILj256ELj5EfiiEEv20rocsparse_direction_T3_S2_21rocsparse_index_base_PKT1_PKT2_PKS2_S2_S3_PS4_PS7_PS2_.kd
    .uniform_work_group_size: 1
    .uses_dynamic_stack: false
    .vgpr_count:     26
    .vgpr_spill_count: 0
    .wavefront_size: 64
  - .agpr_count:     0
    .args:
      - .offset:         0
        .size:           4
        .value_kind:     by_value
      - .offset:         4
        .size:           4
        .value_kind:     by_value
      - .offset:         8
        .size:           4
        .value_kind:     by_value
      - .offset:         12
        .size:           4
        .value_kind:     by_value
      - .actual_access:  read_only
        .address_space:  global
        .offset:         16
        .size:           8
        .value_kind:     global_buffer
      - .actual_access:  read_only
        .address_space:  global
        .offset:         24
        .size:           8
        .value_kind:     global_buffer
      - .actual_access:  read_only
        .address_space:  global
        .offset:         32
        .size:           8
        .value_kind:     global_buffer
      - .offset:         40
        .size:           4
        .value_kind:     by_value
      - .offset:         44
        .size:           4
        .value_kind:     by_value
      - .actual_access:  write_only
        .address_space:  global
        .offset:         48
        .size:           8
        .value_kind:     global_buffer
      - .actual_access:  write_only
        .address_space:  global
        .offset:         56
        .size:           8
        .value_kind:     global_buffer
      - .actual_access:  write_only
        .address_space:  global
        .offset:         64
        .size:           8
        .value_kind:     global_buffer
    .group_segment_fixed_size: 0
    .kernarg_segment_align: 8
    .kernarg_segment_size: 72
    .language:       OpenCL C
    .language_version:
      - 2
      - 0
    .max_flat_workgroup_size: 256
    .name:           _ZN9rocsparseL32bsr2csr_block_per_row_2_7_kernelILj256ELj6EfiiEEv20rocsparse_direction_T3_S2_21rocsparse_index_base_PKT1_PKT2_PKS2_S2_S3_PS4_PS7_PS2_
    .private_segment_fixed_size: 0
    .sgpr_count:     20
    .sgpr_spill_count: 0
    .symbol:         _ZN9rocsparseL32bsr2csr_block_per_row_2_7_kernelILj256ELj6EfiiEEv20rocsparse_direction_T3_S2_21rocsparse_index_base_PKT1_PKT2_PKS2_S2_S3_PS4_PS7_PS2_.kd
    .uniform_work_group_size: 1
    .uses_dynamic_stack: false
    .vgpr_count:     30
    .vgpr_spill_count: 0
    .wavefront_size: 64
  - .agpr_count:     0
    .args:
      - .offset:         0
        .size:           4
        .value_kind:     by_value
      - .offset:         4
        .size:           4
        .value_kind:     by_value
      - .offset:         8
        .size:           4
        .value_kind:     by_value
      - .offset:         12
        .size:           4
        .value_kind:     by_value
      - .actual_access:  read_only
        .address_space:  global
        .offset:         16
        .size:           8
        .value_kind:     global_buffer
      - .actual_access:  read_only
        .address_space:  global
        .offset:         24
        .size:           8
        .value_kind:     global_buffer
      - .actual_access:  read_only
        .address_space:  global
        .offset:         32
        .size:           8
        .value_kind:     global_buffer
      - .offset:         40
        .size:           4
        .value_kind:     by_value
      - .offset:         44
        .size:           4
        .value_kind:     by_value
      - .actual_access:  write_only
        .address_space:  global
        .offset:         48
        .size:           8
        .value_kind:     global_buffer
      - .actual_access:  write_only
        .address_space:  global
        .offset:         56
        .size:           8
        .value_kind:     global_buffer
      - .actual_access:  write_only
        .address_space:  global
        .offset:         64
        .size:           8
        .value_kind:     global_buffer
    .group_segment_fixed_size: 0
    .kernarg_segment_align: 8
    .kernarg_segment_size: 72
    .language:       OpenCL C
    .language_version:
      - 2
      - 0
    .max_flat_workgroup_size: 256
    .name:           _ZN9rocsparseL32bsr2csr_block_per_row_2_7_kernelILj256ELj7EfiiEEv20rocsparse_direction_T3_S2_21rocsparse_index_base_PKT1_PKT2_PKS2_S2_S3_PS4_PS7_PS2_
    .private_segment_fixed_size: 0
    .sgpr_count:     20
    .sgpr_spill_count: 0
    .symbol:         _ZN9rocsparseL32bsr2csr_block_per_row_2_7_kernelILj256ELj7EfiiEEv20rocsparse_direction_T3_S2_21rocsparse_index_base_PKT1_PKT2_PKS2_S2_S3_PS4_PS7_PS2_.kd
    .uniform_work_group_size: 1
    .uses_dynamic_stack: false
    .vgpr_count:     34
    .vgpr_spill_count: 0
    .wavefront_size: 64
  - .agpr_count:     0
    .args:
      - .offset:         0
        .size:           4
        .value_kind:     by_value
      - .offset:         4
        .size:           4
        .value_kind:     by_value
      - .offset:         8
        .size:           4
        .value_kind:     by_value
      - .offset:         12
        .size:           4
        .value_kind:     by_value
      - .actual_access:  read_only
        .address_space:  global
        .offset:         16
        .size:           8
        .value_kind:     global_buffer
      - .actual_access:  read_only
        .address_space:  global
        .offset:         24
        .size:           8
        .value_kind:     global_buffer
      - .actual_access:  read_only
        .address_space:  global
        .offset:         32
        .size:           8
        .value_kind:     global_buffer
      - .offset:         40
        .size:           4
        .value_kind:     by_value
      - .offset:         44
        .size:           4
        .value_kind:     by_value
      - .actual_access:  write_only
        .address_space:  global
        .offset:         48
        .size:           8
        .value_kind:     global_buffer
      - .actual_access:  write_only
        .address_space:  global
        .offset:         56
        .size:           8
        .value_kind:     global_buffer
      - .actual_access:  write_only
        .address_space:  global
        .offset:         64
        .size:           8
        .value_kind:     global_buffer
    .group_segment_fixed_size: 0
    .kernarg_segment_align: 8
    .kernarg_segment_size: 72
    .language:       OpenCL C
    .language_version:
      - 2
      - 0
    .max_flat_workgroup_size: 1024
    .name:           _ZN9rocsparseL33bsr2csr_block_per_row_8_32_kernelILj1024ELj8EfiiEEv20rocsparse_direction_T3_S2_21rocsparse_index_base_PKT1_PKT2_PKS2_S2_S3_PS4_PS7_PS2_
    .private_segment_fixed_size: 0
    .sgpr_count:     32
    .sgpr_spill_count: 0
    .symbol:         _ZN9rocsparseL33bsr2csr_block_per_row_8_32_kernelILj1024ELj8EfiiEEv20rocsparse_direction_T3_S2_21rocsparse_index_base_PKT1_PKT2_PKS2_S2_S3_PS4_PS7_PS2_.kd
    .uniform_work_group_size: 1
    .uses_dynamic_stack: false
    .vgpr_count:     36
    .vgpr_spill_count: 0
    .wavefront_size: 64
  - .agpr_count:     0
    .args:
      - .offset:         0
        .size:           4
        .value_kind:     by_value
      - .offset:         4
        .size:           4
        .value_kind:     by_value
      - .offset:         8
        .size:           4
        .value_kind:     by_value
      - .offset:         12
        .size:           4
        .value_kind:     by_value
      - .actual_access:  read_only
        .address_space:  global
        .offset:         16
        .size:           8
        .value_kind:     global_buffer
      - .actual_access:  read_only
        .address_space:  global
        .offset:         24
        .size:           8
        .value_kind:     global_buffer
      - .actual_access:  read_only
        .address_space:  global
        .offset:         32
        .size:           8
        .value_kind:     global_buffer
      - .offset:         40
        .size:           4
        .value_kind:     by_value
      - .offset:         44
        .size:           4
        .value_kind:     by_value
      - .actual_access:  write_only
        .address_space:  global
        .offset:         48
        .size:           8
        .value_kind:     global_buffer
      - .actual_access:  write_only
        .address_space:  global
        .offset:         56
        .size:           8
        .value_kind:     global_buffer
      - .actual_access:  write_only
        .address_space:  global
        .offset:         64
        .size:           8
        .value_kind:     global_buffer
    .group_segment_fixed_size: 0
    .kernarg_segment_align: 8
    .kernarg_segment_size: 72
    .language:       OpenCL C
    .language_version:
      - 2
      - 0
    .max_flat_workgroup_size: 1024
    .name:           _ZN9rocsparseL33bsr2csr_block_per_row_8_32_kernelILj1024ELj16EfiiEEv20rocsparse_direction_T3_S2_21rocsparse_index_base_PKT1_PKT2_PKS2_S2_S3_PS4_PS7_PS2_
    .private_segment_fixed_size: 0
    .sgpr_count:     32
    .sgpr_spill_count: 0
    .symbol:         _ZN9rocsparseL33bsr2csr_block_per_row_8_32_kernelILj1024ELj16EfiiEEv20rocsparse_direction_T3_S2_21rocsparse_index_base_PKT1_PKT2_PKS2_S2_S3_PS4_PS7_PS2_.kd
    .uniform_work_group_size: 1
    .uses_dynamic_stack: false
    .vgpr_count:     36
    .vgpr_spill_count: 0
    .wavefront_size: 64
  - .agpr_count:     0
    .args:
      - .offset:         0
        .size:           4
        .value_kind:     by_value
      - .offset:         4
        .size:           4
        .value_kind:     by_value
      - .offset:         8
        .size:           4
        .value_kind:     by_value
      - .offset:         12
        .size:           4
        .value_kind:     by_value
      - .actual_access:  read_only
        .address_space:  global
        .offset:         16
        .size:           8
        .value_kind:     global_buffer
      - .actual_access:  read_only
        .address_space:  global
        .offset:         24
        .size:           8
        .value_kind:     global_buffer
      - .actual_access:  read_only
        .address_space:  global
        .offset:         32
        .size:           8
        .value_kind:     global_buffer
      - .offset:         40
        .size:           4
        .value_kind:     by_value
      - .offset:         44
        .size:           4
        .value_kind:     by_value
      - .actual_access:  write_only
        .address_space:  global
        .offset:         48
        .size:           8
        .value_kind:     global_buffer
      - .actual_access:  write_only
        .address_space:  global
        .offset:         56
        .size:           8
        .value_kind:     global_buffer
      - .actual_access:  write_only
        .address_space:  global
        .offset:         64
        .size:           8
        .value_kind:     global_buffer
    .group_segment_fixed_size: 0
    .kernarg_segment_align: 8
    .kernarg_segment_size: 72
    .language:       OpenCL C
    .language_version:
      - 2
      - 0
    .max_flat_workgroup_size: 1024
    .name:           _ZN9rocsparseL33bsr2csr_block_per_row_8_32_kernelILj1024ELj32EfiiEEv20rocsparse_direction_T3_S2_21rocsparse_index_base_PKT1_PKT2_PKS2_S2_S3_PS4_PS7_PS2_
    .private_segment_fixed_size: 0
    .sgpr_count:     36
    .sgpr_spill_count: 0
    .symbol:         _ZN9rocsparseL33bsr2csr_block_per_row_8_32_kernelILj1024ELj32EfiiEEv20rocsparse_direction_T3_S2_21rocsparse_index_base_PKT1_PKT2_PKS2_S2_S3_PS4_PS7_PS2_.kd
    .uniform_work_group_size: 1
    .uses_dynamic_stack: false
    .vgpr_count:     22
    .vgpr_spill_count: 0
    .wavefront_size: 64
  - .agpr_count:     0
    .args:
      - .offset:         0
        .size:           4
        .value_kind:     by_value
      - .offset:         4
        .size:           4
        .value_kind:     by_value
      - .offset:         8
        .size:           4
        .value_kind:     by_value
      - .offset:         12
        .size:           4
        .value_kind:     by_value
      - .actual_access:  read_only
        .address_space:  global
        .offset:         16
        .size:           8
        .value_kind:     global_buffer
      - .actual_access:  read_only
        .address_space:  global
        .offset:         24
        .size:           8
        .value_kind:     global_buffer
      - .actual_access:  read_only
        .address_space:  global
        .offset:         32
        .size:           8
        .value_kind:     global_buffer
      - .offset:         40
        .size:           4
        .value_kind:     by_value
      - .offset:         44
        .size:           4
        .value_kind:     by_value
      - .actual_access:  write_only
        .address_space:  global
        .offset:         48
        .size:           8
        .value_kind:     global_buffer
      - .actual_access:  write_only
        .address_space:  global
        .offset:         56
        .size:           8
        .value_kind:     global_buffer
      - .actual_access:  write_only
        .address_space:  global
        .offset:         64
        .size:           8
        .value_kind:     global_buffer
    .group_segment_fixed_size: 0
    .kernarg_segment_align: 8
    .kernarg_segment_size: 72
    .language:       OpenCL C
    .language_version:
      - 2
      - 0
    .max_flat_workgroup_size: 1024
    .name:           _ZN9rocsparseL35bsr2csr_block_per_row_33_256_kernelILj1024ELj64ELj32EfiiEEv20rocsparse_direction_T4_S2_21rocsparse_index_base_PKT2_PKT3_PKS2_S2_S3_PS4_PS7_PS2_
    .private_segment_fixed_size: 0
    .sgpr_count:     34
    .sgpr_spill_count: 0
    .symbol:         _ZN9rocsparseL35bsr2csr_block_per_row_33_256_kernelILj1024ELj64ELj32EfiiEEv20rocsparse_direction_T4_S2_21rocsparse_index_base_PKT2_PKT3_PKS2_S2_S3_PS4_PS7_PS2_.kd
    .uniform_work_group_size: 1
    .uses_dynamic_stack: false
    .vgpr_count:     18
    .vgpr_spill_count: 0
    .wavefront_size: 64
  - .agpr_count:     0
    .args:
      - .offset:         0
        .size:           4
        .value_kind:     by_value
      - .offset:         4
        .size:           4
        .value_kind:     by_value
      - .offset:         8
        .size:           4
        .value_kind:     by_value
      - .offset:         12
        .size:           4
        .value_kind:     by_value
      - .actual_access:  read_only
        .address_space:  global
        .offset:         16
        .size:           8
        .value_kind:     global_buffer
      - .actual_access:  read_only
        .address_space:  global
        .offset:         24
        .size:           8
        .value_kind:     global_buffer
      - .actual_access:  read_only
        .address_space:  global
        .offset:         32
        .size:           8
        .value_kind:     global_buffer
      - .offset:         40
        .size:           4
        .value_kind:     by_value
      - .offset:         44
        .size:           4
        .value_kind:     by_value
      - .actual_access:  write_only
        .address_space:  global
        .offset:         48
        .size:           8
        .value_kind:     global_buffer
      - .actual_access:  write_only
        .address_space:  global
        .offset:         56
        .size:           8
        .value_kind:     global_buffer
      - .actual_access:  write_only
        .address_space:  global
        .offset:         64
        .size:           8
        .value_kind:     global_buffer
    .group_segment_fixed_size: 0
    .kernarg_segment_align: 8
    .kernarg_segment_size: 72
    .language:       OpenCL C
    .language_version:
      - 2
      - 0
    .max_flat_workgroup_size: 1024
    .name:           _ZN9rocsparseL35bsr2csr_block_per_row_33_256_kernelILj1024ELj128ELj32EfiiEEv20rocsparse_direction_T4_S2_21rocsparse_index_base_PKT2_PKT3_PKS2_S2_S3_PS4_PS7_PS2_
    .private_segment_fixed_size: 0
    .sgpr_count:     60
    .sgpr_spill_count: 0
    .symbol:         _ZN9rocsparseL35bsr2csr_block_per_row_33_256_kernelILj1024ELj128ELj32EfiiEEv20rocsparse_direction_T4_S2_21rocsparse_index_base_PKT2_PKT3_PKS2_S2_S3_PS4_PS7_PS2_.kd
    .uniform_work_group_size: 1
    .uses_dynamic_stack: false
    .vgpr_count:     30
    .vgpr_spill_count: 0
    .wavefront_size: 64
  - .agpr_count:     0
    .args:
      - .offset:         0
        .size:           4
        .value_kind:     by_value
      - .offset:         4
        .size:           4
        .value_kind:     by_value
      - .offset:         8
        .size:           4
        .value_kind:     by_value
      - .offset:         12
        .size:           4
        .value_kind:     by_value
      - .actual_access:  read_only
        .address_space:  global
        .offset:         16
        .size:           8
        .value_kind:     global_buffer
      - .actual_access:  read_only
        .address_space:  global
        .offset:         24
        .size:           8
        .value_kind:     global_buffer
      - .actual_access:  read_only
        .address_space:  global
        .offset:         32
        .size:           8
        .value_kind:     global_buffer
      - .offset:         40
        .size:           4
        .value_kind:     by_value
      - .offset:         44
        .size:           4
        .value_kind:     by_value
      - .actual_access:  write_only
        .address_space:  global
        .offset:         48
        .size:           8
        .value_kind:     global_buffer
      - .actual_access:  write_only
        .address_space:  global
        .offset:         56
        .size:           8
        .value_kind:     global_buffer
      - .actual_access:  write_only
        .address_space:  global
        .offset:         64
        .size:           8
        .value_kind:     global_buffer
    .group_segment_fixed_size: 0
    .kernarg_segment_align: 8
    .kernarg_segment_size: 72
    .language:       OpenCL C
    .language_version:
      - 2
      - 0
    .max_flat_workgroup_size: 1024
    .name:           _ZN9rocsparseL35bsr2csr_block_per_row_33_256_kernelILj1024ELj256ELj32EfiiEEv20rocsparse_direction_T4_S2_21rocsparse_index_base_PKT2_PKT3_PKS2_S2_S3_PS4_PS7_PS2_
    .private_segment_fixed_size: 0
    .sgpr_count:     100
    .sgpr_spill_count: 57
    .symbol:         _ZN9rocsparseL35bsr2csr_block_per_row_33_256_kernelILj1024ELj256ELj32EfiiEEv20rocsparse_direction_T4_S2_21rocsparse_index_base_PKT2_PKT3_PKS2_S2_S3_PS4_PS7_PS2_.kd
    .uniform_work_group_size: 1
    .uses_dynamic_stack: false
    .vgpr_count:     56
    .vgpr_spill_count: 0
    .wavefront_size: 64
  - .agpr_count:     0
    .args:
      - .offset:         0
        .size:           4
        .value_kind:     by_value
      - .offset:         4
        .size:           4
        .value_kind:     by_value
      - .offset:         8
        .size:           4
        .value_kind:     by_value
      - .actual_access:  read_only
        .address_space:  global
        .offset:         16
        .size:           8
        .value_kind:     global_buffer
      - .actual_access:  read_only
        .address_space:  global
        .offset:         24
        .size:           8
        .value_kind:     global_buffer
      - .actual_access:  read_only
        .address_space:  global
        .offset:         32
        .size:           8
        .value_kind:     global_buffer
      - .offset:         40
        .size:           4
        .value_kind:     by_value
      - .actual_access:  write_only
        .address_space:  global
        .offset:         48
        .size:           8
        .value_kind:     global_buffer
      - .actual_access:  write_only
        .address_space:  global
        .offset:         56
        .size:           8
        .value_kind:     global_buffer
      - .actual_access:  write_only
        .address_space:  global
        .offset:         64
        .size:           8
        .value_kind:     global_buffer
      - .offset:         72
        .size:           4
        .value_kind:     hidden_block_count_x
      - .offset:         76
        .size:           4
        .value_kind:     hidden_block_count_y
      - .offset:         80
        .size:           4
        .value_kind:     hidden_block_count_z
      - .offset:         84
        .size:           2
        .value_kind:     hidden_group_size_x
      - .offset:         86
        .size:           2
        .value_kind:     hidden_group_size_y
      - .offset:         88
        .size:           2
        .value_kind:     hidden_group_size_z
      - .offset:         90
        .size:           2
        .value_kind:     hidden_remainder_x
      - .offset:         92
        .size:           2
        .value_kind:     hidden_remainder_y
      - .offset:         94
        .size:           2
        .value_kind:     hidden_remainder_z
      - .offset:         112
        .size:           8
        .value_kind:     hidden_global_offset_x
      - .offset:         120
        .size:           8
        .value_kind:     hidden_global_offset_y
      - .offset:         128
        .size:           8
        .value_kind:     hidden_global_offset_z
      - .offset:         136
        .size:           2
        .value_kind:     hidden_grid_dims
    .group_segment_fixed_size: 0
    .kernarg_segment_align: 8
    .kernarg_segment_size: 328
    .language:       OpenCL C
    .language_version:
      - 2
      - 0
    .max_flat_workgroup_size: 1024
    .name:           _ZN9rocsparseL35bsr2csr_block_dim_equals_one_kernelILj1024EfliEEvT2_S1_21rocsparse_index_base_PKT0_PKT1_PKS1_S2_PS3_PS6_PS1_
    .private_segment_fixed_size: 0
    .sgpr_count:     32
    .sgpr_spill_count: 0
    .symbol:         _ZN9rocsparseL35bsr2csr_block_dim_equals_one_kernelILj1024EfliEEvT2_S1_21rocsparse_index_base_PKT0_PKT1_PKS1_S2_PS3_PS6_PS1_.kd
    .uniform_work_group_size: 1
    .uses_dynamic_stack: false
    .vgpr_count:     14
    .vgpr_spill_count: 0
    .wavefront_size: 64
  - .agpr_count:     0
    .args:
      - .offset:         0
        .size:           4
        .value_kind:     by_value
      - .offset:         4
        .size:           4
        .value_kind:     by_value
      - .offset:         8
        .size:           4
        .value_kind:     by_value
      - .offset:         12
        .size:           4
        .value_kind:     by_value
      - .actual_access:  read_only
        .address_space:  global
        .offset:         16
        .size:           8
        .value_kind:     global_buffer
      - .actual_access:  read_only
        .address_space:  global
        .offset:         24
        .size:           8
        .value_kind:     global_buffer
      - .actual_access:  read_only
        .address_space:  global
        .offset:         32
        .size:           8
        .value_kind:     global_buffer
      - .offset:         40
        .size:           4
        .value_kind:     by_value
      - .offset:         44
        .size:           4
        .value_kind:     by_value
      - .actual_access:  write_only
        .address_space:  global
        .offset:         48
        .size:           8
        .value_kind:     global_buffer
      - .actual_access:  write_only
        .address_space:  global
        .offset:         56
        .size:           8
        .value_kind:     global_buffer
      - .actual_access:  write_only
        .address_space:  global
        .offset:         64
        .size:           8
        .value_kind:     global_buffer
    .group_segment_fixed_size: 0
    .kernarg_segment_align: 8
    .kernarg_segment_size: 72
    .language:       OpenCL C
    .language_version:
      - 2
      - 0
    .max_flat_workgroup_size: 256
    .name:           _ZN9rocsparseL32bsr2csr_block_per_row_2_7_kernelILj256ELj2EfliEEv20rocsparse_direction_T3_S2_21rocsparse_index_base_PKT1_PKT2_PKS2_S2_S3_PS4_PS7_PS2_
    .private_segment_fixed_size: 0
    .sgpr_count:     42
    .sgpr_spill_count: 0
    .symbol:         _ZN9rocsparseL32bsr2csr_block_per_row_2_7_kernelILj256ELj2EfliEEv20rocsparse_direction_T3_S2_21rocsparse_index_base_PKT1_PKT2_PKS2_S2_S3_PS4_PS7_PS2_.kd
    .uniform_work_group_size: 1
    .uses_dynamic_stack: false
    .vgpr_count:     50
    .vgpr_spill_count: 0
    .wavefront_size: 64
  - .agpr_count:     0
    .args:
      - .offset:         0
        .size:           4
        .value_kind:     by_value
      - .offset:         4
        .size:           4
        .value_kind:     by_value
      - .offset:         8
        .size:           4
        .value_kind:     by_value
      - .offset:         12
        .size:           4
        .value_kind:     by_value
      - .actual_access:  read_only
        .address_space:  global
        .offset:         16
        .size:           8
        .value_kind:     global_buffer
      - .actual_access:  read_only
        .address_space:  global
        .offset:         24
        .size:           8
        .value_kind:     global_buffer
      - .actual_access:  read_only
        .address_space:  global
        .offset:         32
        .size:           8
        .value_kind:     global_buffer
      - .offset:         40
        .size:           4
        .value_kind:     by_value
      - .offset:         44
        .size:           4
        .value_kind:     by_value
      - .actual_access:  write_only
        .address_space:  global
        .offset:         48
        .size:           8
        .value_kind:     global_buffer
      - .actual_access:  write_only
        .address_space:  global
        .offset:         56
        .size:           8
        .value_kind:     global_buffer
      - .actual_access:  write_only
        .address_space:  global
        .offset:         64
        .size:           8
        .value_kind:     global_buffer
    .group_segment_fixed_size: 0
    .kernarg_segment_align: 8
    .kernarg_segment_size: 72
    .language:       OpenCL C
    .language_version:
      - 2
      - 0
    .max_flat_workgroup_size: 256
    .name:           _ZN9rocsparseL32bsr2csr_block_per_row_2_7_kernelILj256ELj3EfliEEv20rocsparse_direction_T3_S2_21rocsparse_index_base_PKT1_PKT2_PKS2_S2_S3_PS4_PS7_PS2_
    .private_segment_fixed_size: 0
    .sgpr_count:     42
    .sgpr_spill_count: 0
    .symbol:         _ZN9rocsparseL32bsr2csr_block_per_row_2_7_kernelILj256ELj3EfliEEv20rocsparse_direction_T3_S2_21rocsparse_index_base_PKT1_PKT2_PKS2_S2_S3_PS4_PS7_PS2_.kd
    .uniform_work_group_size: 1
    .uses_dynamic_stack: false
    .vgpr_count:     54
    .vgpr_spill_count: 0
    .wavefront_size: 64
  - .agpr_count:     0
    .args:
      - .offset:         0
        .size:           4
        .value_kind:     by_value
      - .offset:         4
        .size:           4
        .value_kind:     by_value
      - .offset:         8
        .size:           4
        .value_kind:     by_value
      - .offset:         12
        .size:           4
        .value_kind:     by_value
      - .actual_access:  read_only
        .address_space:  global
        .offset:         16
        .size:           8
        .value_kind:     global_buffer
      - .actual_access:  read_only
        .address_space:  global
        .offset:         24
        .size:           8
        .value_kind:     global_buffer
      - .actual_access:  read_only
        .address_space:  global
        .offset:         32
        .size:           8
        .value_kind:     global_buffer
      - .offset:         40
        .size:           4
        .value_kind:     by_value
      - .offset:         44
        .size:           4
        .value_kind:     by_value
      - .actual_access:  write_only
        .address_space:  global
        .offset:         48
        .size:           8
        .value_kind:     global_buffer
      - .actual_access:  write_only
        .address_space:  global
        .offset:         56
        .size:           8
        .value_kind:     global_buffer
      - .actual_access:  write_only
        .address_space:  global
        .offset:         64
        .size:           8
        .value_kind:     global_buffer
    .group_segment_fixed_size: 0
    .kernarg_segment_align: 8
    .kernarg_segment_size: 72
    .language:       OpenCL C
    .language_version:
      - 2
      - 0
    .max_flat_workgroup_size: 256
    .name:           _ZN9rocsparseL32bsr2csr_block_per_row_2_7_kernelILj256ELj4EfliEEv20rocsparse_direction_T3_S2_21rocsparse_index_base_PKT1_PKT2_PKS2_S2_S3_PS4_PS7_PS2_
    .private_segment_fixed_size: 0
    .sgpr_count:     48
    .sgpr_spill_count: 0
    .symbol:         _ZN9rocsparseL32bsr2csr_block_per_row_2_7_kernelILj256ELj4EfliEEv20rocsparse_direction_T3_S2_21rocsparse_index_base_PKT1_PKT2_PKS2_S2_S3_PS4_PS7_PS2_.kd
    .uniform_work_group_size: 1
    .uses_dynamic_stack: false
    .vgpr_count:     62
    .vgpr_spill_count: 0
    .wavefront_size: 64
  - .agpr_count:     0
    .args:
      - .offset:         0
        .size:           4
        .value_kind:     by_value
      - .offset:         4
        .size:           4
        .value_kind:     by_value
      - .offset:         8
        .size:           4
        .value_kind:     by_value
      - .offset:         12
        .size:           4
        .value_kind:     by_value
      - .actual_access:  read_only
        .address_space:  global
        .offset:         16
        .size:           8
        .value_kind:     global_buffer
      - .actual_access:  read_only
        .address_space:  global
        .offset:         24
        .size:           8
        .value_kind:     global_buffer
      - .actual_access:  read_only
        .address_space:  global
        .offset:         32
        .size:           8
        .value_kind:     global_buffer
      - .offset:         40
        .size:           4
        .value_kind:     by_value
      - .offset:         44
        .size:           4
        .value_kind:     by_value
      - .actual_access:  write_only
        .address_space:  global
        .offset:         48
        .size:           8
        .value_kind:     global_buffer
      - .actual_access:  write_only
        .address_space:  global
        .offset:         56
        .size:           8
        .value_kind:     global_buffer
      - .actual_access:  write_only
        .address_space:  global
        .offset:         64
        .size:           8
        .value_kind:     global_buffer
    .group_segment_fixed_size: 0
    .kernarg_segment_align: 8
    .kernarg_segment_size: 72
    .language:       OpenCL C
    .language_version:
      - 2
      - 0
    .max_flat_workgroup_size: 256
    .name:           _ZN9rocsparseL32bsr2csr_block_per_row_2_7_kernelILj256ELj5EfliEEv20rocsparse_direction_T3_S2_21rocsparse_index_base_PKT1_PKT2_PKS2_S2_S3_PS4_PS7_PS2_
    .private_segment_fixed_size: 0
    .sgpr_count:     50
    .sgpr_spill_count: 0
    .symbol:         _ZN9rocsparseL32bsr2csr_block_per_row_2_7_kernelILj256ELj5EfliEEv20rocsparse_direction_T3_S2_21rocsparse_index_base_PKT1_PKT2_PKS2_S2_S3_PS4_PS7_PS2_.kd
    .uniform_work_group_size: 1
    .uses_dynamic_stack: false
    .vgpr_count:     66
    .vgpr_spill_count: 0
    .wavefront_size: 64
  - .agpr_count:     0
    .args:
      - .offset:         0
        .size:           4
        .value_kind:     by_value
      - .offset:         4
        .size:           4
        .value_kind:     by_value
      - .offset:         8
        .size:           4
        .value_kind:     by_value
      - .offset:         12
        .size:           4
        .value_kind:     by_value
      - .actual_access:  read_only
        .address_space:  global
        .offset:         16
        .size:           8
        .value_kind:     global_buffer
      - .actual_access:  read_only
        .address_space:  global
        .offset:         24
        .size:           8
        .value_kind:     global_buffer
      - .actual_access:  read_only
        .address_space:  global
        .offset:         32
        .size:           8
        .value_kind:     global_buffer
      - .offset:         40
        .size:           4
        .value_kind:     by_value
      - .offset:         44
        .size:           4
        .value_kind:     by_value
      - .actual_access:  write_only
        .address_space:  global
        .offset:         48
        .size:           8
        .value_kind:     global_buffer
      - .actual_access:  write_only
        .address_space:  global
        .offset:         56
        .size:           8
        .value_kind:     global_buffer
      - .actual_access:  write_only
        .address_space:  global
        .offset:         64
        .size:           8
        .value_kind:     global_buffer
    .group_segment_fixed_size: 0
    .kernarg_segment_align: 8
    .kernarg_segment_size: 72
    .language:       OpenCL C
    .language_version:
      - 2
      - 0
    .max_flat_workgroup_size: 256
    .name:           _ZN9rocsparseL32bsr2csr_block_per_row_2_7_kernelILj256ELj6EfliEEv20rocsparse_direction_T3_S2_21rocsparse_index_base_PKT1_PKT2_PKS2_S2_S3_PS4_PS7_PS2_
    .private_segment_fixed_size: 0
    .sgpr_count:     54
    .sgpr_spill_count: 0
    .symbol:         _ZN9rocsparseL32bsr2csr_block_per_row_2_7_kernelILj256ELj6EfliEEv20rocsparse_direction_T3_S2_21rocsparse_index_base_PKT1_PKT2_PKS2_S2_S3_PS4_PS7_PS2_.kd
    .uniform_work_group_size: 1
    .uses_dynamic_stack: false
    .vgpr_count:     68
    .vgpr_spill_count: 0
    .wavefront_size: 64
  - .agpr_count:     0
    .args:
      - .offset:         0
        .size:           4
        .value_kind:     by_value
      - .offset:         4
        .size:           4
        .value_kind:     by_value
      - .offset:         8
        .size:           4
        .value_kind:     by_value
      - .offset:         12
        .size:           4
        .value_kind:     by_value
      - .actual_access:  read_only
        .address_space:  global
        .offset:         16
        .size:           8
        .value_kind:     global_buffer
      - .actual_access:  read_only
        .address_space:  global
        .offset:         24
        .size:           8
        .value_kind:     global_buffer
      - .actual_access:  read_only
        .address_space:  global
        .offset:         32
        .size:           8
        .value_kind:     global_buffer
      - .offset:         40
        .size:           4
        .value_kind:     by_value
      - .offset:         44
        .size:           4
        .value_kind:     by_value
      - .actual_access:  write_only
        .address_space:  global
        .offset:         48
        .size:           8
        .value_kind:     global_buffer
      - .actual_access:  write_only
        .address_space:  global
        .offset:         56
        .size:           8
        .value_kind:     global_buffer
      - .actual_access:  write_only
        .address_space:  global
        .offset:         64
        .size:           8
        .value_kind:     global_buffer
    .group_segment_fixed_size: 0
    .kernarg_segment_align: 8
    .kernarg_segment_size: 72
    .language:       OpenCL C
    .language_version:
      - 2
      - 0
    .max_flat_workgroup_size: 256
    .name:           _ZN9rocsparseL32bsr2csr_block_per_row_2_7_kernelILj256ELj7EfliEEv20rocsparse_direction_T3_S2_21rocsparse_index_base_PKT1_PKT2_PKS2_S2_S3_PS4_PS7_PS2_
    .private_segment_fixed_size: 0
    .sgpr_count:     58
    .sgpr_spill_count: 0
    .symbol:         _ZN9rocsparseL32bsr2csr_block_per_row_2_7_kernelILj256ELj7EfliEEv20rocsparse_direction_T3_S2_21rocsparse_index_base_PKT1_PKT2_PKS2_S2_S3_PS4_PS7_PS2_.kd
    .uniform_work_group_size: 1
    .uses_dynamic_stack: false
    .vgpr_count:     74
    .vgpr_spill_count: 0
    .wavefront_size: 64
  - .agpr_count:     0
    .args:
      - .offset:         0
        .size:           4
        .value_kind:     by_value
      - .offset:         4
        .size:           4
        .value_kind:     by_value
      - .offset:         8
        .size:           4
        .value_kind:     by_value
      - .offset:         12
        .size:           4
        .value_kind:     by_value
      - .actual_access:  read_only
        .address_space:  global
        .offset:         16
        .size:           8
        .value_kind:     global_buffer
      - .actual_access:  read_only
        .address_space:  global
        .offset:         24
        .size:           8
        .value_kind:     global_buffer
      - .actual_access:  read_only
        .address_space:  global
        .offset:         32
        .size:           8
        .value_kind:     global_buffer
      - .offset:         40
        .size:           4
        .value_kind:     by_value
      - .offset:         44
        .size:           4
        .value_kind:     by_value
      - .actual_access:  write_only
        .address_space:  global
        .offset:         48
        .size:           8
        .value_kind:     global_buffer
      - .actual_access:  write_only
        .address_space:  global
        .offset:         56
        .size:           8
        .value_kind:     global_buffer
      - .actual_access:  write_only
        .address_space:  global
        .offset:         64
        .size:           8
        .value_kind:     global_buffer
    .group_segment_fixed_size: 0
    .kernarg_segment_align: 8
    .kernarg_segment_size: 72
    .language:       OpenCL C
    .language_version:
      - 2
      - 0
    .max_flat_workgroup_size: 1024
    .name:           _ZN9rocsparseL33bsr2csr_block_per_row_8_32_kernelILj1024ELj8EfliEEv20rocsparse_direction_T3_S2_21rocsparse_index_base_PKT1_PKT2_PKS2_S2_S3_PS4_PS7_PS2_
    .private_segment_fixed_size: 0
    .sgpr_count:     46
    .sgpr_spill_count: 0
    .symbol:         _ZN9rocsparseL33bsr2csr_block_per_row_8_32_kernelILj1024ELj8EfliEEv20rocsparse_direction_T3_S2_21rocsparse_index_base_PKT1_PKT2_PKS2_S2_S3_PS4_PS7_PS2_.kd
    .uniform_work_group_size: 1
    .uses_dynamic_stack: false
    .vgpr_count:     41
    .vgpr_spill_count: 0
    .wavefront_size: 64
  - .agpr_count:     0
    .args:
      - .offset:         0
        .size:           4
        .value_kind:     by_value
      - .offset:         4
        .size:           4
        .value_kind:     by_value
      - .offset:         8
        .size:           4
        .value_kind:     by_value
      - .offset:         12
        .size:           4
        .value_kind:     by_value
      - .actual_access:  read_only
        .address_space:  global
        .offset:         16
        .size:           8
        .value_kind:     global_buffer
      - .actual_access:  read_only
        .address_space:  global
        .offset:         24
        .size:           8
        .value_kind:     global_buffer
      - .actual_access:  read_only
        .address_space:  global
        .offset:         32
        .size:           8
        .value_kind:     global_buffer
      - .offset:         40
        .size:           4
        .value_kind:     by_value
      - .offset:         44
        .size:           4
        .value_kind:     by_value
      - .actual_access:  write_only
        .address_space:  global
        .offset:         48
        .size:           8
        .value_kind:     global_buffer
      - .actual_access:  write_only
        .address_space:  global
        .offset:         56
        .size:           8
        .value_kind:     global_buffer
      - .actual_access:  write_only
        .address_space:  global
        .offset:         64
        .size:           8
        .value_kind:     global_buffer
    .group_segment_fixed_size: 0
    .kernarg_segment_align: 8
    .kernarg_segment_size: 72
    .language:       OpenCL C
    .language_version:
      - 2
      - 0
    .max_flat_workgroup_size: 1024
    .name:           _ZN9rocsparseL33bsr2csr_block_per_row_8_32_kernelILj1024ELj16EfliEEv20rocsparse_direction_T3_S2_21rocsparse_index_base_PKT1_PKT2_PKS2_S2_S3_PS4_PS7_PS2_
    .private_segment_fixed_size: 0
    .sgpr_count:     45
    .sgpr_spill_count: 0
    .symbol:         _ZN9rocsparseL33bsr2csr_block_per_row_8_32_kernelILj1024ELj16EfliEEv20rocsparse_direction_T3_S2_21rocsparse_index_base_PKT1_PKT2_PKS2_S2_S3_PS4_PS7_PS2_.kd
    .uniform_work_group_size: 1
    .uses_dynamic_stack: false
    .vgpr_count:     41
    .vgpr_spill_count: 0
    .wavefront_size: 64
  - .agpr_count:     0
    .args:
      - .offset:         0
        .size:           4
        .value_kind:     by_value
      - .offset:         4
        .size:           4
        .value_kind:     by_value
      - .offset:         8
        .size:           4
        .value_kind:     by_value
      - .offset:         12
        .size:           4
        .value_kind:     by_value
      - .actual_access:  read_only
        .address_space:  global
        .offset:         16
        .size:           8
        .value_kind:     global_buffer
      - .actual_access:  read_only
        .address_space:  global
        .offset:         24
        .size:           8
        .value_kind:     global_buffer
      - .actual_access:  read_only
        .address_space:  global
        .offset:         32
        .size:           8
        .value_kind:     global_buffer
      - .offset:         40
        .size:           4
        .value_kind:     by_value
      - .offset:         44
        .size:           4
        .value_kind:     by_value
      - .actual_access:  write_only
        .address_space:  global
        .offset:         48
        .size:           8
        .value_kind:     global_buffer
      - .actual_access:  write_only
        .address_space:  global
        .offset:         56
        .size:           8
        .value_kind:     global_buffer
      - .actual_access:  write_only
        .address_space:  global
        .offset:         64
        .size:           8
        .value_kind:     global_buffer
    .group_segment_fixed_size: 0
    .kernarg_segment_align: 8
    .kernarg_segment_size: 72
    .language:       OpenCL C
    .language_version:
      - 2
      - 0
    .max_flat_workgroup_size: 1024
    .name:           _ZN9rocsparseL33bsr2csr_block_per_row_8_32_kernelILj1024ELj32EfliEEv20rocsparse_direction_T3_S2_21rocsparse_index_base_PKT1_PKT2_PKS2_S2_S3_PS4_PS7_PS2_
    .private_segment_fixed_size: 0
    .sgpr_count:     45
    .sgpr_spill_count: 0
    .symbol:         _ZN9rocsparseL33bsr2csr_block_per_row_8_32_kernelILj1024ELj32EfliEEv20rocsparse_direction_T3_S2_21rocsparse_index_base_PKT1_PKT2_PKS2_S2_S3_PS4_PS7_PS2_.kd
    .uniform_work_group_size: 1
    .uses_dynamic_stack: false
    .vgpr_count:     17
    .vgpr_spill_count: 0
    .wavefront_size: 64
  - .agpr_count:     0
    .args:
      - .offset:         0
        .size:           4
        .value_kind:     by_value
      - .offset:         4
        .size:           4
        .value_kind:     by_value
      - .offset:         8
        .size:           4
        .value_kind:     by_value
      - .offset:         12
        .size:           4
        .value_kind:     by_value
      - .actual_access:  read_only
        .address_space:  global
        .offset:         16
        .size:           8
        .value_kind:     global_buffer
      - .actual_access:  read_only
        .address_space:  global
        .offset:         24
        .size:           8
        .value_kind:     global_buffer
      - .actual_access:  read_only
        .address_space:  global
        .offset:         32
        .size:           8
        .value_kind:     global_buffer
      - .offset:         40
        .size:           4
        .value_kind:     by_value
      - .offset:         44
        .size:           4
        .value_kind:     by_value
      - .actual_access:  write_only
        .address_space:  global
        .offset:         48
        .size:           8
        .value_kind:     global_buffer
      - .actual_access:  write_only
        .address_space:  global
        .offset:         56
        .size:           8
        .value_kind:     global_buffer
      - .actual_access:  write_only
        .address_space:  global
        .offset:         64
        .size:           8
        .value_kind:     global_buffer
    .group_segment_fixed_size: 0
    .kernarg_segment_align: 8
    .kernarg_segment_size: 72
    .language:       OpenCL C
    .language_version:
      - 2
      - 0
    .max_flat_workgroup_size: 1024
    .name:           _ZN9rocsparseL35bsr2csr_block_per_row_33_256_kernelILj1024ELj64ELj32EfliEEv20rocsparse_direction_T4_S2_21rocsparse_index_base_PKT2_PKT3_PKS2_S2_S3_PS4_PS7_PS2_
    .private_segment_fixed_size: 0
    .sgpr_count:     44
    .sgpr_spill_count: 0
    .symbol:         _ZN9rocsparseL35bsr2csr_block_per_row_33_256_kernelILj1024ELj64ELj32EfliEEv20rocsparse_direction_T4_S2_21rocsparse_index_base_PKT2_PKT3_PKS2_S2_S3_PS4_PS7_PS2_.kd
    .uniform_work_group_size: 1
    .uses_dynamic_stack: false
    .vgpr_count:     26
    .vgpr_spill_count: 0
    .wavefront_size: 64
  - .agpr_count:     0
    .args:
      - .offset:         0
        .size:           4
        .value_kind:     by_value
      - .offset:         4
        .size:           4
        .value_kind:     by_value
      - .offset:         8
        .size:           4
        .value_kind:     by_value
      - .offset:         12
        .size:           4
        .value_kind:     by_value
      - .actual_access:  read_only
        .address_space:  global
        .offset:         16
        .size:           8
        .value_kind:     global_buffer
      - .actual_access:  read_only
        .address_space:  global
        .offset:         24
        .size:           8
        .value_kind:     global_buffer
      - .actual_access:  read_only
        .address_space:  global
        .offset:         32
        .size:           8
        .value_kind:     global_buffer
      - .offset:         40
        .size:           4
        .value_kind:     by_value
      - .offset:         44
        .size:           4
        .value_kind:     by_value
      - .actual_access:  write_only
        .address_space:  global
        .offset:         48
        .size:           8
        .value_kind:     global_buffer
      - .actual_access:  write_only
        .address_space:  global
        .offset:         56
        .size:           8
        .value_kind:     global_buffer
      - .actual_access:  write_only
        .address_space:  global
        .offset:         64
        .size:           8
        .value_kind:     global_buffer
    .group_segment_fixed_size: 0
    .kernarg_segment_align: 8
    .kernarg_segment_size: 72
    .language:       OpenCL C
    .language_version:
      - 2
      - 0
    .max_flat_workgroup_size: 1024
    .name:           _ZN9rocsparseL35bsr2csr_block_per_row_33_256_kernelILj1024ELj128ELj32EfliEEv20rocsparse_direction_T4_S2_21rocsparse_index_base_PKT2_PKT3_PKS2_S2_S3_PS4_PS7_PS2_
    .private_segment_fixed_size: 0
    .sgpr_count:     68
    .sgpr_spill_count: 0
    .symbol:         _ZN9rocsparseL35bsr2csr_block_per_row_33_256_kernelILj1024ELj128ELj32EfliEEv20rocsparse_direction_T4_S2_21rocsparse_index_base_PKT2_PKT3_PKS2_S2_S3_PS4_PS7_PS2_.kd
    .uniform_work_group_size: 1
    .uses_dynamic_stack: false
    .vgpr_count:     44
    .vgpr_spill_count: 0
    .wavefront_size: 64
  - .agpr_count:     0
    .args:
      - .offset:         0
        .size:           4
        .value_kind:     by_value
      - .offset:         4
        .size:           4
        .value_kind:     by_value
      - .offset:         8
        .size:           4
        .value_kind:     by_value
      - .offset:         12
        .size:           4
        .value_kind:     by_value
      - .actual_access:  read_only
        .address_space:  global
        .offset:         16
        .size:           8
        .value_kind:     global_buffer
      - .actual_access:  read_only
        .address_space:  global
        .offset:         24
        .size:           8
        .value_kind:     global_buffer
      - .actual_access:  read_only
        .address_space:  global
        .offset:         32
        .size:           8
        .value_kind:     global_buffer
      - .offset:         40
        .size:           4
        .value_kind:     by_value
      - .offset:         44
        .size:           4
        .value_kind:     by_value
      - .actual_access:  write_only
        .address_space:  global
        .offset:         48
        .size:           8
        .value_kind:     global_buffer
      - .actual_access:  write_only
        .address_space:  global
        .offset:         56
        .size:           8
        .value_kind:     global_buffer
      - .actual_access:  write_only
        .address_space:  global
        .offset:         64
        .size:           8
        .value_kind:     global_buffer
    .group_segment_fixed_size: 0
    .kernarg_segment_align: 8
    .kernarg_segment_size: 72
    .language:       OpenCL C
    .language_version:
      - 2
      - 0
    .max_flat_workgroup_size: 1024
    .name:           _ZN9rocsparseL35bsr2csr_block_per_row_33_256_kernelILj1024ELj256ELj32EfliEEv20rocsparse_direction_T4_S2_21rocsparse_index_base_PKT2_PKT3_PKS2_S2_S3_PS4_PS7_PS2_
    .private_segment_fixed_size: 0
    .sgpr_count:     100
    .sgpr_spill_count: 97
    .symbol:         _ZN9rocsparseL35bsr2csr_block_per_row_33_256_kernelILj1024ELj256ELj32EfliEEv20rocsparse_direction_T4_S2_21rocsparse_index_base_PKT2_PKT3_PKS2_S2_S3_PS4_PS7_PS2_.kd
    .uniform_work_group_size: 1
    .uses_dynamic_stack: false
    .vgpr_count:     79
    .vgpr_spill_count: 0
    .wavefront_size: 64
  - .agpr_count:     0
    .args:
      - .offset:         0
        .size:           8
        .value_kind:     by_value
      - .offset:         8
        .size:           8
        .value_kind:     by_value
      - .offset:         16
        .size:           4
        .value_kind:     by_value
      - .actual_access:  read_only
        .address_space:  global
        .offset:         24
        .size:           8
        .value_kind:     global_buffer
      - .actual_access:  read_only
        .address_space:  global
        .offset:         32
        .size:           8
        .value_kind:     global_buffer
      - .actual_access:  read_only
        .address_space:  global
        .offset:         40
        .size:           8
        .value_kind:     global_buffer
      - .offset:         48
        .size:           4
        .value_kind:     by_value
      - .actual_access:  write_only
        .address_space:  global
        .offset:         56
        .size:           8
        .value_kind:     global_buffer
      - .actual_access:  write_only
        .address_space:  global
        .offset:         64
        .size:           8
        .value_kind:     global_buffer
      - .actual_access:  write_only
        .address_space:  global
        .offset:         72
        .size:           8
        .value_kind:     global_buffer
      - .offset:         80
        .size:           4
        .value_kind:     hidden_block_count_x
      - .offset:         84
        .size:           4
        .value_kind:     hidden_block_count_y
      - .offset:         88
        .size:           4
        .value_kind:     hidden_block_count_z
      - .offset:         92
        .size:           2
        .value_kind:     hidden_group_size_x
      - .offset:         94
        .size:           2
        .value_kind:     hidden_group_size_y
      - .offset:         96
        .size:           2
        .value_kind:     hidden_group_size_z
      - .offset:         98
        .size:           2
        .value_kind:     hidden_remainder_x
      - .offset:         100
        .size:           2
        .value_kind:     hidden_remainder_y
      - .offset:         102
        .size:           2
        .value_kind:     hidden_remainder_z
      - .offset:         120
        .size:           8
        .value_kind:     hidden_global_offset_x
      - .offset:         128
        .size:           8
        .value_kind:     hidden_global_offset_y
      - .offset:         136
        .size:           8
        .value_kind:     hidden_global_offset_z
      - .offset:         144
        .size:           2
        .value_kind:     hidden_grid_dims
    .group_segment_fixed_size: 0
    .kernarg_segment_align: 8
    .kernarg_segment_size: 336
    .language:       OpenCL C
    .language_version:
      - 2
      - 0
    .max_flat_workgroup_size: 1024
    .name:           _ZN9rocsparseL35bsr2csr_block_dim_equals_one_kernelILj1024EfilEEvT2_S1_21rocsparse_index_base_PKT0_PKT1_PKS1_S2_PS3_PS6_PS1_
    .private_segment_fixed_size: 0
    .sgpr_count:     28
    .sgpr_spill_count: 0
    .symbol:         _ZN9rocsparseL35bsr2csr_block_dim_equals_one_kernelILj1024EfilEEvT2_S1_21rocsparse_index_base_PKT0_PKT1_PKS1_S2_PS3_PS6_PS1_.kd
    .uniform_work_group_size: 1
    .uses_dynamic_stack: false
    .vgpr_count:     21
    .vgpr_spill_count: 0
    .wavefront_size: 64
  - .agpr_count:     0
    .args:
      - .offset:         0
        .size:           4
        .value_kind:     by_value
      - .offset:         8
        .size:           8
        .value_kind:     by_value
      - .offset:         16
        .size:           8
        .value_kind:     by_value
      - .offset:         24
        .size:           4
        .value_kind:     by_value
      - .actual_access:  read_only
        .address_space:  global
        .offset:         32
        .size:           8
        .value_kind:     global_buffer
      - .actual_access:  read_only
        .address_space:  global
        .offset:         40
        .size:           8
        .value_kind:     global_buffer
      - .actual_access:  read_only
        .address_space:  global
        .offset:         48
        .size:           8
        .value_kind:     global_buffer
      - .offset:         56
        .size:           8
        .value_kind:     by_value
      - .offset:         64
        .size:           4
        .value_kind:     by_value
      - .actual_access:  write_only
        .address_space:  global
        .offset:         72
        .size:           8
        .value_kind:     global_buffer
      - .actual_access:  write_only
        .address_space:  global
        .offset:         80
        .size:           8
        .value_kind:     global_buffer
      - .actual_access:  write_only
        .address_space:  global
        .offset:         88
        .size:           8
        .value_kind:     global_buffer
    .group_segment_fixed_size: 0
    .kernarg_segment_align: 8
    .kernarg_segment_size: 96
    .language:       OpenCL C
    .language_version:
      - 2
      - 0
    .max_flat_workgroup_size: 256
    .name:           _ZN9rocsparseL32bsr2csr_block_per_row_2_7_kernelILj256ELj2EfilEEv20rocsparse_direction_T3_S2_21rocsparse_index_base_PKT1_PKT2_PKS2_S2_S3_PS4_PS7_PS2_
    .private_segment_fixed_size: 0
    .sgpr_count:     24
    .sgpr_spill_count: 0
    .symbol:         _ZN9rocsparseL32bsr2csr_block_per_row_2_7_kernelILj256ELj2EfilEEv20rocsparse_direction_T3_S2_21rocsparse_index_base_PKT1_PKT2_PKS2_S2_S3_PS4_PS7_PS2_.kd
    .uniform_work_group_size: 1
    .uses_dynamic_stack: false
    .vgpr_count:     30
    .vgpr_spill_count: 0
    .wavefront_size: 64
  - .agpr_count:     0
    .args:
      - .offset:         0
        .size:           4
        .value_kind:     by_value
      - .offset:         8
        .size:           8
        .value_kind:     by_value
      - .offset:         16
        .size:           8
        .value_kind:     by_value
      - .offset:         24
        .size:           4
        .value_kind:     by_value
      - .actual_access:  read_only
        .address_space:  global
        .offset:         32
        .size:           8
        .value_kind:     global_buffer
      - .actual_access:  read_only
        .address_space:  global
        .offset:         40
        .size:           8
        .value_kind:     global_buffer
      - .actual_access:  read_only
        .address_space:  global
        .offset:         48
        .size:           8
        .value_kind:     global_buffer
      - .offset:         56
        .size:           8
        .value_kind:     by_value
      - .offset:         64
        .size:           4
        .value_kind:     by_value
      - .actual_access:  write_only
        .address_space:  global
        .offset:         72
        .size:           8
        .value_kind:     global_buffer
      - .actual_access:  write_only
        .address_space:  global
        .offset:         80
        .size:           8
        .value_kind:     global_buffer
      - .actual_access:  write_only
        .address_space:  global
        .offset:         88
        .size:           8
        .value_kind:     global_buffer
    .group_segment_fixed_size: 0
    .kernarg_segment_align: 8
    .kernarg_segment_size: 96
    .language:       OpenCL C
    .language_version:
      - 2
      - 0
    .max_flat_workgroup_size: 256
    .name:           _ZN9rocsparseL32bsr2csr_block_per_row_2_7_kernelILj256ELj3EfilEEv20rocsparse_direction_T3_S2_21rocsparse_index_base_PKT1_PKT2_PKS2_S2_S3_PS4_PS7_PS2_
    .private_segment_fixed_size: 0
    .sgpr_count:     21
    .sgpr_spill_count: 0
    .symbol:         _ZN9rocsparseL32bsr2csr_block_per_row_2_7_kernelILj256ELj3EfilEEv20rocsparse_direction_T3_S2_21rocsparse_index_base_PKT1_PKT2_PKS2_S2_S3_PS4_PS7_PS2_.kd
    .uniform_work_group_size: 1
    .uses_dynamic_stack: false
    .vgpr_count:     27
    .vgpr_spill_count: 0
    .wavefront_size: 64
  - .agpr_count:     0
    .args:
      - .offset:         0
        .size:           4
        .value_kind:     by_value
      - .offset:         8
        .size:           8
        .value_kind:     by_value
      - .offset:         16
        .size:           8
        .value_kind:     by_value
      - .offset:         24
        .size:           4
        .value_kind:     by_value
      - .actual_access:  read_only
        .address_space:  global
        .offset:         32
        .size:           8
        .value_kind:     global_buffer
      - .actual_access:  read_only
        .address_space:  global
        .offset:         40
        .size:           8
        .value_kind:     global_buffer
      - .actual_access:  read_only
        .address_space:  global
        .offset:         48
        .size:           8
        .value_kind:     global_buffer
      - .offset:         56
        .size:           8
        .value_kind:     by_value
      - .offset:         64
        .size:           4
        .value_kind:     by_value
      - .actual_access:  write_only
        .address_space:  global
        .offset:         72
        .size:           8
        .value_kind:     global_buffer
      - .actual_access:  write_only
        .address_space:  global
        .offset:         80
        .size:           8
        .value_kind:     global_buffer
      - .actual_access:  write_only
        .address_space:  global
        .offset:         88
        .size:           8
        .value_kind:     global_buffer
    .group_segment_fixed_size: 0
    .kernarg_segment_align: 8
    .kernarg_segment_size: 96
    .language:       OpenCL C
    .language_version:
      - 2
      - 0
    .max_flat_workgroup_size: 256
    .name:           _ZN9rocsparseL32bsr2csr_block_per_row_2_7_kernelILj256ELj4EfilEEv20rocsparse_direction_T3_S2_21rocsparse_index_base_PKT1_PKT2_PKS2_S2_S3_PS4_PS7_PS2_
    .private_segment_fixed_size: 0
    .sgpr_count:     20
    .sgpr_spill_count: 0
    .symbol:         _ZN9rocsparseL32bsr2csr_block_per_row_2_7_kernelILj256ELj4EfilEEv20rocsparse_direction_T3_S2_21rocsparse_index_base_PKT1_PKT2_PKS2_S2_S3_PS4_PS7_PS2_.kd
    .uniform_work_group_size: 1
    .uses_dynamic_stack: false
    .vgpr_count:     30
    .vgpr_spill_count: 0
    .wavefront_size: 64
  - .agpr_count:     0
    .args:
      - .offset:         0
        .size:           4
        .value_kind:     by_value
      - .offset:         8
        .size:           8
        .value_kind:     by_value
      - .offset:         16
        .size:           8
        .value_kind:     by_value
      - .offset:         24
        .size:           4
        .value_kind:     by_value
      - .actual_access:  read_only
        .address_space:  global
        .offset:         32
        .size:           8
        .value_kind:     global_buffer
      - .actual_access:  read_only
        .address_space:  global
        .offset:         40
        .size:           8
        .value_kind:     global_buffer
      - .actual_access:  read_only
        .address_space:  global
        .offset:         48
        .size:           8
        .value_kind:     global_buffer
      - .offset:         56
        .size:           8
        .value_kind:     by_value
      - .offset:         64
        .size:           4
        .value_kind:     by_value
      - .actual_access:  write_only
        .address_space:  global
        .offset:         72
        .size:           8
        .value_kind:     global_buffer
      - .actual_access:  write_only
        .address_space:  global
        .offset:         80
        .size:           8
        .value_kind:     global_buffer
      - .actual_access:  write_only
        .address_space:  global
        .offset:         88
        .size:           8
        .value_kind:     global_buffer
    .group_segment_fixed_size: 0
    .kernarg_segment_align: 8
    .kernarg_segment_size: 96
    .language:       OpenCL C
    .language_version:
      - 2
      - 0
    .max_flat_workgroup_size: 256
    .name:           _ZN9rocsparseL32bsr2csr_block_per_row_2_7_kernelILj256ELj5EfilEEv20rocsparse_direction_T3_S2_21rocsparse_index_base_PKT1_PKT2_PKS2_S2_S3_PS4_PS7_PS2_
    .private_segment_fixed_size: 0
    .sgpr_count:     24
    .sgpr_spill_count: 0
    .symbol:         _ZN9rocsparseL32bsr2csr_block_per_row_2_7_kernelILj256ELj5EfilEEv20rocsparse_direction_T3_S2_21rocsparse_index_base_PKT1_PKT2_PKS2_S2_S3_PS4_PS7_PS2_.kd
    .uniform_work_group_size: 1
    .uses_dynamic_stack: false
    .vgpr_count:     36
    .vgpr_spill_count: 0
    .wavefront_size: 64
  - .agpr_count:     0
    .args:
      - .offset:         0
        .size:           4
        .value_kind:     by_value
      - .offset:         8
        .size:           8
        .value_kind:     by_value
      - .offset:         16
        .size:           8
        .value_kind:     by_value
      - .offset:         24
        .size:           4
        .value_kind:     by_value
      - .actual_access:  read_only
        .address_space:  global
        .offset:         32
        .size:           8
        .value_kind:     global_buffer
      - .actual_access:  read_only
        .address_space:  global
        .offset:         40
        .size:           8
        .value_kind:     global_buffer
      - .actual_access:  read_only
        .address_space:  global
        .offset:         48
        .size:           8
        .value_kind:     global_buffer
      - .offset:         56
        .size:           8
        .value_kind:     by_value
      - .offset:         64
        .size:           4
        .value_kind:     by_value
      - .actual_access:  write_only
        .address_space:  global
        .offset:         72
        .size:           8
        .value_kind:     global_buffer
      - .actual_access:  write_only
        .address_space:  global
        .offset:         80
        .size:           8
        .value_kind:     global_buffer
      - .actual_access:  write_only
        .address_space:  global
        .offset:         88
        .size:           8
        .value_kind:     global_buffer
    .group_segment_fixed_size: 0
    .kernarg_segment_align: 8
    .kernarg_segment_size: 96
    .language:       OpenCL C
    .language_version:
      - 2
      - 0
    .max_flat_workgroup_size: 256
    .name:           _ZN9rocsparseL32bsr2csr_block_per_row_2_7_kernelILj256ELj6EfilEEv20rocsparse_direction_T3_S2_21rocsparse_index_base_PKT1_PKT2_PKS2_S2_S3_PS4_PS7_PS2_
    .private_segment_fixed_size: 0
    .sgpr_count:     26
    .sgpr_spill_count: 0
    .symbol:         _ZN9rocsparseL32bsr2csr_block_per_row_2_7_kernelILj256ELj6EfilEEv20rocsparse_direction_T3_S2_21rocsparse_index_base_PKT1_PKT2_PKS2_S2_S3_PS4_PS7_PS2_.kd
    .uniform_work_group_size: 1
    .uses_dynamic_stack: false
    .vgpr_count:     40
    .vgpr_spill_count: 0
    .wavefront_size: 64
  - .agpr_count:     0
    .args:
      - .offset:         0
        .size:           4
        .value_kind:     by_value
      - .offset:         8
        .size:           8
        .value_kind:     by_value
      - .offset:         16
        .size:           8
        .value_kind:     by_value
      - .offset:         24
        .size:           4
        .value_kind:     by_value
      - .actual_access:  read_only
        .address_space:  global
        .offset:         32
        .size:           8
        .value_kind:     global_buffer
      - .actual_access:  read_only
        .address_space:  global
        .offset:         40
        .size:           8
        .value_kind:     global_buffer
      - .actual_access:  read_only
        .address_space:  global
        .offset:         48
        .size:           8
        .value_kind:     global_buffer
      - .offset:         56
        .size:           8
        .value_kind:     by_value
      - .offset:         64
        .size:           4
        .value_kind:     by_value
      - .actual_access:  write_only
        .address_space:  global
        .offset:         72
        .size:           8
        .value_kind:     global_buffer
      - .actual_access:  write_only
        .address_space:  global
        .offset:         80
        .size:           8
        .value_kind:     global_buffer
      - .actual_access:  write_only
        .address_space:  global
        .offset:         88
        .size:           8
        .value_kind:     global_buffer
    .group_segment_fixed_size: 0
    .kernarg_segment_align: 8
    .kernarg_segment_size: 96
    .language:       OpenCL C
    .language_version:
      - 2
      - 0
    .max_flat_workgroup_size: 256
    .name:           _ZN9rocsparseL32bsr2csr_block_per_row_2_7_kernelILj256ELj7EfilEEv20rocsparse_direction_T3_S2_21rocsparse_index_base_PKT1_PKT2_PKS2_S2_S3_PS4_PS7_PS2_
    .private_segment_fixed_size: 0
    .sgpr_count:     29
    .sgpr_spill_count: 0
    .symbol:         _ZN9rocsparseL32bsr2csr_block_per_row_2_7_kernelILj256ELj7EfilEEv20rocsparse_direction_T3_S2_21rocsparse_index_base_PKT1_PKT2_PKS2_S2_S3_PS4_PS7_PS2_.kd
    .uniform_work_group_size: 1
    .uses_dynamic_stack: false
    .vgpr_count:     44
    .vgpr_spill_count: 0
    .wavefront_size: 64
  - .agpr_count:     0
    .args:
      - .offset:         0
        .size:           4
        .value_kind:     by_value
      - .offset:         8
        .size:           8
        .value_kind:     by_value
      - .offset:         16
        .size:           8
        .value_kind:     by_value
      - .offset:         24
        .size:           4
        .value_kind:     by_value
      - .actual_access:  read_only
        .address_space:  global
        .offset:         32
        .size:           8
        .value_kind:     global_buffer
      - .actual_access:  read_only
        .address_space:  global
        .offset:         40
        .size:           8
        .value_kind:     global_buffer
      - .actual_access:  read_only
        .address_space:  global
        .offset:         48
        .size:           8
        .value_kind:     global_buffer
      - .offset:         56
        .size:           8
        .value_kind:     by_value
      - .offset:         64
        .size:           4
        .value_kind:     by_value
      - .actual_access:  write_only
        .address_space:  global
        .offset:         72
        .size:           8
        .value_kind:     global_buffer
      - .actual_access:  write_only
        .address_space:  global
        .offset:         80
        .size:           8
        .value_kind:     global_buffer
      - .actual_access:  write_only
        .address_space:  global
        .offset:         88
        .size:           8
        .value_kind:     global_buffer
    .group_segment_fixed_size: 0
    .kernarg_segment_align: 8
    .kernarg_segment_size: 96
    .language:       OpenCL C
    .language_version:
      - 2
      - 0
    .max_flat_workgroup_size: 1024
    .name:           _ZN9rocsparseL33bsr2csr_block_per_row_8_32_kernelILj1024ELj8EfilEEv20rocsparse_direction_T3_S2_21rocsparse_index_base_PKT1_PKT2_PKS2_S2_S3_PS4_PS7_PS2_
    .private_segment_fixed_size: 0
    .sgpr_count:     25
    .sgpr_spill_count: 0
    .symbol:         _ZN9rocsparseL33bsr2csr_block_per_row_8_32_kernelILj1024ELj8EfilEEv20rocsparse_direction_T3_S2_21rocsparse_index_base_PKT1_PKT2_PKS2_S2_S3_PS4_PS7_PS2_.kd
    .uniform_work_group_size: 1
    .uses_dynamic_stack: false
    .vgpr_count:     22
    .vgpr_spill_count: 0
    .wavefront_size: 64
  - .agpr_count:     0
    .args:
      - .offset:         0
        .size:           4
        .value_kind:     by_value
      - .offset:         8
        .size:           8
        .value_kind:     by_value
      - .offset:         16
        .size:           8
        .value_kind:     by_value
      - .offset:         24
        .size:           4
        .value_kind:     by_value
      - .actual_access:  read_only
        .address_space:  global
        .offset:         32
        .size:           8
        .value_kind:     global_buffer
      - .actual_access:  read_only
        .address_space:  global
        .offset:         40
        .size:           8
        .value_kind:     global_buffer
      - .actual_access:  read_only
        .address_space:  global
        .offset:         48
        .size:           8
        .value_kind:     global_buffer
      - .offset:         56
        .size:           8
        .value_kind:     by_value
      - .offset:         64
        .size:           4
        .value_kind:     by_value
      - .actual_access:  write_only
        .address_space:  global
        .offset:         72
        .size:           8
        .value_kind:     global_buffer
      - .actual_access:  write_only
        .address_space:  global
        .offset:         80
        .size:           8
        .value_kind:     global_buffer
      - .actual_access:  write_only
        .address_space:  global
        .offset:         88
        .size:           8
        .value_kind:     global_buffer
    .group_segment_fixed_size: 0
    .kernarg_segment_align: 8
    .kernarg_segment_size: 96
    .language:       OpenCL C
    .language_version:
      - 2
      - 0
    .max_flat_workgroup_size: 1024
    .name:           _ZN9rocsparseL33bsr2csr_block_per_row_8_32_kernelILj1024ELj16EfilEEv20rocsparse_direction_T3_S2_21rocsparse_index_base_PKT1_PKT2_PKS2_S2_S3_PS4_PS7_PS2_
    .private_segment_fixed_size: 0
    .sgpr_count:     25
    .sgpr_spill_count: 0
    .symbol:         _ZN9rocsparseL33bsr2csr_block_per_row_8_32_kernelILj1024ELj16EfilEEv20rocsparse_direction_T3_S2_21rocsparse_index_base_PKT1_PKT2_PKS2_S2_S3_PS4_PS7_PS2_.kd
    .uniform_work_group_size: 1
    .uses_dynamic_stack: false
    .vgpr_count:     22
    .vgpr_spill_count: 0
    .wavefront_size: 64
  - .agpr_count:     0
    .args:
      - .offset:         0
        .size:           4
        .value_kind:     by_value
      - .offset:         8
        .size:           8
        .value_kind:     by_value
      - .offset:         16
        .size:           8
        .value_kind:     by_value
      - .offset:         24
        .size:           4
        .value_kind:     by_value
      - .actual_access:  read_only
        .address_space:  global
        .offset:         32
        .size:           8
        .value_kind:     global_buffer
      - .actual_access:  read_only
        .address_space:  global
        .offset:         40
        .size:           8
        .value_kind:     global_buffer
      - .actual_access:  read_only
        .address_space:  global
        .offset:         48
        .size:           8
        .value_kind:     global_buffer
      - .offset:         56
        .size:           8
        .value_kind:     by_value
      - .offset:         64
        .size:           4
        .value_kind:     by_value
      - .actual_access:  write_only
        .address_space:  global
        .offset:         72
        .size:           8
        .value_kind:     global_buffer
      - .actual_access:  write_only
        .address_space:  global
        .offset:         80
        .size:           8
        .value_kind:     global_buffer
      - .actual_access:  write_only
        .address_space:  global
        .offset:         88
        .size:           8
        .value_kind:     global_buffer
    .group_segment_fixed_size: 0
    .kernarg_segment_align: 8
    .kernarg_segment_size: 96
    .language:       OpenCL C
    .language_version:
      - 2
      - 0
    .max_flat_workgroup_size: 1024
    .name:           _ZN9rocsparseL33bsr2csr_block_per_row_8_32_kernelILj1024ELj32EfilEEv20rocsparse_direction_T3_S2_21rocsparse_index_base_PKT1_PKT2_PKS2_S2_S3_PS4_PS7_PS2_
    .private_segment_fixed_size: 0
    .sgpr_count:     24
    .sgpr_spill_count: 0
    .symbol:         _ZN9rocsparseL33bsr2csr_block_per_row_8_32_kernelILj1024ELj32EfilEEv20rocsparse_direction_T3_S2_21rocsparse_index_base_PKT1_PKT2_PKS2_S2_S3_PS4_PS7_PS2_.kd
    .uniform_work_group_size: 1
    .uses_dynamic_stack: false
    .vgpr_count:     18
    .vgpr_spill_count: 0
    .wavefront_size: 64
  - .agpr_count:     0
    .args:
      - .offset:         0
        .size:           4
        .value_kind:     by_value
      - .offset:         8
        .size:           8
        .value_kind:     by_value
      - .offset:         16
        .size:           8
        .value_kind:     by_value
      - .offset:         24
        .size:           4
        .value_kind:     by_value
      - .actual_access:  read_only
        .address_space:  global
        .offset:         32
        .size:           8
        .value_kind:     global_buffer
      - .actual_access:  read_only
        .address_space:  global
        .offset:         40
        .size:           8
        .value_kind:     global_buffer
      - .actual_access:  read_only
        .address_space:  global
        .offset:         48
        .size:           8
        .value_kind:     global_buffer
      - .offset:         56
        .size:           8
        .value_kind:     by_value
      - .offset:         64
        .size:           4
        .value_kind:     by_value
      - .actual_access:  write_only
        .address_space:  global
        .offset:         72
        .size:           8
        .value_kind:     global_buffer
      - .actual_access:  write_only
        .address_space:  global
        .offset:         80
        .size:           8
        .value_kind:     global_buffer
      - .actual_access:  write_only
        .address_space:  global
        .offset:         88
        .size:           8
        .value_kind:     global_buffer
    .group_segment_fixed_size: 0
    .kernarg_segment_align: 8
    .kernarg_segment_size: 96
    .language:       OpenCL C
    .language_version:
      - 2
      - 0
    .max_flat_workgroup_size: 1024
    .name:           _ZN9rocsparseL35bsr2csr_block_per_row_33_256_kernelILj1024ELj64ELj32EfilEEv20rocsparse_direction_T4_S2_21rocsparse_index_base_PKT2_PKT3_PKS2_S2_S3_PS4_PS7_PS2_
    .private_segment_fixed_size: 0
    .sgpr_count:     36
    .sgpr_spill_count: 0
    .symbol:         _ZN9rocsparseL35bsr2csr_block_per_row_33_256_kernelILj1024ELj64ELj32EfilEEv20rocsparse_direction_T4_S2_21rocsparse_index_base_PKT2_PKT3_PKS2_S2_S3_PS4_PS7_PS2_.kd
    .uniform_work_group_size: 1
    .uses_dynamic_stack: false
    .vgpr_count:     24
    .vgpr_spill_count: 0
    .wavefront_size: 64
  - .agpr_count:     0
    .args:
      - .offset:         0
        .size:           4
        .value_kind:     by_value
      - .offset:         8
        .size:           8
        .value_kind:     by_value
      - .offset:         16
        .size:           8
        .value_kind:     by_value
      - .offset:         24
        .size:           4
        .value_kind:     by_value
      - .actual_access:  read_only
        .address_space:  global
        .offset:         32
        .size:           8
        .value_kind:     global_buffer
      - .actual_access:  read_only
        .address_space:  global
        .offset:         40
        .size:           8
        .value_kind:     global_buffer
      - .actual_access:  read_only
        .address_space:  global
        .offset:         48
        .size:           8
        .value_kind:     global_buffer
      - .offset:         56
        .size:           8
        .value_kind:     by_value
      - .offset:         64
        .size:           4
        .value_kind:     by_value
      - .actual_access:  write_only
        .address_space:  global
        .offset:         72
        .size:           8
        .value_kind:     global_buffer
      - .actual_access:  write_only
        .address_space:  global
        .offset:         80
        .size:           8
        .value_kind:     global_buffer
      - .actual_access:  write_only
        .address_space:  global
        .offset:         88
        .size:           8
        .value_kind:     global_buffer
    .group_segment_fixed_size: 0
    .kernarg_segment_align: 8
    .kernarg_segment_size: 96
    .language:       OpenCL C
    .language_version:
      - 2
      - 0
    .max_flat_workgroup_size: 1024
    .name:           _ZN9rocsparseL35bsr2csr_block_per_row_33_256_kernelILj1024ELj128ELj32EfilEEv20rocsparse_direction_T4_S2_21rocsparse_index_base_PKT2_PKT3_PKS2_S2_S3_PS4_PS7_PS2_
    .private_segment_fixed_size: 0
    .sgpr_count:     64
    .sgpr_spill_count: 0
    .symbol:         _ZN9rocsparseL35bsr2csr_block_per_row_33_256_kernelILj1024ELj128ELj32EfilEEv20rocsparse_direction_T4_S2_21rocsparse_index_base_PKT2_PKT3_PKS2_S2_S3_PS4_PS7_PS2_.kd
    .uniform_work_group_size: 1
    .uses_dynamic_stack: false
    .vgpr_count:     41
    .vgpr_spill_count: 0
    .wavefront_size: 64
  - .agpr_count:     0
    .args:
      - .offset:         0
        .size:           4
        .value_kind:     by_value
      - .offset:         8
        .size:           8
        .value_kind:     by_value
      - .offset:         16
        .size:           8
        .value_kind:     by_value
      - .offset:         24
        .size:           4
        .value_kind:     by_value
      - .actual_access:  read_only
        .address_space:  global
        .offset:         32
        .size:           8
        .value_kind:     global_buffer
      - .actual_access:  read_only
        .address_space:  global
        .offset:         40
        .size:           8
        .value_kind:     global_buffer
      - .actual_access:  read_only
        .address_space:  global
        .offset:         48
        .size:           8
        .value_kind:     global_buffer
      - .offset:         56
        .size:           8
        .value_kind:     by_value
      - .offset:         64
        .size:           4
        .value_kind:     by_value
      - .actual_access:  write_only
        .address_space:  global
        .offset:         72
        .size:           8
        .value_kind:     global_buffer
      - .actual_access:  write_only
        .address_space:  global
        .offset:         80
        .size:           8
        .value_kind:     global_buffer
      - .actual_access:  write_only
        .address_space:  global
        .offset:         88
        .size:           8
        .value_kind:     global_buffer
    .group_segment_fixed_size: 0
    .kernarg_segment_align: 8
    .kernarg_segment_size: 96
    .language:       OpenCL C
    .language_version:
      - 2
      - 0
    .max_flat_workgroup_size: 1024
    .name:           _ZN9rocsparseL35bsr2csr_block_per_row_33_256_kernelILj1024ELj256ELj32EfilEEv20rocsparse_direction_T4_S2_21rocsparse_index_base_PKT2_PKT3_PKS2_S2_S3_PS4_PS7_PS2_
    .private_segment_fixed_size: 0
    .sgpr_count:     100
    .sgpr_spill_count: 63
    .symbol:         _ZN9rocsparseL35bsr2csr_block_per_row_33_256_kernelILj1024ELj256ELj32EfilEEv20rocsparse_direction_T4_S2_21rocsparse_index_base_PKT2_PKT3_PKS2_S2_S3_PS4_PS7_PS2_.kd
    .uniform_work_group_size: 1
    .uses_dynamic_stack: false
    .vgpr_count:     85
    .vgpr_spill_count: 0
    .wavefront_size: 64
  - .agpr_count:     0
    .args:
      - .offset:         0
        .size:           8
        .value_kind:     by_value
      - .offset:         8
        .size:           8
        .value_kind:     by_value
      - .offset:         16
        .size:           4
        .value_kind:     by_value
      - .actual_access:  read_only
        .address_space:  global
        .offset:         24
        .size:           8
        .value_kind:     global_buffer
      - .actual_access:  read_only
        .address_space:  global
        .offset:         32
        .size:           8
        .value_kind:     global_buffer
      - .actual_access:  read_only
        .address_space:  global
        .offset:         40
        .size:           8
        .value_kind:     global_buffer
      - .offset:         48
        .size:           4
        .value_kind:     by_value
      - .actual_access:  write_only
        .address_space:  global
        .offset:         56
        .size:           8
        .value_kind:     global_buffer
      - .actual_access:  write_only
        .address_space:  global
        .offset:         64
        .size:           8
        .value_kind:     global_buffer
      - .actual_access:  write_only
        .address_space:  global
        .offset:         72
        .size:           8
        .value_kind:     global_buffer
      - .offset:         80
        .size:           4
        .value_kind:     hidden_block_count_x
      - .offset:         84
        .size:           4
        .value_kind:     hidden_block_count_y
      - .offset:         88
        .size:           4
        .value_kind:     hidden_block_count_z
      - .offset:         92
        .size:           2
        .value_kind:     hidden_group_size_x
      - .offset:         94
        .size:           2
        .value_kind:     hidden_group_size_y
      - .offset:         96
        .size:           2
        .value_kind:     hidden_group_size_z
      - .offset:         98
        .size:           2
        .value_kind:     hidden_remainder_x
      - .offset:         100
        .size:           2
        .value_kind:     hidden_remainder_y
      - .offset:         102
        .size:           2
        .value_kind:     hidden_remainder_z
      - .offset:         120
        .size:           8
        .value_kind:     hidden_global_offset_x
      - .offset:         128
        .size:           8
        .value_kind:     hidden_global_offset_y
      - .offset:         136
        .size:           8
        .value_kind:     hidden_global_offset_z
      - .offset:         144
        .size:           2
        .value_kind:     hidden_grid_dims
    .group_segment_fixed_size: 0
    .kernarg_segment_align: 8
    .kernarg_segment_size: 336
    .language:       OpenCL C
    .language_version:
      - 2
      - 0
    .max_flat_workgroup_size: 1024
    .name:           _ZN9rocsparseL35bsr2csr_block_dim_equals_one_kernelILj1024EfllEEvT2_S1_21rocsparse_index_base_PKT0_PKT1_PKS1_S2_PS3_PS6_PS1_
    .private_segment_fixed_size: 0
    .sgpr_count:     30
    .sgpr_spill_count: 0
    .symbol:         _ZN9rocsparseL35bsr2csr_block_dim_equals_one_kernelILj1024EfllEEvT2_S1_21rocsparse_index_base_PKT0_PKT1_PKS1_S2_PS3_PS6_PS1_.kd
    .uniform_work_group_size: 1
    .uses_dynamic_stack: false
    .vgpr_count:     21
    .vgpr_spill_count: 0
    .wavefront_size: 64
  - .agpr_count:     0
    .args:
      - .offset:         0
        .size:           4
        .value_kind:     by_value
      - .offset:         8
        .size:           8
        .value_kind:     by_value
      - .offset:         16
        .size:           8
        .value_kind:     by_value
      - .offset:         24
        .size:           4
        .value_kind:     by_value
      - .actual_access:  read_only
        .address_space:  global
        .offset:         32
        .size:           8
        .value_kind:     global_buffer
      - .actual_access:  read_only
        .address_space:  global
        .offset:         40
        .size:           8
        .value_kind:     global_buffer
      - .actual_access:  read_only
        .address_space:  global
        .offset:         48
        .size:           8
        .value_kind:     global_buffer
      - .offset:         56
        .size:           8
        .value_kind:     by_value
      - .offset:         64
        .size:           4
        .value_kind:     by_value
      - .actual_access:  write_only
        .address_space:  global
        .offset:         72
        .size:           8
        .value_kind:     global_buffer
      - .actual_access:  write_only
        .address_space:  global
        .offset:         80
        .size:           8
        .value_kind:     global_buffer
      - .actual_access:  write_only
        .address_space:  global
        .offset:         88
        .size:           8
        .value_kind:     global_buffer
    .group_segment_fixed_size: 0
    .kernarg_segment_align: 8
    .kernarg_segment_size: 96
    .language:       OpenCL C
    .language_version:
      - 2
      - 0
    .max_flat_workgroup_size: 256
    .name:           _ZN9rocsparseL32bsr2csr_block_per_row_2_7_kernelILj256ELj2EfllEEv20rocsparse_direction_T3_S2_21rocsparse_index_base_PKT1_PKT2_PKS2_S2_S3_PS4_PS7_PS2_
    .private_segment_fixed_size: 0
    .sgpr_count:     28
    .sgpr_spill_count: 0
    .symbol:         _ZN9rocsparseL32bsr2csr_block_per_row_2_7_kernelILj256ELj2EfllEEv20rocsparse_direction_T3_S2_21rocsparse_index_base_PKT1_PKT2_PKS2_S2_S3_PS4_PS7_PS2_.kd
    .uniform_work_group_size: 1
    .uses_dynamic_stack: false
    .vgpr_count:     24
    .vgpr_spill_count: 0
    .wavefront_size: 64
  - .agpr_count:     0
    .args:
      - .offset:         0
        .size:           4
        .value_kind:     by_value
      - .offset:         8
        .size:           8
        .value_kind:     by_value
      - .offset:         16
        .size:           8
        .value_kind:     by_value
      - .offset:         24
        .size:           4
        .value_kind:     by_value
      - .actual_access:  read_only
        .address_space:  global
        .offset:         32
        .size:           8
        .value_kind:     global_buffer
      - .actual_access:  read_only
        .address_space:  global
        .offset:         40
        .size:           8
        .value_kind:     global_buffer
      - .actual_access:  read_only
        .address_space:  global
        .offset:         48
        .size:           8
        .value_kind:     global_buffer
      - .offset:         56
        .size:           8
        .value_kind:     by_value
      - .offset:         64
        .size:           4
        .value_kind:     by_value
      - .actual_access:  write_only
        .address_space:  global
        .offset:         72
        .size:           8
        .value_kind:     global_buffer
      - .actual_access:  write_only
        .address_space:  global
        .offset:         80
        .size:           8
        .value_kind:     global_buffer
      - .actual_access:  write_only
        .address_space:  global
        .offset:         88
        .size:           8
        .value_kind:     global_buffer
    .group_segment_fixed_size: 0
    .kernarg_segment_align: 8
    .kernarg_segment_size: 96
    .language:       OpenCL C
    .language_version:
      - 2
      - 0
    .max_flat_workgroup_size: 256
    .name:           _ZN9rocsparseL32bsr2csr_block_per_row_2_7_kernelILj256ELj3EfllEEv20rocsparse_direction_T3_S2_21rocsparse_index_base_PKT1_PKT2_PKS2_S2_S3_PS4_PS7_PS2_
    .private_segment_fixed_size: 0
    .sgpr_count:     26
    .sgpr_spill_count: 0
    .symbol:         _ZN9rocsparseL32bsr2csr_block_per_row_2_7_kernelILj256ELj3EfllEEv20rocsparse_direction_T3_S2_21rocsparse_index_base_PKT1_PKT2_PKS2_S2_S3_PS4_PS7_PS2_.kd
    .uniform_work_group_size: 1
    .uses_dynamic_stack: false
    .vgpr_count:     25
    .vgpr_spill_count: 0
    .wavefront_size: 64
  - .agpr_count:     0
    .args:
      - .offset:         0
        .size:           4
        .value_kind:     by_value
      - .offset:         8
        .size:           8
        .value_kind:     by_value
      - .offset:         16
        .size:           8
        .value_kind:     by_value
      - .offset:         24
        .size:           4
        .value_kind:     by_value
      - .actual_access:  read_only
        .address_space:  global
        .offset:         32
        .size:           8
        .value_kind:     global_buffer
      - .actual_access:  read_only
        .address_space:  global
        .offset:         40
        .size:           8
        .value_kind:     global_buffer
      - .actual_access:  read_only
        .address_space:  global
        .offset:         48
        .size:           8
        .value_kind:     global_buffer
      - .offset:         56
        .size:           8
        .value_kind:     by_value
      - .offset:         64
        .size:           4
        .value_kind:     by_value
      - .actual_access:  write_only
        .address_space:  global
        .offset:         72
        .size:           8
        .value_kind:     global_buffer
      - .actual_access:  write_only
        .address_space:  global
        .offset:         80
        .size:           8
        .value_kind:     global_buffer
      - .actual_access:  write_only
        .address_space:  global
        .offset:         88
        .size:           8
        .value_kind:     global_buffer
    .group_segment_fixed_size: 0
    .kernarg_segment_align: 8
    .kernarg_segment_size: 96
    .language:       OpenCL C
    .language_version:
      - 2
      - 0
    .max_flat_workgroup_size: 256
    .name:           _ZN9rocsparseL32bsr2csr_block_per_row_2_7_kernelILj256ELj4EfllEEv20rocsparse_direction_T3_S2_21rocsparse_index_base_PKT1_PKT2_PKS2_S2_S3_PS4_PS7_PS2_
    .private_segment_fixed_size: 0
    .sgpr_count:     34
    .sgpr_spill_count: 0
    .symbol:         _ZN9rocsparseL32bsr2csr_block_per_row_2_7_kernelILj256ELj4EfllEEv20rocsparse_direction_T3_S2_21rocsparse_index_base_PKT1_PKT2_PKS2_S2_S3_PS4_PS7_PS2_.kd
    .uniform_work_group_size: 1
    .uses_dynamic_stack: false
    .vgpr_count:     26
    .vgpr_spill_count: 0
    .wavefront_size: 64
  - .agpr_count:     0
    .args:
      - .offset:         0
        .size:           4
        .value_kind:     by_value
      - .offset:         8
        .size:           8
        .value_kind:     by_value
      - .offset:         16
        .size:           8
        .value_kind:     by_value
      - .offset:         24
        .size:           4
        .value_kind:     by_value
      - .actual_access:  read_only
        .address_space:  global
        .offset:         32
        .size:           8
        .value_kind:     global_buffer
      - .actual_access:  read_only
        .address_space:  global
        .offset:         40
        .size:           8
        .value_kind:     global_buffer
      - .actual_access:  read_only
        .address_space:  global
        .offset:         48
        .size:           8
        .value_kind:     global_buffer
      - .offset:         56
        .size:           8
        .value_kind:     by_value
      - .offset:         64
        .size:           4
        .value_kind:     by_value
      - .actual_access:  write_only
        .address_space:  global
        .offset:         72
        .size:           8
        .value_kind:     global_buffer
      - .actual_access:  write_only
        .address_space:  global
        .offset:         80
        .size:           8
        .value_kind:     global_buffer
      - .actual_access:  write_only
        .address_space:  global
        .offset:         88
        .size:           8
        .value_kind:     global_buffer
    .group_segment_fixed_size: 0
    .kernarg_segment_align: 8
    .kernarg_segment_size: 96
    .language:       OpenCL C
    .language_version:
      - 2
      - 0
    .max_flat_workgroup_size: 256
    .name:           _ZN9rocsparseL32bsr2csr_block_per_row_2_7_kernelILj256ELj5EfllEEv20rocsparse_direction_T3_S2_21rocsparse_index_base_PKT1_PKT2_PKS2_S2_S3_PS4_PS7_PS2_
    .private_segment_fixed_size: 0
    .sgpr_count:     26
    .sgpr_spill_count: 0
    .symbol:         _ZN9rocsparseL32bsr2csr_block_per_row_2_7_kernelILj256ELj5EfllEEv20rocsparse_direction_T3_S2_21rocsparse_index_base_PKT1_PKT2_PKS2_S2_S3_PS4_PS7_PS2_.kd
    .uniform_work_group_size: 1
    .uses_dynamic_stack: false
    .vgpr_count:     27
    .vgpr_spill_count: 0
    .wavefront_size: 64
  - .agpr_count:     0
    .args:
      - .offset:         0
        .size:           4
        .value_kind:     by_value
      - .offset:         8
        .size:           8
        .value_kind:     by_value
      - .offset:         16
        .size:           8
        .value_kind:     by_value
      - .offset:         24
        .size:           4
        .value_kind:     by_value
      - .actual_access:  read_only
        .address_space:  global
        .offset:         32
        .size:           8
        .value_kind:     global_buffer
      - .actual_access:  read_only
        .address_space:  global
        .offset:         40
        .size:           8
        .value_kind:     global_buffer
      - .actual_access:  read_only
        .address_space:  global
        .offset:         48
        .size:           8
        .value_kind:     global_buffer
      - .offset:         56
        .size:           8
        .value_kind:     by_value
      - .offset:         64
        .size:           4
        .value_kind:     by_value
      - .actual_access:  write_only
        .address_space:  global
        .offset:         72
        .size:           8
        .value_kind:     global_buffer
      - .actual_access:  write_only
        .address_space:  global
        .offset:         80
        .size:           8
        .value_kind:     global_buffer
      - .actual_access:  write_only
        .address_space:  global
        .offset:         88
        .size:           8
        .value_kind:     global_buffer
    .group_segment_fixed_size: 0
    .kernarg_segment_align: 8
    .kernarg_segment_size: 96
    .language:       OpenCL C
    .language_version:
      - 2
      - 0
    .max_flat_workgroup_size: 256
    .name:           _ZN9rocsparseL32bsr2csr_block_per_row_2_7_kernelILj256ELj6EfllEEv20rocsparse_direction_T3_S2_21rocsparse_index_base_PKT1_PKT2_PKS2_S2_S3_PS4_PS7_PS2_
    .private_segment_fixed_size: 0
    .sgpr_count:     26
    .sgpr_spill_count: 0
    .symbol:         _ZN9rocsparseL32bsr2csr_block_per_row_2_7_kernelILj256ELj6EfllEEv20rocsparse_direction_T3_S2_21rocsparse_index_base_PKT1_PKT2_PKS2_S2_S3_PS4_PS7_PS2_.kd
    .uniform_work_group_size: 1
    .uses_dynamic_stack: false
    .vgpr_count:     37
    .vgpr_spill_count: 0
    .wavefront_size: 64
  - .agpr_count:     0
    .args:
      - .offset:         0
        .size:           4
        .value_kind:     by_value
      - .offset:         8
        .size:           8
        .value_kind:     by_value
      - .offset:         16
        .size:           8
        .value_kind:     by_value
      - .offset:         24
        .size:           4
        .value_kind:     by_value
      - .actual_access:  read_only
        .address_space:  global
        .offset:         32
        .size:           8
        .value_kind:     global_buffer
      - .actual_access:  read_only
        .address_space:  global
        .offset:         40
        .size:           8
        .value_kind:     global_buffer
      - .actual_access:  read_only
        .address_space:  global
        .offset:         48
        .size:           8
        .value_kind:     global_buffer
      - .offset:         56
        .size:           8
        .value_kind:     by_value
      - .offset:         64
        .size:           4
        .value_kind:     by_value
      - .actual_access:  write_only
        .address_space:  global
        .offset:         72
        .size:           8
        .value_kind:     global_buffer
      - .actual_access:  write_only
        .address_space:  global
        .offset:         80
        .size:           8
        .value_kind:     global_buffer
      - .actual_access:  write_only
        .address_space:  global
        .offset:         88
        .size:           8
        .value_kind:     global_buffer
    .group_segment_fixed_size: 0
    .kernarg_segment_align: 8
    .kernarg_segment_size: 96
    .language:       OpenCL C
    .language_version:
      - 2
      - 0
    .max_flat_workgroup_size: 256
    .name:           _ZN9rocsparseL32bsr2csr_block_per_row_2_7_kernelILj256ELj7EfllEEv20rocsparse_direction_T3_S2_21rocsparse_index_base_PKT1_PKT2_PKS2_S2_S3_PS4_PS7_PS2_
    .private_segment_fixed_size: 0
    .sgpr_count:     26
    .sgpr_spill_count: 0
    .symbol:         _ZN9rocsparseL32bsr2csr_block_per_row_2_7_kernelILj256ELj7EfllEEv20rocsparse_direction_T3_S2_21rocsparse_index_base_PKT1_PKT2_PKS2_S2_S3_PS4_PS7_PS2_.kd
    .uniform_work_group_size: 1
    .uses_dynamic_stack: false
    .vgpr_count:     30
    .vgpr_spill_count: 0
    .wavefront_size: 64
  - .agpr_count:     0
    .args:
      - .offset:         0
        .size:           4
        .value_kind:     by_value
      - .offset:         8
        .size:           8
        .value_kind:     by_value
      - .offset:         16
        .size:           8
        .value_kind:     by_value
      - .offset:         24
        .size:           4
        .value_kind:     by_value
      - .actual_access:  read_only
        .address_space:  global
        .offset:         32
        .size:           8
        .value_kind:     global_buffer
      - .actual_access:  read_only
        .address_space:  global
        .offset:         40
        .size:           8
        .value_kind:     global_buffer
      - .actual_access:  read_only
        .address_space:  global
        .offset:         48
        .size:           8
        .value_kind:     global_buffer
      - .offset:         56
        .size:           8
        .value_kind:     by_value
      - .offset:         64
        .size:           4
        .value_kind:     by_value
      - .actual_access:  write_only
        .address_space:  global
        .offset:         72
        .size:           8
        .value_kind:     global_buffer
      - .actual_access:  write_only
        .address_space:  global
        .offset:         80
        .size:           8
        .value_kind:     global_buffer
      - .actual_access:  write_only
        .address_space:  global
        .offset:         88
        .size:           8
        .value_kind:     global_buffer
    .group_segment_fixed_size: 0
    .kernarg_segment_align: 8
    .kernarg_segment_size: 96
    .language:       OpenCL C
    .language_version:
      - 2
      - 0
    .max_flat_workgroup_size: 1024
    .name:           _ZN9rocsparseL33bsr2csr_block_per_row_8_32_kernelILj1024ELj8EfllEEv20rocsparse_direction_T3_S2_21rocsparse_index_base_PKT1_PKT2_PKS2_S2_S3_PS4_PS7_PS2_
    .private_segment_fixed_size: 0
    .sgpr_count:     29
    .sgpr_spill_count: 0
    .symbol:         _ZN9rocsparseL33bsr2csr_block_per_row_8_32_kernelILj1024ELj8EfllEEv20rocsparse_direction_T3_S2_21rocsparse_index_base_PKT1_PKT2_PKS2_S2_S3_PS4_PS7_PS2_.kd
    .uniform_work_group_size: 1
    .uses_dynamic_stack: false
    .vgpr_count:     19
    .vgpr_spill_count: 0
    .wavefront_size: 64
  - .agpr_count:     0
    .args:
      - .offset:         0
        .size:           4
        .value_kind:     by_value
      - .offset:         8
        .size:           8
        .value_kind:     by_value
      - .offset:         16
        .size:           8
        .value_kind:     by_value
      - .offset:         24
        .size:           4
        .value_kind:     by_value
      - .actual_access:  read_only
        .address_space:  global
        .offset:         32
        .size:           8
        .value_kind:     global_buffer
      - .actual_access:  read_only
        .address_space:  global
        .offset:         40
        .size:           8
        .value_kind:     global_buffer
      - .actual_access:  read_only
        .address_space:  global
        .offset:         48
        .size:           8
        .value_kind:     global_buffer
      - .offset:         56
        .size:           8
        .value_kind:     by_value
      - .offset:         64
        .size:           4
        .value_kind:     by_value
      - .actual_access:  write_only
        .address_space:  global
        .offset:         72
        .size:           8
        .value_kind:     global_buffer
      - .actual_access:  write_only
        .address_space:  global
        .offset:         80
        .size:           8
        .value_kind:     global_buffer
      - .actual_access:  write_only
        .address_space:  global
        .offset:         88
        .size:           8
        .value_kind:     global_buffer
    .group_segment_fixed_size: 0
    .kernarg_segment_align: 8
    .kernarg_segment_size: 96
    .language:       OpenCL C
    .language_version:
      - 2
      - 0
    .max_flat_workgroup_size: 1024
    .name:           _ZN9rocsparseL33bsr2csr_block_per_row_8_32_kernelILj1024ELj16EfllEEv20rocsparse_direction_T3_S2_21rocsparse_index_base_PKT1_PKT2_PKS2_S2_S3_PS4_PS7_PS2_
    .private_segment_fixed_size: 0
    .sgpr_count:     29
    .sgpr_spill_count: 0
    .symbol:         _ZN9rocsparseL33bsr2csr_block_per_row_8_32_kernelILj1024ELj16EfllEEv20rocsparse_direction_T3_S2_21rocsparse_index_base_PKT1_PKT2_PKS2_S2_S3_PS4_PS7_PS2_.kd
    .uniform_work_group_size: 1
    .uses_dynamic_stack: false
    .vgpr_count:     19
    .vgpr_spill_count: 0
    .wavefront_size: 64
  - .agpr_count:     0
    .args:
      - .offset:         0
        .size:           4
        .value_kind:     by_value
      - .offset:         8
        .size:           8
        .value_kind:     by_value
      - .offset:         16
        .size:           8
        .value_kind:     by_value
      - .offset:         24
        .size:           4
        .value_kind:     by_value
      - .actual_access:  read_only
        .address_space:  global
        .offset:         32
        .size:           8
        .value_kind:     global_buffer
      - .actual_access:  read_only
        .address_space:  global
        .offset:         40
        .size:           8
        .value_kind:     global_buffer
      - .actual_access:  read_only
        .address_space:  global
        .offset:         48
        .size:           8
        .value_kind:     global_buffer
      - .offset:         56
        .size:           8
        .value_kind:     by_value
      - .offset:         64
        .size:           4
        .value_kind:     by_value
      - .actual_access:  write_only
        .address_space:  global
        .offset:         72
        .size:           8
        .value_kind:     global_buffer
      - .actual_access:  write_only
        .address_space:  global
        .offset:         80
        .size:           8
        .value_kind:     global_buffer
      - .actual_access:  write_only
        .address_space:  global
        .offset:         88
        .size:           8
        .value_kind:     global_buffer
    .group_segment_fixed_size: 0
    .kernarg_segment_align: 8
    .kernarg_segment_size: 96
    .language:       OpenCL C
    .language_version:
      - 2
      - 0
    .max_flat_workgroup_size: 1024
    .name:           _ZN9rocsparseL33bsr2csr_block_per_row_8_32_kernelILj1024ELj32EfllEEv20rocsparse_direction_T3_S2_21rocsparse_index_base_PKT1_PKT2_PKS2_S2_S3_PS4_PS7_PS2_
    .private_segment_fixed_size: 0
    .sgpr_count:     33
    .sgpr_spill_count: 0
    .symbol:         _ZN9rocsparseL33bsr2csr_block_per_row_8_32_kernelILj1024ELj32EfllEEv20rocsparse_direction_T3_S2_21rocsparse_index_base_PKT1_PKT2_PKS2_S2_S3_PS4_PS7_PS2_.kd
    .uniform_work_group_size: 1
    .uses_dynamic_stack: false
    .vgpr_count:     17
    .vgpr_spill_count: 0
    .wavefront_size: 64
  - .agpr_count:     0
    .args:
      - .offset:         0
        .size:           4
        .value_kind:     by_value
      - .offset:         8
        .size:           8
        .value_kind:     by_value
      - .offset:         16
        .size:           8
        .value_kind:     by_value
      - .offset:         24
        .size:           4
        .value_kind:     by_value
      - .actual_access:  read_only
        .address_space:  global
        .offset:         32
        .size:           8
        .value_kind:     global_buffer
      - .actual_access:  read_only
        .address_space:  global
        .offset:         40
        .size:           8
        .value_kind:     global_buffer
      - .actual_access:  read_only
        .address_space:  global
        .offset:         48
        .size:           8
        .value_kind:     global_buffer
      - .offset:         56
        .size:           8
        .value_kind:     by_value
      - .offset:         64
        .size:           4
        .value_kind:     by_value
      - .actual_access:  write_only
        .address_space:  global
        .offset:         72
        .size:           8
        .value_kind:     global_buffer
      - .actual_access:  write_only
        .address_space:  global
        .offset:         80
        .size:           8
        .value_kind:     global_buffer
      - .actual_access:  write_only
        .address_space:  global
        .offset:         88
        .size:           8
        .value_kind:     global_buffer
    .group_segment_fixed_size: 0
    .kernarg_segment_align: 8
    .kernarg_segment_size: 96
    .language:       OpenCL C
    .language_version:
      - 2
      - 0
    .max_flat_workgroup_size: 1024
    .name:           _ZN9rocsparseL35bsr2csr_block_per_row_33_256_kernelILj1024ELj64ELj32EfllEEv20rocsparse_direction_T4_S2_21rocsparse_index_base_PKT2_PKT3_PKS2_S2_S3_PS4_PS7_PS2_
    .private_segment_fixed_size: 0
    .sgpr_count:     46
    .sgpr_spill_count: 0
    .symbol:         _ZN9rocsparseL35bsr2csr_block_per_row_33_256_kernelILj1024ELj64ELj32EfllEEv20rocsparse_direction_T4_S2_21rocsparse_index_base_PKT2_PKT3_PKS2_S2_S3_PS4_PS7_PS2_.kd
    .uniform_work_group_size: 1
    .uses_dynamic_stack: false
    .vgpr_count:     27
    .vgpr_spill_count: 0
    .wavefront_size: 64
  - .agpr_count:     0
    .args:
      - .offset:         0
        .size:           4
        .value_kind:     by_value
      - .offset:         8
        .size:           8
        .value_kind:     by_value
      - .offset:         16
        .size:           8
        .value_kind:     by_value
      - .offset:         24
        .size:           4
        .value_kind:     by_value
      - .actual_access:  read_only
        .address_space:  global
        .offset:         32
        .size:           8
        .value_kind:     global_buffer
      - .actual_access:  read_only
        .address_space:  global
        .offset:         40
        .size:           8
        .value_kind:     global_buffer
      - .actual_access:  read_only
        .address_space:  global
        .offset:         48
        .size:           8
        .value_kind:     global_buffer
      - .offset:         56
        .size:           8
        .value_kind:     by_value
      - .offset:         64
        .size:           4
        .value_kind:     by_value
      - .actual_access:  write_only
        .address_space:  global
        .offset:         72
        .size:           8
        .value_kind:     global_buffer
      - .actual_access:  write_only
        .address_space:  global
        .offset:         80
        .size:           8
        .value_kind:     global_buffer
      - .actual_access:  write_only
        .address_space:  global
        .offset:         88
        .size:           8
        .value_kind:     global_buffer
    .group_segment_fixed_size: 0
    .kernarg_segment_align: 8
    .kernarg_segment_size: 96
    .language:       OpenCL C
    .language_version:
      - 2
      - 0
    .max_flat_workgroup_size: 1024
    .name:           _ZN9rocsparseL35bsr2csr_block_per_row_33_256_kernelILj1024ELj128ELj32EfllEEv20rocsparse_direction_T4_S2_21rocsparse_index_base_PKT2_PKT3_PKS2_S2_S3_PS4_PS7_PS2_
    .private_segment_fixed_size: 0
    .sgpr_count:     73
    .sgpr_spill_count: 0
    .symbol:         _ZN9rocsparseL35bsr2csr_block_per_row_33_256_kernelILj1024ELj128ELj32EfllEEv20rocsparse_direction_T4_S2_21rocsparse_index_base_PKT2_PKT3_PKS2_S2_S3_PS4_PS7_PS2_.kd
    .uniform_work_group_size: 1
    .uses_dynamic_stack: false
    .vgpr_count:     48
    .vgpr_spill_count: 0
    .wavefront_size: 64
  - .agpr_count:     0
    .args:
      - .offset:         0
        .size:           4
        .value_kind:     by_value
      - .offset:         8
        .size:           8
        .value_kind:     by_value
      - .offset:         16
        .size:           8
        .value_kind:     by_value
      - .offset:         24
        .size:           4
        .value_kind:     by_value
      - .actual_access:  read_only
        .address_space:  global
        .offset:         32
        .size:           8
        .value_kind:     global_buffer
      - .actual_access:  read_only
        .address_space:  global
        .offset:         40
        .size:           8
        .value_kind:     global_buffer
      - .actual_access:  read_only
        .address_space:  global
        .offset:         48
        .size:           8
        .value_kind:     global_buffer
      - .offset:         56
        .size:           8
        .value_kind:     by_value
      - .offset:         64
        .size:           4
        .value_kind:     by_value
      - .actual_access:  write_only
        .address_space:  global
        .offset:         72
        .size:           8
        .value_kind:     global_buffer
      - .actual_access:  write_only
        .address_space:  global
        .offset:         80
        .size:           8
        .value_kind:     global_buffer
      - .actual_access:  write_only
        .address_space:  global
        .offset:         88
        .size:           8
        .value_kind:     global_buffer
    .group_segment_fixed_size: 0
    .kernarg_segment_align: 8
    .kernarg_segment_size: 96
    .language:       OpenCL C
    .language_version:
      - 2
      - 0
    .max_flat_workgroup_size: 1024
    .name:           _ZN9rocsparseL35bsr2csr_block_per_row_33_256_kernelILj1024ELj256ELj32EfllEEv20rocsparse_direction_T4_S2_21rocsparse_index_base_PKT2_PKT3_PKS2_S2_S3_PS4_PS7_PS2_
    .private_segment_fixed_size: 0
    .sgpr_count:     100
    .sgpr_spill_count: 104
    .symbol:         _ZN9rocsparseL35bsr2csr_block_per_row_33_256_kernelILj1024ELj256ELj32EfllEEv20rocsparse_direction_T4_S2_21rocsparse_index_base_PKT2_PKT3_PKS2_S2_S3_PS4_PS7_PS2_.kd
    .uniform_work_group_size: 1
    .uses_dynamic_stack: false
    .vgpr_count:     76
    .vgpr_spill_count: 0
    .wavefront_size: 64
  - .agpr_count:     0
    .args:
      - .offset:         0
        .size:           4
        .value_kind:     by_value
      - .offset:         4
        .size:           4
        .value_kind:     by_value
      - .offset:         8
        .size:           4
        .value_kind:     by_value
      - .actual_access:  read_only
        .address_space:  global
        .offset:         16
        .size:           8
        .value_kind:     global_buffer
      - .actual_access:  read_only
        .address_space:  global
        .offset:         24
        .size:           8
        .value_kind:     global_buffer
      - .actual_access:  read_only
        .address_space:  global
        .offset:         32
        .size:           8
        .value_kind:     global_buffer
      - .offset:         40
        .size:           4
        .value_kind:     by_value
      - .actual_access:  write_only
        .address_space:  global
        .offset:         48
        .size:           8
        .value_kind:     global_buffer
      - .actual_access:  write_only
        .address_space:  global
        .offset:         56
        .size:           8
        .value_kind:     global_buffer
      - .actual_access:  write_only
        .address_space:  global
        .offset:         64
        .size:           8
        .value_kind:     global_buffer
      - .offset:         72
        .size:           4
        .value_kind:     hidden_block_count_x
      - .offset:         76
        .size:           4
        .value_kind:     hidden_block_count_y
      - .offset:         80
        .size:           4
        .value_kind:     hidden_block_count_z
      - .offset:         84
        .size:           2
        .value_kind:     hidden_group_size_x
      - .offset:         86
        .size:           2
        .value_kind:     hidden_group_size_y
      - .offset:         88
        .size:           2
        .value_kind:     hidden_group_size_z
      - .offset:         90
        .size:           2
        .value_kind:     hidden_remainder_x
      - .offset:         92
        .size:           2
        .value_kind:     hidden_remainder_y
      - .offset:         94
        .size:           2
        .value_kind:     hidden_remainder_z
      - .offset:         112
        .size:           8
        .value_kind:     hidden_global_offset_x
      - .offset:         120
        .size:           8
        .value_kind:     hidden_global_offset_y
      - .offset:         128
        .size:           8
        .value_kind:     hidden_global_offset_z
      - .offset:         136
        .size:           2
        .value_kind:     hidden_grid_dims
    .group_segment_fixed_size: 0
    .kernarg_segment_align: 8
    .kernarg_segment_size: 328
    .language:       OpenCL C
    .language_version:
      - 2
      - 0
    .max_flat_workgroup_size: 1024
    .name:           _ZN9rocsparseL35bsr2csr_block_dim_equals_one_kernelILj1024E21rocsparse_complex_numIfEiiEEvT2_S3_21rocsparse_index_base_PKT0_PKT1_PKS3_S4_PS5_PS8_PS3_
    .private_segment_fixed_size: 0
    .sgpr_count:     27
    .sgpr_spill_count: 0
    .symbol:         _ZN9rocsparseL35bsr2csr_block_dim_equals_one_kernelILj1024E21rocsparse_complex_numIfEiiEEvT2_S3_21rocsparse_index_base_PKT0_PKT1_PKS3_S4_PS5_PS8_PS3_.kd
    .uniform_work_group_size: 1
    .uses_dynamic_stack: false
    .vgpr_count:     13
    .vgpr_spill_count: 0
    .wavefront_size: 64
  - .agpr_count:     0
    .args:
      - .offset:         0
        .size:           4
        .value_kind:     by_value
      - .offset:         4
        .size:           4
        .value_kind:     by_value
      - .offset:         8
        .size:           4
        .value_kind:     by_value
      - .offset:         12
        .size:           4
        .value_kind:     by_value
      - .actual_access:  read_only
        .address_space:  global
        .offset:         16
        .size:           8
        .value_kind:     global_buffer
      - .actual_access:  read_only
        .address_space:  global
        .offset:         24
        .size:           8
        .value_kind:     global_buffer
      - .actual_access:  read_only
        .address_space:  global
        .offset:         32
        .size:           8
        .value_kind:     global_buffer
      - .offset:         40
        .size:           4
        .value_kind:     by_value
      - .offset:         44
        .size:           4
        .value_kind:     by_value
      - .actual_access:  write_only
        .address_space:  global
        .offset:         48
        .size:           8
        .value_kind:     global_buffer
      - .actual_access:  write_only
        .address_space:  global
        .offset:         56
        .size:           8
        .value_kind:     global_buffer
      - .actual_access:  write_only
        .address_space:  global
        .offset:         64
        .size:           8
        .value_kind:     global_buffer
    .group_segment_fixed_size: 0
    .kernarg_segment_align: 8
    .kernarg_segment_size: 72
    .language:       OpenCL C
    .language_version:
      - 2
      - 0
    .max_flat_workgroup_size: 256
    .name:           _ZN9rocsparseL32bsr2csr_block_per_row_2_7_kernelILj256ELj2E21rocsparse_complex_numIfEiiEEv20rocsparse_direction_T3_S4_21rocsparse_index_base_PKT1_PKT2_PKS4_S4_S5_PS6_PS9_PS4_
    .private_segment_fixed_size: 0
    .sgpr_count:     19
    .sgpr_spill_count: 0
    .symbol:         _ZN9rocsparseL32bsr2csr_block_per_row_2_7_kernelILj256ELj2E21rocsparse_complex_numIfEiiEEv20rocsparse_direction_T3_S4_21rocsparse_index_base_PKT1_PKT2_PKS4_S4_S5_PS6_PS9_PS4_.kd
    .uniform_work_group_size: 1
    .uses_dynamic_stack: false
    .vgpr_count:     22
    .vgpr_spill_count: 0
    .wavefront_size: 64
  - .agpr_count:     0
    .args:
      - .offset:         0
        .size:           4
        .value_kind:     by_value
      - .offset:         4
        .size:           4
        .value_kind:     by_value
      - .offset:         8
        .size:           4
        .value_kind:     by_value
      - .offset:         12
        .size:           4
        .value_kind:     by_value
      - .actual_access:  read_only
        .address_space:  global
        .offset:         16
        .size:           8
        .value_kind:     global_buffer
      - .actual_access:  read_only
        .address_space:  global
        .offset:         24
        .size:           8
        .value_kind:     global_buffer
      - .actual_access:  read_only
        .address_space:  global
        .offset:         32
        .size:           8
        .value_kind:     global_buffer
      - .offset:         40
        .size:           4
        .value_kind:     by_value
      - .offset:         44
        .size:           4
        .value_kind:     by_value
      - .actual_access:  write_only
        .address_space:  global
        .offset:         48
        .size:           8
        .value_kind:     global_buffer
      - .actual_access:  write_only
        .address_space:  global
        .offset:         56
        .size:           8
        .value_kind:     global_buffer
      - .actual_access:  write_only
        .address_space:  global
        .offset:         64
        .size:           8
        .value_kind:     global_buffer
    .group_segment_fixed_size: 0
    .kernarg_segment_align: 8
    .kernarg_segment_size: 72
    .language:       OpenCL C
    .language_version:
      - 2
      - 0
    .max_flat_workgroup_size: 256
    .name:           _ZN9rocsparseL32bsr2csr_block_per_row_2_7_kernelILj256ELj3E21rocsparse_complex_numIfEiiEEv20rocsparse_direction_T3_S4_21rocsparse_index_base_PKT1_PKT2_PKS4_S4_S5_PS6_PS9_PS4_
    .private_segment_fixed_size: 0
    .sgpr_count:     20
    .sgpr_spill_count: 0
    .symbol:         _ZN9rocsparseL32bsr2csr_block_per_row_2_7_kernelILj256ELj3E21rocsparse_complex_numIfEiiEEv20rocsparse_direction_T3_S4_21rocsparse_index_base_PKT1_PKT2_PKS4_S4_S5_PS6_PS9_PS4_.kd
    .uniform_work_group_size: 1
    .uses_dynamic_stack: false
    .vgpr_count:     28
    .vgpr_spill_count: 0
    .wavefront_size: 64
  - .agpr_count:     0
    .args:
      - .offset:         0
        .size:           4
        .value_kind:     by_value
      - .offset:         4
        .size:           4
        .value_kind:     by_value
      - .offset:         8
        .size:           4
        .value_kind:     by_value
      - .offset:         12
        .size:           4
        .value_kind:     by_value
      - .actual_access:  read_only
        .address_space:  global
        .offset:         16
        .size:           8
        .value_kind:     global_buffer
      - .actual_access:  read_only
        .address_space:  global
        .offset:         24
        .size:           8
        .value_kind:     global_buffer
      - .actual_access:  read_only
        .address_space:  global
        .offset:         32
        .size:           8
        .value_kind:     global_buffer
      - .offset:         40
        .size:           4
        .value_kind:     by_value
      - .offset:         44
        .size:           4
        .value_kind:     by_value
      - .actual_access:  write_only
        .address_space:  global
        .offset:         48
        .size:           8
        .value_kind:     global_buffer
      - .actual_access:  write_only
        .address_space:  global
        .offset:         56
        .size:           8
        .value_kind:     global_buffer
      - .actual_access:  write_only
        .address_space:  global
        .offset:         64
        .size:           8
        .value_kind:     global_buffer
    .group_segment_fixed_size: 0
    .kernarg_segment_align: 8
    .kernarg_segment_size: 72
    .language:       OpenCL C
    .language_version:
      - 2
      - 0
    .max_flat_workgroup_size: 256
    .name:           _ZN9rocsparseL32bsr2csr_block_per_row_2_7_kernelILj256ELj4E21rocsparse_complex_numIfEiiEEv20rocsparse_direction_T3_S4_21rocsparse_index_base_PKT1_PKT2_PKS4_S4_S5_PS6_PS9_PS4_
    .private_segment_fixed_size: 0
    .sgpr_count:     19
    .sgpr_spill_count: 0
    .symbol:         _ZN9rocsparseL32bsr2csr_block_per_row_2_7_kernelILj256ELj4E21rocsparse_complex_numIfEiiEEv20rocsparse_direction_T3_S4_21rocsparse_index_base_PKT1_PKT2_PKS4_S4_S5_PS6_PS9_PS4_.kd
    .uniform_work_group_size: 1
    .uses_dynamic_stack: false
    .vgpr_count:     30
    .vgpr_spill_count: 0
    .wavefront_size: 64
  - .agpr_count:     0
    .args:
      - .offset:         0
        .size:           4
        .value_kind:     by_value
      - .offset:         4
        .size:           4
        .value_kind:     by_value
      - .offset:         8
        .size:           4
        .value_kind:     by_value
      - .offset:         12
        .size:           4
        .value_kind:     by_value
      - .actual_access:  read_only
        .address_space:  global
        .offset:         16
        .size:           8
        .value_kind:     global_buffer
      - .actual_access:  read_only
        .address_space:  global
        .offset:         24
        .size:           8
        .value_kind:     global_buffer
      - .actual_access:  read_only
        .address_space:  global
        .offset:         32
        .size:           8
        .value_kind:     global_buffer
      - .offset:         40
        .size:           4
        .value_kind:     by_value
      - .offset:         44
        .size:           4
        .value_kind:     by_value
      - .actual_access:  write_only
        .address_space:  global
        .offset:         48
        .size:           8
        .value_kind:     global_buffer
      - .actual_access:  write_only
        .address_space:  global
        .offset:         56
        .size:           8
        .value_kind:     global_buffer
      - .actual_access:  write_only
        .address_space:  global
        .offset:         64
        .size:           8
        .value_kind:     global_buffer
    .group_segment_fixed_size: 0
    .kernarg_segment_align: 8
    .kernarg_segment_size: 72
    .language:       OpenCL C
    .language_version:
      - 2
      - 0
    .max_flat_workgroup_size: 256
    .name:           _ZN9rocsparseL32bsr2csr_block_per_row_2_7_kernelILj256ELj5E21rocsparse_complex_numIfEiiEEv20rocsparse_direction_T3_S4_21rocsparse_index_base_PKT1_PKT2_PKS4_S4_S5_PS6_PS9_PS4_
    .private_segment_fixed_size: 0
    .sgpr_count:     20
    .sgpr_spill_count: 0
    .symbol:         _ZN9rocsparseL32bsr2csr_block_per_row_2_7_kernelILj256ELj5E21rocsparse_complex_numIfEiiEEv20rocsparse_direction_T3_S4_21rocsparse_index_base_PKT1_PKT2_PKS4_S4_S5_PS6_PS9_PS4_.kd
    .uniform_work_group_size: 1
    .uses_dynamic_stack: false
    .vgpr_count:     32
    .vgpr_spill_count: 0
    .wavefront_size: 64
  - .agpr_count:     0
    .args:
      - .offset:         0
        .size:           4
        .value_kind:     by_value
      - .offset:         4
        .size:           4
        .value_kind:     by_value
      - .offset:         8
        .size:           4
        .value_kind:     by_value
      - .offset:         12
        .size:           4
        .value_kind:     by_value
      - .actual_access:  read_only
        .address_space:  global
        .offset:         16
        .size:           8
        .value_kind:     global_buffer
      - .actual_access:  read_only
        .address_space:  global
        .offset:         24
        .size:           8
        .value_kind:     global_buffer
      - .actual_access:  read_only
        .address_space:  global
        .offset:         32
        .size:           8
        .value_kind:     global_buffer
      - .offset:         40
        .size:           4
        .value_kind:     by_value
      - .offset:         44
        .size:           4
        .value_kind:     by_value
      - .actual_access:  write_only
        .address_space:  global
        .offset:         48
        .size:           8
        .value_kind:     global_buffer
      - .actual_access:  write_only
        .address_space:  global
        .offset:         56
        .size:           8
        .value_kind:     global_buffer
      - .actual_access:  write_only
        .address_space:  global
        .offset:         64
        .size:           8
        .value_kind:     global_buffer
    .group_segment_fixed_size: 0
    .kernarg_segment_align: 8
    .kernarg_segment_size: 72
    .language:       OpenCL C
    .language_version:
      - 2
      - 0
    .max_flat_workgroup_size: 256
    .name:           _ZN9rocsparseL32bsr2csr_block_per_row_2_7_kernelILj256ELj6E21rocsparse_complex_numIfEiiEEv20rocsparse_direction_T3_S4_21rocsparse_index_base_PKT1_PKT2_PKS4_S4_S5_PS6_PS9_PS4_
    .private_segment_fixed_size: 0
    .sgpr_count:     20
    .sgpr_spill_count: 0
    .symbol:         _ZN9rocsparseL32bsr2csr_block_per_row_2_7_kernelILj256ELj6E21rocsparse_complex_numIfEiiEEv20rocsparse_direction_T3_S4_21rocsparse_index_base_PKT1_PKT2_PKS4_S4_S5_PS6_PS9_PS4_.kd
    .uniform_work_group_size: 1
    .uses_dynamic_stack: false
    .vgpr_count:     34
    .vgpr_spill_count: 0
    .wavefront_size: 64
  - .agpr_count:     0
    .args:
      - .offset:         0
        .size:           4
        .value_kind:     by_value
      - .offset:         4
        .size:           4
        .value_kind:     by_value
      - .offset:         8
        .size:           4
        .value_kind:     by_value
      - .offset:         12
        .size:           4
        .value_kind:     by_value
      - .actual_access:  read_only
        .address_space:  global
        .offset:         16
        .size:           8
        .value_kind:     global_buffer
      - .actual_access:  read_only
        .address_space:  global
        .offset:         24
        .size:           8
        .value_kind:     global_buffer
      - .actual_access:  read_only
        .address_space:  global
        .offset:         32
        .size:           8
        .value_kind:     global_buffer
      - .offset:         40
        .size:           4
        .value_kind:     by_value
      - .offset:         44
        .size:           4
        .value_kind:     by_value
      - .actual_access:  write_only
        .address_space:  global
        .offset:         48
        .size:           8
        .value_kind:     global_buffer
      - .actual_access:  write_only
        .address_space:  global
        .offset:         56
        .size:           8
        .value_kind:     global_buffer
      - .actual_access:  write_only
        .address_space:  global
        .offset:         64
        .size:           8
        .value_kind:     global_buffer
    .group_segment_fixed_size: 0
    .kernarg_segment_align: 8
    .kernarg_segment_size: 72
    .language:       OpenCL C
    .language_version:
      - 2
      - 0
    .max_flat_workgroup_size: 256
    .name:           _ZN9rocsparseL32bsr2csr_block_per_row_2_7_kernelILj256ELj7E21rocsparse_complex_numIfEiiEEv20rocsparse_direction_T3_S4_21rocsparse_index_base_PKT1_PKT2_PKS4_S4_S5_PS6_PS9_PS4_
    .private_segment_fixed_size: 0
    .sgpr_count:     20
    .sgpr_spill_count: 0
    .symbol:         _ZN9rocsparseL32bsr2csr_block_per_row_2_7_kernelILj256ELj7E21rocsparse_complex_numIfEiiEEv20rocsparse_direction_T3_S4_21rocsparse_index_base_PKT1_PKT2_PKS4_S4_S5_PS6_PS9_PS4_.kd
    .uniform_work_group_size: 1
    .uses_dynamic_stack: false
    .vgpr_count:     36
    .vgpr_spill_count: 0
    .wavefront_size: 64
  - .agpr_count:     0
    .args:
      - .offset:         0
        .size:           4
        .value_kind:     by_value
      - .offset:         4
        .size:           4
        .value_kind:     by_value
      - .offset:         8
        .size:           4
        .value_kind:     by_value
      - .offset:         12
        .size:           4
        .value_kind:     by_value
      - .actual_access:  read_only
        .address_space:  global
        .offset:         16
        .size:           8
        .value_kind:     global_buffer
      - .actual_access:  read_only
        .address_space:  global
        .offset:         24
        .size:           8
        .value_kind:     global_buffer
      - .actual_access:  read_only
        .address_space:  global
        .offset:         32
        .size:           8
        .value_kind:     global_buffer
      - .offset:         40
        .size:           4
        .value_kind:     by_value
      - .offset:         44
        .size:           4
        .value_kind:     by_value
      - .actual_access:  write_only
        .address_space:  global
        .offset:         48
        .size:           8
        .value_kind:     global_buffer
      - .actual_access:  write_only
        .address_space:  global
        .offset:         56
        .size:           8
        .value_kind:     global_buffer
      - .actual_access:  write_only
        .address_space:  global
        .offset:         64
        .size:           8
        .value_kind:     global_buffer
    .group_segment_fixed_size: 0
    .kernarg_segment_align: 8
    .kernarg_segment_size: 72
    .language:       OpenCL C
    .language_version:
      - 2
      - 0
    .max_flat_workgroup_size: 1024
    .name:           _ZN9rocsparseL33bsr2csr_block_per_row_8_32_kernelILj1024ELj8E21rocsparse_complex_numIfEiiEEv20rocsparse_direction_T3_S4_21rocsparse_index_base_PKT1_PKT2_PKS4_S4_S5_PS6_PS9_PS4_
    .private_segment_fixed_size: 0
    .sgpr_count:     22
    .sgpr_spill_count: 0
    .symbol:         _ZN9rocsparseL33bsr2csr_block_per_row_8_32_kernelILj1024ELj8E21rocsparse_complex_numIfEiiEEv20rocsparse_direction_T3_S4_21rocsparse_index_base_PKT1_PKT2_PKS4_S4_S5_PS6_PS9_PS4_.kd
    .uniform_work_group_size: 1
    .uses_dynamic_stack: false
    .vgpr_count:     18
    .vgpr_spill_count: 0
    .wavefront_size: 64
  - .agpr_count:     0
    .args:
      - .offset:         0
        .size:           4
        .value_kind:     by_value
      - .offset:         4
        .size:           4
        .value_kind:     by_value
      - .offset:         8
        .size:           4
        .value_kind:     by_value
      - .offset:         12
        .size:           4
        .value_kind:     by_value
      - .actual_access:  read_only
        .address_space:  global
        .offset:         16
        .size:           8
        .value_kind:     global_buffer
      - .actual_access:  read_only
        .address_space:  global
        .offset:         24
        .size:           8
        .value_kind:     global_buffer
      - .actual_access:  read_only
        .address_space:  global
        .offset:         32
        .size:           8
        .value_kind:     global_buffer
      - .offset:         40
        .size:           4
        .value_kind:     by_value
      - .offset:         44
        .size:           4
        .value_kind:     by_value
      - .actual_access:  write_only
        .address_space:  global
        .offset:         48
        .size:           8
        .value_kind:     global_buffer
      - .actual_access:  write_only
        .address_space:  global
        .offset:         56
        .size:           8
        .value_kind:     global_buffer
      - .actual_access:  write_only
        .address_space:  global
        .offset:         64
        .size:           8
        .value_kind:     global_buffer
    .group_segment_fixed_size: 0
    .kernarg_segment_align: 8
    .kernarg_segment_size: 72
    .language:       OpenCL C
    .language_version:
      - 2
      - 0
    .max_flat_workgroup_size: 1024
    .name:           _ZN9rocsparseL33bsr2csr_block_per_row_8_32_kernelILj1024ELj16E21rocsparse_complex_numIfEiiEEv20rocsparse_direction_T3_S4_21rocsparse_index_base_PKT1_PKT2_PKS4_S4_S5_PS6_PS9_PS4_
    .private_segment_fixed_size: 0
    .sgpr_count:     22
    .sgpr_spill_count: 0
    .symbol:         _ZN9rocsparseL33bsr2csr_block_per_row_8_32_kernelILj1024ELj16E21rocsparse_complex_numIfEiiEEv20rocsparse_direction_T3_S4_21rocsparse_index_base_PKT1_PKT2_PKS4_S4_S5_PS6_PS9_PS4_.kd
    .uniform_work_group_size: 1
    .uses_dynamic_stack: false
    .vgpr_count:     18
    .vgpr_spill_count: 0
    .wavefront_size: 64
  - .agpr_count:     0
    .args:
      - .offset:         0
        .size:           4
        .value_kind:     by_value
      - .offset:         4
        .size:           4
        .value_kind:     by_value
      - .offset:         8
        .size:           4
        .value_kind:     by_value
      - .offset:         12
        .size:           4
        .value_kind:     by_value
      - .actual_access:  read_only
        .address_space:  global
        .offset:         16
        .size:           8
        .value_kind:     global_buffer
      - .actual_access:  read_only
        .address_space:  global
        .offset:         24
        .size:           8
        .value_kind:     global_buffer
      - .actual_access:  read_only
        .address_space:  global
        .offset:         32
        .size:           8
        .value_kind:     global_buffer
      - .offset:         40
        .size:           4
        .value_kind:     by_value
      - .offset:         44
        .size:           4
        .value_kind:     by_value
      - .actual_access:  write_only
        .address_space:  global
        .offset:         48
        .size:           8
        .value_kind:     global_buffer
      - .actual_access:  write_only
        .address_space:  global
        .offset:         56
        .size:           8
        .value_kind:     global_buffer
      - .actual_access:  write_only
        .address_space:  global
        .offset:         64
        .size:           8
        .value_kind:     global_buffer
    .group_segment_fixed_size: 0
    .kernarg_segment_align: 8
    .kernarg_segment_size: 72
    .language:       OpenCL C
    .language_version:
      - 2
      - 0
    .max_flat_workgroup_size: 1024
    .name:           _ZN9rocsparseL33bsr2csr_block_per_row_8_32_kernelILj1024ELj32E21rocsparse_complex_numIfEiiEEv20rocsparse_direction_T3_S4_21rocsparse_index_base_PKT1_PKT2_PKS4_S4_S5_PS6_PS9_PS4_
    .private_segment_fixed_size: 0
    .sgpr_count:     23
    .sgpr_spill_count: 0
    .symbol:         _ZN9rocsparseL33bsr2csr_block_per_row_8_32_kernelILj1024ELj32E21rocsparse_complex_numIfEiiEEv20rocsparse_direction_T3_S4_21rocsparse_index_base_PKT1_PKT2_PKS4_S4_S5_PS6_PS9_PS4_.kd
    .uniform_work_group_size: 1
    .uses_dynamic_stack: false
    .vgpr_count:     14
    .vgpr_spill_count: 0
    .wavefront_size: 64
  - .agpr_count:     0
    .args:
      - .offset:         0
        .size:           4
        .value_kind:     by_value
      - .offset:         4
        .size:           4
        .value_kind:     by_value
      - .offset:         8
        .size:           4
        .value_kind:     by_value
      - .offset:         12
        .size:           4
        .value_kind:     by_value
      - .actual_access:  read_only
        .address_space:  global
        .offset:         16
        .size:           8
        .value_kind:     global_buffer
      - .actual_access:  read_only
        .address_space:  global
        .offset:         24
        .size:           8
        .value_kind:     global_buffer
      - .actual_access:  read_only
        .address_space:  global
        .offset:         32
        .size:           8
        .value_kind:     global_buffer
      - .offset:         40
        .size:           4
        .value_kind:     by_value
      - .offset:         44
        .size:           4
        .value_kind:     by_value
      - .actual_access:  write_only
        .address_space:  global
        .offset:         48
        .size:           8
        .value_kind:     global_buffer
      - .actual_access:  write_only
        .address_space:  global
        .offset:         56
        .size:           8
        .value_kind:     global_buffer
      - .actual_access:  write_only
        .address_space:  global
        .offset:         64
        .size:           8
        .value_kind:     global_buffer
    .group_segment_fixed_size: 0
    .kernarg_segment_align: 8
    .kernarg_segment_size: 72
    .language:       OpenCL C
    .language_version:
      - 2
      - 0
    .max_flat_workgroup_size: 1024
    .name:           _ZN9rocsparseL35bsr2csr_block_per_row_33_256_kernelILj1024ELj64ELj32E21rocsparse_complex_numIfEiiEEv20rocsparse_direction_T4_S4_21rocsparse_index_base_PKT2_PKT3_PKS4_S4_S5_PS6_PS9_PS4_
    .private_segment_fixed_size: 0
    .sgpr_count:     34
    .sgpr_spill_count: 0
    .symbol:         _ZN9rocsparseL35bsr2csr_block_per_row_33_256_kernelILj1024ELj64ELj32E21rocsparse_complex_numIfEiiEEv20rocsparse_direction_T4_S4_21rocsparse_index_base_PKT2_PKT3_PKS4_S4_S5_PS6_PS9_PS4_.kd
    .uniform_work_group_size: 1
    .uses_dynamic_stack: false
    .vgpr_count:     20
    .vgpr_spill_count: 0
    .wavefront_size: 64
  - .agpr_count:     0
    .args:
      - .offset:         0
        .size:           4
        .value_kind:     by_value
      - .offset:         4
        .size:           4
        .value_kind:     by_value
      - .offset:         8
        .size:           4
        .value_kind:     by_value
      - .offset:         12
        .size:           4
        .value_kind:     by_value
      - .actual_access:  read_only
        .address_space:  global
        .offset:         16
        .size:           8
        .value_kind:     global_buffer
      - .actual_access:  read_only
        .address_space:  global
        .offset:         24
        .size:           8
        .value_kind:     global_buffer
      - .actual_access:  read_only
        .address_space:  global
        .offset:         32
        .size:           8
        .value_kind:     global_buffer
      - .offset:         40
        .size:           4
        .value_kind:     by_value
      - .offset:         44
        .size:           4
        .value_kind:     by_value
      - .actual_access:  write_only
        .address_space:  global
        .offset:         48
        .size:           8
        .value_kind:     global_buffer
      - .actual_access:  write_only
        .address_space:  global
        .offset:         56
        .size:           8
        .value_kind:     global_buffer
      - .actual_access:  write_only
        .address_space:  global
        .offset:         64
        .size:           8
        .value_kind:     global_buffer
    .group_segment_fixed_size: 0
    .kernarg_segment_align: 8
    .kernarg_segment_size: 72
    .language:       OpenCL C
    .language_version:
      - 2
      - 0
    .max_flat_workgroup_size: 1024
    .name:           _ZN9rocsparseL35bsr2csr_block_per_row_33_256_kernelILj1024ELj128ELj32E21rocsparse_complex_numIfEiiEEv20rocsparse_direction_T4_S4_21rocsparse_index_base_PKT2_PKT3_PKS4_S4_S5_PS6_PS9_PS4_
    .private_segment_fixed_size: 0
    .sgpr_count:     60
    .sgpr_spill_count: 0
    .symbol:         _ZN9rocsparseL35bsr2csr_block_per_row_33_256_kernelILj1024ELj128ELj32E21rocsparse_complex_numIfEiiEEv20rocsparse_direction_T4_S4_21rocsparse_index_base_PKT2_PKT3_PKS4_S4_S5_PS6_PS9_PS4_.kd
    .uniform_work_group_size: 1
    .uses_dynamic_stack: false
    .vgpr_count:     32
    .vgpr_spill_count: 0
    .wavefront_size: 64
  - .agpr_count:     0
    .args:
      - .offset:         0
        .size:           4
        .value_kind:     by_value
      - .offset:         4
        .size:           4
        .value_kind:     by_value
      - .offset:         8
        .size:           4
        .value_kind:     by_value
      - .offset:         12
        .size:           4
        .value_kind:     by_value
      - .actual_access:  read_only
        .address_space:  global
        .offset:         16
        .size:           8
        .value_kind:     global_buffer
      - .actual_access:  read_only
        .address_space:  global
        .offset:         24
        .size:           8
        .value_kind:     global_buffer
      - .actual_access:  read_only
        .address_space:  global
        .offset:         32
        .size:           8
        .value_kind:     global_buffer
      - .offset:         40
        .size:           4
        .value_kind:     by_value
      - .offset:         44
        .size:           4
        .value_kind:     by_value
      - .actual_access:  write_only
        .address_space:  global
        .offset:         48
        .size:           8
        .value_kind:     global_buffer
      - .actual_access:  write_only
        .address_space:  global
        .offset:         56
        .size:           8
        .value_kind:     global_buffer
      - .actual_access:  write_only
        .address_space:  global
        .offset:         64
        .size:           8
        .value_kind:     global_buffer
    .group_segment_fixed_size: 0
    .kernarg_segment_align: 8
    .kernarg_segment_size: 72
    .language:       OpenCL C
    .language_version:
      - 2
      - 0
    .max_flat_workgroup_size: 1024
    .name:           _ZN9rocsparseL35bsr2csr_block_per_row_33_256_kernelILj1024ELj256ELj32E21rocsparse_complex_numIfEiiEEv20rocsparse_direction_T4_S4_21rocsparse_index_base_PKT2_PKT3_PKS4_S4_S5_PS6_PS9_PS4_
    .private_segment_fixed_size: 0
    .sgpr_count:     100
    .sgpr_spill_count: 57
    .symbol:         _ZN9rocsparseL35bsr2csr_block_per_row_33_256_kernelILj1024ELj256ELj32E21rocsparse_complex_numIfEiiEEv20rocsparse_direction_T4_S4_21rocsparse_index_base_PKT2_PKT3_PKS4_S4_S5_PS6_PS9_PS4_.kd
    .uniform_work_group_size: 1
    .uses_dynamic_stack: false
    .vgpr_count:     58
    .vgpr_spill_count: 0
    .wavefront_size: 64
  - .agpr_count:     0
    .args:
      - .offset:         0
        .size:           4
        .value_kind:     by_value
      - .offset:         4
        .size:           4
        .value_kind:     by_value
      - .offset:         8
        .size:           4
        .value_kind:     by_value
      - .actual_access:  read_only
        .address_space:  global
        .offset:         16
        .size:           8
        .value_kind:     global_buffer
      - .actual_access:  read_only
        .address_space:  global
        .offset:         24
        .size:           8
        .value_kind:     global_buffer
      - .actual_access:  read_only
        .address_space:  global
        .offset:         32
        .size:           8
        .value_kind:     global_buffer
      - .offset:         40
        .size:           4
        .value_kind:     by_value
      - .actual_access:  write_only
        .address_space:  global
        .offset:         48
        .size:           8
        .value_kind:     global_buffer
      - .actual_access:  write_only
        .address_space:  global
        .offset:         56
        .size:           8
        .value_kind:     global_buffer
      - .actual_access:  write_only
        .address_space:  global
        .offset:         64
        .size:           8
        .value_kind:     global_buffer
      - .offset:         72
        .size:           4
        .value_kind:     hidden_block_count_x
      - .offset:         76
        .size:           4
        .value_kind:     hidden_block_count_y
      - .offset:         80
        .size:           4
        .value_kind:     hidden_block_count_z
      - .offset:         84
        .size:           2
        .value_kind:     hidden_group_size_x
      - .offset:         86
        .size:           2
        .value_kind:     hidden_group_size_y
      - .offset:         88
        .size:           2
        .value_kind:     hidden_group_size_z
      - .offset:         90
        .size:           2
        .value_kind:     hidden_remainder_x
      - .offset:         92
        .size:           2
        .value_kind:     hidden_remainder_y
      - .offset:         94
        .size:           2
        .value_kind:     hidden_remainder_z
      - .offset:         112
        .size:           8
        .value_kind:     hidden_global_offset_x
      - .offset:         120
        .size:           8
        .value_kind:     hidden_global_offset_y
      - .offset:         128
        .size:           8
        .value_kind:     hidden_global_offset_z
      - .offset:         136
        .size:           2
        .value_kind:     hidden_grid_dims
    .group_segment_fixed_size: 0
    .kernarg_segment_align: 8
    .kernarg_segment_size: 328
    .language:       OpenCL C
    .language_version:
      - 2
      - 0
    .max_flat_workgroup_size: 1024
    .name:           _ZN9rocsparseL35bsr2csr_block_dim_equals_one_kernelILj1024E21rocsparse_complex_numIfEliEEvT2_S3_21rocsparse_index_base_PKT0_PKT1_PKS3_S4_PS5_PS8_PS3_
    .private_segment_fixed_size: 0
    .sgpr_count:     32
    .sgpr_spill_count: 0
    .symbol:         _ZN9rocsparseL35bsr2csr_block_dim_equals_one_kernelILj1024E21rocsparse_complex_numIfEliEEvT2_S3_21rocsparse_index_base_PKT0_PKT1_PKS3_S4_PS5_PS8_PS3_.kd
    .uniform_work_group_size: 1
    .uses_dynamic_stack: false
    .vgpr_count:     17
    .vgpr_spill_count: 0
    .wavefront_size: 64
  - .agpr_count:     0
    .args:
      - .offset:         0
        .size:           4
        .value_kind:     by_value
      - .offset:         4
        .size:           4
        .value_kind:     by_value
      - .offset:         8
        .size:           4
        .value_kind:     by_value
      - .offset:         12
        .size:           4
        .value_kind:     by_value
      - .actual_access:  read_only
        .address_space:  global
        .offset:         16
        .size:           8
        .value_kind:     global_buffer
      - .actual_access:  read_only
        .address_space:  global
        .offset:         24
        .size:           8
        .value_kind:     global_buffer
      - .actual_access:  read_only
        .address_space:  global
        .offset:         32
        .size:           8
        .value_kind:     global_buffer
      - .offset:         40
        .size:           4
        .value_kind:     by_value
      - .offset:         44
        .size:           4
        .value_kind:     by_value
      - .actual_access:  write_only
        .address_space:  global
        .offset:         48
        .size:           8
        .value_kind:     global_buffer
      - .actual_access:  write_only
        .address_space:  global
        .offset:         56
        .size:           8
        .value_kind:     global_buffer
      - .actual_access:  write_only
        .address_space:  global
        .offset:         64
        .size:           8
        .value_kind:     global_buffer
    .group_segment_fixed_size: 0
    .kernarg_segment_align: 8
    .kernarg_segment_size: 72
    .language:       OpenCL C
    .language_version:
      - 2
      - 0
    .max_flat_workgroup_size: 256
    .name:           _ZN9rocsparseL32bsr2csr_block_per_row_2_7_kernelILj256ELj2E21rocsparse_complex_numIfEliEEv20rocsparse_direction_T3_S4_21rocsparse_index_base_PKT1_PKT2_PKS4_S4_S5_PS6_PS9_PS4_
    .private_segment_fixed_size: 0
    .sgpr_count:     28
    .sgpr_spill_count: 0
    .symbol:         _ZN9rocsparseL32bsr2csr_block_per_row_2_7_kernelILj256ELj2E21rocsparse_complex_numIfEliEEv20rocsparse_direction_T3_S4_21rocsparse_index_base_PKT1_PKT2_PKS4_S4_S5_PS6_PS9_PS4_.kd
    .uniform_work_group_size: 1
    .uses_dynamic_stack: false
    .vgpr_count:     20
    .vgpr_spill_count: 0
    .wavefront_size: 64
  - .agpr_count:     0
    .args:
      - .offset:         0
        .size:           4
        .value_kind:     by_value
      - .offset:         4
        .size:           4
        .value_kind:     by_value
      - .offset:         8
        .size:           4
        .value_kind:     by_value
      - .offset:         12
        .size:           4
        .value_kind:     by_value
      - .actual_access:  read_only
        .address_space:  global
        .offset:         16
        .size:           8
        .value_kind:     global_buffer
      - .actual_access:  read_only
        .address_space:  global
        .offset:         24
        .size:           8
        .value_kind:     global_buffer
      - .actual_access:  read_only
        .address_space:  global
        .offset:         32
        .size:           8
        .value_kind:     global_buffer
      - .offset:         40
        .size:           4
        .value_kind:     by_value
      - .offset:         44
        .size:           4
        .value_kind:     by_value
      - .actual_access:  write_only
        .address_space:  global
        .offset:         48
        .size:           8
        .value_kind:     global_buffer
      - .actual_access:  write_only
        .address_space:  global
        .offset:         56
        .size:           8
        .value_kind:     global_buffer
      - .actual_access:  write_only
        .address_space:  global
        .offset:         64
        .size:           8
        .value_kind:     global_buffer
    .group_segment_fixed_size: 0
    .kernarg_segment_align: 8
    .kernarg_segment_size: 72
    .language:       OpenCL C
    .language_version:
      - 2
      - 0
    .max_flat_workgroup_size: 256
    .name:           _ZN9rocsparseL32bsr2csr_block_per_row_2_7_kernelILj256ELj3E21rocsparse_complex_numIfEliEEv20rocsparse_direction_T3_S4_21rocsparse_index_base_PKT1_PKT2_PKS4_S4_S5_PS6_PS9_PS4_
    .private_segment_fixed_size: 0
    .sgpr_count:     26
    .sgpr_spill_count: 0
    .symbol:         _ZN9rocsparseL32bsr2csr_block_per_row_2_7_kernelILj256ELj3E21rocsparse_complex_numIfEliEEv20rocsparse_direction_T3_S4_21rocsparse_index_base_PKT1_PKT2_PKS4_S4_S5_PS6_PS9_PS4_.kd
    .uniform_work_group_size: 1
    .uses_dynamic_stack: false
    .vgpr_count:     26
    .vgpr_spill_count: 0
    .wavefront_size: 64
  - .agpr_count:     0
    .args:
      - .offset:         0
        .size:           4
        .value_kind:     by_value
      - .offset:         4
        .size:           4
        .value_kind:     by_value
      - .offset:         8
        .size:           4
        .value_kind:     by_value
      - .offset:         12
        .size:           4
        .value_kind:     by_value
      - .actual_access:  read_only
        .address_space:  global
        .offset:         16
        .size:           8
        .value_kind:     global_buffer
      - .actual_access:  read_only
        .address_space:  global
        .offset:         24
        .size:           8
        .value_kind:     global_buffer
      - .actual_access:  read_only
        .address_space:  global
        .offset:         32
        .size:           8
        .value_kind:     global_buffer
      - .offset:         40
        .size:           4
        .value_kind:     by_value
      - .offset:         44
        .size:           4
        .value_kind:     by_value
      - .actual_access:  write_only
        .address_space:  global
        .offset:         48
        .size:           8
        .value_kind:     global_buffer
      - .actual_access:  write_only
        .address_space:  global
        .offset:         56
        .size:           8
        .value_kind:     global_buffer
      - .actual_access:  write_only
        .address_space:  global
        .offset:         64
        .size:           8
        .value_kind:     global_buffer
    .group_segment_fixed_size: 0
    .kernarg_segment_align: 8
    .kernarg_segment_size: 72
    .language:       OpenCL C
    .language_version:
      - 2
      - 0
    .max_flat_workgroup_size: 256
    .name:           _ZN9rocsparseL32bsr2csr_block_per_row_2_7_kernelILj256ELj4E21rocsparse_complex_numIfEliEEv20rocsparse_direction_T3_S4_21rocsparse_index_base_PKT1_PKT2_PKS4_S4_S5_PS6_PS9_PS4_
    .private_segment_fixed_size: 0
    .sgpr_count:     32
    .sgpr_spill_count: 0
    .symbol:         _ZN9rocsparseL32bsr2csr_block_per_row_2_7_kernelILj256ELj4E21rocsparse_complex_numIfEliEEv20rocsparse_direction_T3_S4_21rocsparse_index_base_PKT1_PKT2_PKS4_S4_S5_PS6_PS9_PS4_.kd
    .uniform_work_group_size: 1
    .uses_dynamic_stack: false
    .vgpr_count:     23
    .vgpr_spill_count: 0
    .wavefront_size: 64
  - .agpr_count:     0
    .args:
      - .offset:         0
        .size:           4
        .value_kind:     by_value
      - .offset:         4
        .size:           4
        .value_kind:     by_value
      - .offset:         8
        .size:           4
        .value_kind:     by_value
      - .offset:         12
        .size:           4
        .value_kind:     by_value
      - .actual_access:  read_only
        .address_space:  global
        .offset:         16
        .size:           8
        .value_kind:     global_buffer
      - .actual_access:  read_only
        .address_space:  global
        .offset:         24
        .size:           8
        .value_kind:     global_buffer
      - .actual_access:  read_only
        .address_space:  global
        .offset:         32
        .size:           8
        .value_kind:     global_buffer
      - .offset:         40
        .size:           4
        .value_kind:     by_value
      - .offset:         44
        .size:           4
        .value_kind:     by_value
      - .actual_access:  write_only
        .address_space:  global
        .offset:         48
        .size:           8
        .value_kind:     global_buffer
      - .actual_access:  write_only
        .address_space:  global
        .offset:         56
        .size:           8
        .value_kind:     global_buffer
      - .actual_access:  write_only
        .address_space:  global
        .offset:         64
        .size:           8
        .value_kind:     global_buffer
    .group_segment_fixed_size: 0
    .kernarg_segment_align: 8
    .kernarg_segment_size: 72
    .language:       OpenCL C
    .language_version:
      - 2
      - 0
    .max_flat_workgroup_size: 256
    .name:           _ZN9rocsparseL32bsr2csr_block_per_row_2_7_kernelILj256ELj5E21rocsparse_complex_numIfEliEEv20rocsparse_direction_T3_S4_21rocsparse_index_base_PKT1_PKT2_PKS4_S4_S5_PS6_PS9_PS4_
    .private_segment_fixed_size: 0
    .sgpr_count:     26
    .sgpr_spill_count: 0
    .symbol:         _ZN9rocsparseL32bsr2csr_block_per_row_2_7_kernelILj256ELj5E21rocsparse_complex_numIfEliEEv20rocsparse_direction_T3_S4_21rocsparse_index_base_PKT1_PKT2_PKS4_S4_S5_PS6_PS9_PS4_.kd
    .uniform_work_group_size: 1
    .uses_dynamic_stack: false
    .vgpr_count:     34
    .vgpr_spill_count: 0
    .wavefront_size: 64
  - .agpr_count:     0
    .args:
      - .offset:         0
        .size:           4
        .value_kind:     by_value
      - .offset:         4
        .size:           4
        .value_kind:     by_value
      - .offset:         8
        .size:           4
        .value_kind:     by_value
      - .offset:         12
        .size:           4
        .value_kind:     by_value
      - .actual_access:  read_only
        .address_space:  global
        .offset:         16
        .size:           8
        .value_kind:     global_buffer
      - .actual_access:  read_only
        .address_space:  global
        .offset:         24
        .size:           8
        .value_kind:     global_buffer
      - .actual_access:  read_only
        .address_space:  global
        .offset:         32
        .size:           8
        .value_kind:     global_buffer
      - .offset:         40
        .size:           4
        .value_kind:     by_value
      - .offset:         44
        .size:           4
        .value_kind:     by_value
      - .actual_access:  write_only
        .address_space:  global
        .offset:         48
        .size:           8
        .value_kind:     global_buffer
      - .actual_access:  write_only
        .address_space:  global
        .offset:         56
        .size:           8
        .value_kind:     global_buffer
      - .actual_access:  write_only
        .address_space:  global
        .offset:         64
        .size:           8
        .value_kind:     global_buffer
    .group_segment_fixed_size: 0
    .kernarg_segment_align: 8
    .kernarg_segment_size: 72
    .language:       OpenCL C
    .language_version:
      - 2
      - 0
    .max_flat_workgroup_size: 256
    .name:           _ZN9rocsparseL32bsr2csr_block_per_row_2_7_kernelILj256ELj6E21rocsparse_complex_numIfEliEEv20rocsparse_direction_T3_S4_21rocsparse_index_base_PKT1_PKT2_PKS4_S4_S5_PS6_PS9_PS4_
    .private_segment_fixed_size: 0
    .sgpr_count:     26
    .sgpr_spill_count: 0
    .symbol:         _ZN9rocsparseL32bsr2csr_block_per_row_2_7_kernelILj256ELj6E21rocsparse_complex_numIfEliEEv20rocsparse_direction_T3_S4_21rocsparse_index_base_PKT1_PKT2_PKS4_S4_S5_PS6_PS9_PS4_.kd
    .uniform_work_group_size: 1
    .uses_dynamic_stack: false
    .vgpr_count:     40
    .vgpr_spill_count: 0
    .wavefront_size: 64
  - .agpr_count:     0
    .args:
      - .offset:         0
        .size:           4
        .value_kind:     by_value
      - .offset:         4
        .size:           4
        .value_kind:     by_value
      - .offset:         8
        .size:           4
        .value_kind:     by_value
      - .offset:         12
        .size:           4
        .value_kind:     by_value
      - .actual_access:  read_only
        .address_space:  global
        .offset:         16
        .size:           8
        .value_kind:     global_buffer
      - .actual_access:  read_only
        .address_space:  global
        .offset:         24
        .size:           8
        .value_kind:     global_buffer
      - .actual_access:  read_only
        .address_space:  global
        .offset:         32
        .size:           8
        .value_kind:     global_buffer
      - .offset:         40
        .size:           4
        .value_kind:     by_value
      - .offset:         44
        .size:           4
        .value_kind:     by_value
      - .actual_access:  write_only
        .address_space:  global
        .offset:         48
        .size:           8
        .value_kind:     global_buffer
      - .actual_access:  write_only
        .address_space:  global
        .offset:         56
        .size:           8
        .value_kind:     global_buffer
      - .actual_access:  write_only
        .address_space:  global
        .offset:         64
        .size:           8
        .value_kind:     global_buffer
    .group_segment_fixed_size: 0
    .kernarg_segment_align: 8
    .kernarg_segment_size: 72
    .language:       OpenCL C
    .language_version:
      - 2
      - 0
    .max_flat_workgroup_size: 256
    .name:           _ZN9rocsparseL32bsr2csr_block_per_row_2_7_kernelILj256ELj7E21rocsparse_complex_numIfEliEEv20rocsparse_direction_T3_S4_21rocsparse_index_base_PKT1_PKT2_PKS4_S4_S5_PS6_PS9_PS4_
    .private_segment_fixed_size: 0
    .sgpr_count:     26
    .sgpr_spill_count: 0
    .symbol:         _ZN9rocsparseL32bsr2csr_block_per_row_2_7_kernelILj256ELj7E21rocsparse_complex_numIfEliEEv20rocsparse_direction_T3_S4_21rocsparse_index_base_PKT1_PKT2_PKS4_S4_S5_PS6_PS9_PS4_.kd
    .uniform_work_group_size: 1
    .uses_dynamic_stack: false
    .vgpr_count:     44
    .vgpr_spill_count: 0
    .wavefront_size: 64
  - .agpr_count:     0
    .args:
      - .offset:         0
        .size:           4
        .value_kind:     by_value
      - .offset:         4
        .size:           4
        .value_kind:     by_value
      - .offset:         8
        .size:           4
        .value_kind:     by_value
      - .offset:         12
        .size:           4
        .value_kind:     by_value
      - .actual_access:  read_only
        .address_space:  global
        .offset:         16
        .size:           8
        .value_kind:     global_buffer
      - .actual_access:  read_only
        .address_space:  global
        .offset:         24
        .size:           8
        .value_kind:     global_buffer
      - .actual_access:  read_only
        .address_space:  global
        .offset:         32
        .size:           8
        .value_kind:     global_buffer
      - .offset:         40
        .size:           4
        .value_kind:     by_value
      - .offset:         44
        .size:           4
        .value_kind:     by_value
      - .actual_access:  write_only
        .address_space:  global
        .offset:         48
        .size:           8
        .value_kind:     global_buffer
      - .actual_access:  write_only
        .address_space:  global
        .offset:         56
        .size:           8
        .value_kind:     global_buffer
      - .actual_access:  write_only
        .address_space:  global
        .offset:         64
        .size:           8
        .value_kind:     global_buffer
    .group_segment_fixed_size: 0
    .kernarg_segment_align: 8
    .kernarg_segment_size: 72
    .language:       OpenCL C
    .language_version:
      - 2
      - 0
    .max_flat_workgroup_size: 1024
    .name:           _ZN9rocsparseL33bsr2csr_block_per_row_8_32_kernelILj1024ELj8E21rocsparse_complex_numIfEliEEv20rocsparse_direction_T3_S4_21rocsparse_index_base_PKT1_PKT2_PKS4_S4_S5_PS6_PS9_PS4_
    .private_segment_fixed_size: 0
    .sgpr_count:     28
    .sgpr_spill_count: 0
    .symbol:         _ZN9rocsparseL33bsr2csr_block_per_row_8_32_kernelILj1024ELj8E21rocsparse_complex_numIfEliEEv20rocsparse_direction_T3_S4_21rocsparse_index_base_PKT1_PKT2_PKS4_S4_S5_PS6_PS9_PS4_.kd
    .uniform_work_group_size: 1
    .uses_dynamic_stack: false
    .vgpr_count:     17
    .vgpr_spill_count: 0
    .wavefront_size: 64
  - .agpr_count:     0
    .args:
      - .offset:         0
        .size:           4
        .value_kind:     by_value
      - .offset:         4
        .size:           4
        .value_kind:     by_value
      - .offset:         8
        .size:           4
        .value_kind:     by_value
      - .offset:         12
        .size:           4
        .value_kind:     by_value
      - .actual_access:  read_only
        .address_space:  global
        .offset:         16
        .size:           8
        .value_kind:     global_buffer
      - .actual_access:  read_only
        .address_space:  global
        .offset:         24
        .size:           8
        .value_kind:     global_buffer
      - .actual_access:  read_only
        .address_space:  global
        .offset:         32
        .size:           8
        .value_kind:     global_buffer
      - .offset:         40
        .size:           4
        .value_kind:     by_value
      - .offset:         44
        .size:           4
        .value_kind:     by_value
      - .actual_access:  write_only
        .address_space:  global
        .offset:         48
        .size:           8
        .value_kind:     global_buffer
      - .actual_access:  write_only
        .address_space:  global
        .offset:         56
        .size:           8
        .value_kind:     global_buffer
      - .actual_access:  write_only
        .address_space:  global
        .offset:         64
        .size:           8
        .value_kind:     global_buffer
    .group_segment_fixed_size: 0
    .kernarg_segment_align: 8
    .kernarg_segment_size: 72
    .language:       OpenCL C
    .language_version:
      - 2
      - 0
    .max_flat_workgroup_size: 1024
    .name:           _ZN9rocsparseL33bsr2csr_block_per_row_8_32_kernelILj1024ELj16E21rocsparse_complex_numIfEliEEv20rocsparse_direction_T3_S4_21rocsparse_index_base_PKT1_PKT2_PKS4_S4_S5_PS6_PS9_PS4_
    .private_segment_fixed_size: 0
    .sgpr_count:     28
    .sgpr_spill_count: 0
    .symbol:         _ZN9rocsparseL33bsr2csr_block_per_row_8_32_kernelILj1024ELj16E21rocsparse_complex_numIfEliEEv20rocsparse_direction_T3_S4_21rocsparse_index_base_PKT1_PKT2_PKS4_S4_S5_PS6_PS9_PS4_.kd
    .uniform_work_group_size: 1
    .uses_dynamic_stack: false
    .vgpr_count:     17
    .vgpr_spill_count: 0
    .wavefront_size: 64
  - .agpr_count:     0
    .args:
      - .offset:         0
        .size:           4
        .value_kind:     by_value
      - .offset:         4
        .size:           4
        .value_kind:     by_value
      - .offset:         8
        .size:           4
        .value_kind:     by_value
      - .offset:         12
        .size:           4
        .value_kind:     by_value
      - .actual_access:  read_only
        .address_space:  global
        .offset:         16
        .size:           8
        .value_kind:     global_buffer
      - .actual_access:  read_only
        .address_space:  global
        .offset:         24
        .size:           8
        .value_kind:     global_buffer
      - .actual_access:  read_only
        .address_space:  global
        .offset:         32
        .size:           8
        .value_kind:     global_buffer
      - .offset:         40
        .size:           4
        .value_kind:     by_value
      - .offset:         44
        .size:           4
        .value_kind:     by_value
      - .actual_access:  write_only
        .address_space:  global
        .offset:         48
        .size:           8
        .value_kind:     global_buffer
      - .actual_access:  write_only
        .address_space:  global
        .offset:         56
        .size:           8
        .value_kind:     global_buffer
      - .actual_access:  write_only
        .address_space:  global
        .offset:         64
        .size:           8
        .value_kind:     global_buffer
    .group_segment_fixed_size: 0
    .kernarg_segment_align: 8
    .kernarg_segment_size: 72
    .language:       OpenCL C
    .language_version:
      - 2
      - 0
    .max_flat_workgroup_size: 1024
    .name:           _ZN9rocsparseL33bsr2csr_block_per_row_8_32_kernelILj1024ELj32E21rocsparse_complex_numIfEliEEv20rocsparse_direction_T3_S4_21rocsparse_index_base_PKT1_PKT2_PKS4_S4_S5_PS6_PS9_PS4_
    .private_segment_fixed_size: 0
    .sgpr_count:     31
    .sgpr_spill_count: 0
    .symbol:         _ZN9rocsparseL33bsr2csr_block_per_row_8_32_kernelILj1024ELj32E21rocsparse_complex_numIfEliEEv20rocsparse_direction_T3_S4_21rocsparse_index_base_PKT1_PKT2_PKS4_S4_S5_PS6_PS9_PS4_.kd
    .uniform_work_group_size: 1
    .uses_dynamic_stack: false
    .vgpr_count:     15
    .vgpr_spill_count: 0
    .wavefront_size: 64
  - .agpr_count:     0
    .args:
      - .offset:         0
        .size:           4
        .value_kind:     by_value
      - .offset:         4
        .size:           4
        .value_kind:     by_value
      - .offset:         8
        .size:           4
        .value_kind:     by_value
      - .offset:         12
        .size:           4
        .value_kind:     by_value
      - .actual_access:  read_only
        .address_space:  global
        .offset:         16
        .size:           8
        .value_kind:     global_buffer
      - .actual_access:  read_only
        .address_space:  global
        .offset:         24
        .size:           8
        .value_kind:     global_buffer
      - .actual_access:  read_only
        .address_space:  global
        .offset:         32
        .size:           8
        .value_kind:     global_buffer
      - .offset:         40
        .size:           4
        .value_kind:     by_value
      - .offset:         44
        .size:           4
        .value_kind:     by_value
      - .actual_access:  write_only
        .address_space:  global
        .offset:         48
        .size:           8
        .value_kind:     global_buffer
      - .actual_access:  write_only
        .address_space:  global
        .offset:         56
        .size:           8
        .value_kind:     global_buffer
      - .actual_access:  write_only
        .address_space:  global
        .offset:         64
        .size:           8
        .value_kind:     global_buffer
    .group_segment_fixed_size: 0
    .kernarg_segment_align: 8
    .kernarg_segment_size: 72
    .language:       OpenCL C
    .language_version:
      - 2
      - 0
    .max_flat_workgroup_size: 1024
    .name:           _ZN9rocsparseL35bsr2csr_block_per_row_33_256_kernelILj1024ELj64ELj32E21rocsparse_complex_numIfEliEEv20rocsparse_direction_T4_S4_21rocsparse_index_base_PKT2_PKT3_PKS4_S4_S5_PS6_PS9_PS4_
    .private_segment_fixed_size: 0
    .sgpr_count:     44
    .sgpr_spill_count: 0
    .symbol:         _ZN9rocsparseL35bsr2csr_block_per_row_33_256_kernelILj1024ELj64ELj32E21rocsparse_complex_numIfEliEEv20rocsparse_direction_T4_S4_21rocsparse_index_base_PKT2_PKT3_PKS4_S4_S5_PS6_PS9_PS4_.kd
    .uniform_work_group_size: 1
    .uses_dynamic_stack: false
    .vgpr_count:     26
    .vgpr_spill_count: 0
    .wavefront_size: 64
  - .agpr_count:     0
    .args:
      - .offset:         0
        .size:           4
        .value_kind:     by_value
      - .offset:         4
        .size:           4
        .value_kind:     by_value
      - .offset:         8
        .size:           4
        .value_kind:     by_value
      - .offset:         12
        .size:           4
        .value_kind:     by_value
      - .actual_access:  read_only
        .address_space:  global
        .offset:         16
        .size:           8
        .value_kind:     global_buffer
      - .actual_access:  read_only
        .address_space:  global
        .offset:         24
        .size:           8
        .value_kind:     global_buffer
      - .actual_access:  read_only
        .address_space:  global
        .offset:         32
        .size:           8
        .value_kind:     global_buffer
      - .offset:         40
        .size:           4
        .value_kind:     by_value
      - .offset:         44
        .size:           4
        .value_kind:     by_value
      - .actual_access:  write_only
        .address_space:  global
        .offset:         48
        .size:           8
        .value_kind:     global_buffer
      - .actual_access:  write_only
        .address_space:  global
        .offset:         56
        .size:           8
        .value_kind:     global_buffer
      - .actual_access:  write_only
        .address_space:  global
        .offset:         64
        .size:           8
        .value_kind:     global_buffer
    .group_segment_fixed_size: 0
    .kernarg_segment_align: 8
    .kernarg_segment_size: 72
    .language:       OpenCL C
    .language_version:
      - 2
      - 0
    .max_flat_workgroup_size: 1024
    .name:           _ZN9rocsparseL35bsr2csr_block_per_row_33_256_kernelILj1024ELj128ELj32E21rocsparse_complex_numIfEliEEv20rocsparse_direction_T4_S4_21rocsparse_index_base_PKT2_PKT3_PKS4_S4_S5_PS6_PS9_PS4_
    .private_segment_fixed_size: 0
    .sgpr_count:     68
    .sgpr_spill_count: 0
    .symbol:         _ZN9rocsparseL35bsr2csr_block_per_row_33_256_kernelILj1024ELj128ELj32E21rocsparse_complex_numIfEliEEv20rocsparse_direction_T4_S4_21rocsparse_index_base_PKT2_PKT3_PKS4_S4_S5_PS6_PS9_PS4_.kd
    .uniform_work_group_size: 1
    .uses_dynamic_stack: false
    .vgpr_count:     44
    .vgpr_spill_count: 0
    .wavefront_size: 64
  - .agpr_count:     0
    .args:
      - .offset:         0
        .size:           4
        .value_kind:     by_value
      - .offset:         4
        .size:           4
        .value_kind:     by_value
      - .offset:         8
        .size:           4
        .value_kind:     by_value
      - .offset:         12
        .size:           4
        .value_kind:     by_value
      - .actual_access:  read_only
        .address_space:  global
        .offset:         16
        .size:           8
        .value_kind:     global_buffer
      - .actual_access:  read_only
        .address_space:  global
        .offset:         24
        .size:           8
        .value_kind:     global_buffer
      - .actual_access:  read_only
        .address_space:  global
        .offset:         32
        .size:           8
        .value_kind:     global_buffer
      - .offset:         40
        .size:           4
        .value_kind:     by_value
      - .offset:         44
        .size:           4
        .value_kind:     by_value
      - .actual_access:  write_only
        .address_space:  global
        .offset:         48
        .size:           8
        .value_kind:     global_buffer
      - .actual_access:  write_only
        .address_space:  global
        .offset:         56
        .size:           8
        .value_kind:     global_buffer
      - .actual_access:  write_only
        .address_space:  global
        .offset:         64
        .size:           8
        .value_kind:     global_buffer
    .group_segment_fixed_size: 0
    .kernarg_segment_align: 8
    .kernarg_segment_size: 72
    .language:       OpenCL C
    .language_version:
      - 2
      - 0
    .max_flat_workgroup_size: 1024
    .name:           _ZN9rocsparseL35bsr2csr_block_per_row_33_256_kernelILj1024ELj256ELj32E21rocsparse_complex_numIfEliEEv20rocsparse_direction_T4_S4_21rocsparse_index_base_PKT2_PKT3_PKS4_S4_S5_PS6_PS9_PS4_
    .private_segment_fixed_size: 0
    .sgpr_count:     100
    .sgpr_spill_count: 97
    .symbol:         _ZN9rocsparseL35bsr2csr_block_per_row_33_256_kernelILj1024ELj256ELj32E21rocsparse_complex_numIfEliEEv20rocsparse_direction_T4_S4_21rocsparse_index_base_PKT2_PKT3_PKS4_S4_S5_PS6_PS9_PS4_.kd
    .uniform_work_group_size: 1
    .uses_dynamic_stack: false
    .vgpr_count:     81
    .vgpr_spill_count: 0
    .wavefront_size: 64
  - .agpr_count:     0
    .args:
      - .offset:         0
        .size:           8
        .value_kind:     by_value
      - .offset:         8
        .size:           8
        .value_kind:     by_value
      - .offset:         16
        .size:           4
        .value_kind:     by_value
      - .actual_access:  read_only
        .address_space:  global
        .offset:         24
        .size:           8
        .value_kind:     global_buffer
      - .actual_access:  read_only
        .address_space:  global
        .offset:         32
        .size:           8
        .value_kind:     global_buffer
      - .actual_access:  read_only
        .address_space:  global
        .offset:         40
        .size:           8
        .value_kind:     global_buffer
      - .offset:         48
        .size:           4
        .value_kind:     by_value
      - .actual_access:  write_only
        .address_space:  global
        .offset:         56
        .size:           8
        .value_kind:     global_buffer
      - .actual_access:  write_only
        .address_space:  global
        .offset:         64
        .size:           8
        .value_kind:     global_buffer
      - .actual_access:  write_only
        .address_space:  global
        .offset:         72
        .size:           8
        .value_kind:     global_buffer
      - .offset:         80
        .size:           4
        .value_kind:     hidden_block_count_x
      - .offset:         84
        .size:           4
        .value_kind:     hidden_block_count_y
      - .offset:         88
        .size:           4
        .value_kind:     hidden_block_count_z
      - .offset:         92
        .size:           2
        .value_kind:     hidden_group_size_x
      - .offset:         94
        .size:           2
        .value_kind:     hidden_group_size_y
      - .offset:         96
        .size:           2
        .value_kind:     hidden_group_size_z
      - .offset:         98
        .size:           2
        .value_kind:     hidden_remainder_x
      - .offset:         100
        .size:           2
        .value_kind:     hidden_remainder_y
      - .offset:         102
        .size:           2
        .value_kind:     hidden_remainder_z
      - .offset:         120
        .size:           8
        .value_kind:     hidden_global_offset_x
      - .offset:         128
        .size:           8
        .value_kind:     hidden_global_offset_y
      - .offset:         136
        .size:           8
        .value_kind:     hidden_global_offset_z
      - .offset:         144
        .size:           2
        .value_kind:     hidden_grid_dims
    .group_segment_fixed_size: 0
    .kernarg_segment_align: 8
    .kernarg_segment_size: 336
    .language:       OpenCL C
    .language_version:
      - 2
      - 0
    .max_flat_workgroup_size: 1024
    .name:           _ZN9rocsparseL35bsr2csr_block_dim_equals_one_kernelILj1024E21rocsparse_complex_numIfEilEEvT2_S3_21rocsparse_index_base_PKT0_PKT1_PKS3_S4_PS5_PS8_PS3_
    .private_segment_fixed_size: 0
    .sgpr_count:     28
    .sgpr_spill_count: 0
    .symbol:         _ZN9rocsparseL35bsr2csr_block_dim_equals_one_kernelILj1024E21rocsparse_complex_numIfEilEEvT2_S3_21rocsparse_index_base_PKT0_PKT1_PKS3_S4_PS5_PS8_PS3_.kd
    .uniform_work_group_size: 1
    .uses_dynamic_stack: false
    .vgpr_count:     20
    .vgpr_spill_count: 0
    .wavefront_size: 64
  - .agpr_count:     0
    .args:
      - .offset:         0
        .size:           4
        .value_kind:     by_value
      - .offset:         8
        .size:           8
        .value_kind:     by_value
      - .offset:         16
        .size:           8
        .value_kind:     by_value
      - .offset:         24
        .size:           4
        .value_kind:     by_value
      - .actual_access:  read_only
        .address_space:  global
        .offset:         32
        .size:           8
        .value_kind:     global_buffer
      - .actual_access:  read_only
        .address_space:  global
        .offset:         40
        .size:           8
        .value_kind:     global_buffer
      - .actual_access:  read_only
        .address_space:  global
        .offset:         48
        .size:           8
        .value_kind:     global_buffer
      - .offset:         56
        .size:           8
        .value_kind:     by_value
      - .offset:         64
        .size:           4
        .value_kind:     by_value
      - .actual_access:  write_only
        .address_space:  global
        .offset:         72
        .size:           8
        .value_kind:     global_buffer
      - .actual_access:  write_only
        .address_space:  global
        .offset:         80
        .size:           8
        .value_kind:     global_buffer
      - .actual_access:  write_only
        .address_space:  global
        .offset:         88
        .size:           8
        .value_kind:     global_buffer
    .group_segment_fixed_size: 0
    .kernarg_segment_align: 8
    .kernarg_segment_size: 96
    .language:       OpenCL C
    .language_version:
      - 2
      - 0
    .max_flat_workgroup_size: 256
    .name:           _ZN9rocsparseL32bsr2csr_block_per_row_2_7_kernelILj256ELj2E21rocsparse_complex_numIfEilEEv20rocsparse_direction_T3_S4_21rocsparse_index_base_PKT1_PKT2_PKS4_S4_S5_PS6_PS9_PS4_
    .private_segment_fixed_size: 0
    .sgpr_count:     24
    .sgpr_spill_count: 0
    .symbol:         _ZN9rocsparseL32bsr2csr_block_per_row_2_7_kernelILj256ELj2E21rocsparse_complex_numIfEilEEv20rocsparse_direction_T3_S4_21rocsparse_index_base_PKT1_PKT2_PKS4_S4_S5_PS6_PS9_PS4_.kd
    .uniform_work_group_size: 1
    .uses_dynamic_stack: false
    .vgpr_count:     30
    .vgpr_spill_count: 0
    .wavefront_size: 64
  - .agpr_count:     0
    .args:
      - .offset:         0
        .size:           4
        .value_kind:     by_value
      - .offset:         8
        .size:           8
        .value_kind:     by_value
      - .offset:         16
        .size:           8
        .value_kind:     by_value
      - .offset:         24
        .size:           4
        .value_kind:     by_value
      - .actual_access:  read_only
        .address_space:  global
        .offset:         32
        .size:           8
        .value_kind:     global_buffer
      - .actual_access:  read_only
        .address_space:  global
        .offset:         40
        .size:           8
        .value_kind:     global_buffer
      - .actual_access:  read_only
        .address_space:  global
        .offset:         48
        .size:           8
        .value_kind:     global_buffer
      - .offset:         56
        .size:           8
        .value_kind:     by_value
      - .offset:         64
        .size:           4
        .value_kind:     by_value
      - .actual_access:  write_only
        .address_space:  global
        .offset:         72
        .size:           8
        .value_kind:     global_buffer
      - .actual_access:  write_only
        .address_space:  global
        .offset:         80
        .size:           8
        .value_kind:     global_buffer
      - .actual_access:  write_only
        .address_space:  global
        .offset:         88
        .size:           8
        .value_kind:     global_buffer
    .group_segment_fixed_size: 0
    .kernarg_segment_align: 8
    .kernarg_segment_size: 96
    .language:       OpenCL C
    .language_version:
      - 2
      - 0
    .max_flat_workgroup_size: 256
    .name:           _ZN9rocsparseL32bsr2csr_block_per_row_2_7_kernelILj256ELj3E21rocsparse_complex_numIfEilEEv20rocsparse_direction_T3_S4_21rocsparse_index_base_PKT1_PKT2_PKS4_S4_S5_PS6_PS9_PS4_
    .private_segment_fixed_size: 0
    .sgpr_count:     21
    .sgpr_spill_count: 0
    .symbol:         _ZN9rocsparseL32bsr2csr_block_per_row_2_7_kernelILj256ELj3E21rocsparse_complex_numIfEilEEv20rocsparse_direction_T3_S4_21rocsparse_index_base_PKT1_PKT2_PKS4_S4_S5_PS6_PS9_PS4_.kd
    .uniform_work_group_size: 1
    .uses_dynamic_stack: false
    .vgpr_count:     28
    .vgpr_spill_count: 0
    .wavefront_size: 64
  - .agpr_count:     0
    .args:
      - .offset:         0
        .size:           4
        .value_kind:     by_value
      - .offset:         8
        .size:           8
        .value_kind:     by_value
      - .offset:         16
        .size:           8
        .value_kind:     by_value
      - .offset:         24
        .size:           4
        .value_kind:     by_value
      - .actual_access:  read_only
        .address_space:  global
        .offset:         32
        .size:           8
        .value_kind:     global_buffer
      - .actual_access:  read_only
        .address_space:  global
        .offset:         40
        .size:           8
        .value_kind:     global_buffer
      - .actual_access:  read_only
        .address_space:  global
        .offset:         48
        .size:           8
        .value_kind:     global_buffer
      - .offset:         56
        .size:           8
        .value_kind:     by_value
      - .offset:         64
        .size:           4
        .value_kind:     by_value
      - .actual_access:  write_only
        .address_space:  global
        .offset:         72
        .size:           8
        .value_kind:     global_buffer
      - .actual_access:  write_only
        .address_space:  global
        .offset:         80
        .size:           8
        .value_kind:     global_buffer
      - .actual_access:  write_only
        .address_space:  global
        .offset:         88
        .size:           8
        .value_kind:     global_buffer
    .group_segment_fixed_size: 0
    .kernarg_segment_align: 8
    .kernarg_segment_size: 96
    .language:       OpenCL C
    .language_version:
      - 2
      - 0
    .max_flat_workgroup_size: 256
    .name:           _ZN9rocsparseL32bsr2csr_block_per_row_2_7_kernelILj256ELj4E21rocsparse_complex_numIfEilEEv20rocsparse_direction_T3_S4_21rocsparse_index_base_PKT1_PKT2_PKS4_S4_S5_PS6_PS9_PS4_
    .private_segment_fixed_size: 0
    .sgpr_count:     20
    .sgpr_spill_count: 0
    .symbol:         _ZN9rocsparseL32bsr2csr_block_per_row_2_7_kernelILj256ELj4E21rocsparse_complex_numIfEilEEv20rocsparse_direction_T3_S4_21rocsparse_index_base_PKT1_PKT2_PKS4_S4_S5_PS6_PS9_PS4_.kd
    .uniform_work_group_size: 1
    .uses_dynamic_stack: false
    .vgpr_count:     34
    .vgpr_spill_count: 0
    .wavefront_size: 64
  - .agpr_count:     0
    .args:
      - .offset:         0
        .size:           4
        .value_kind:     by_value
      - .offset:         8
        .size:           8
        .value_kind:     by_value
      - .offset:         16
        .size:           8
        .value_kind:     by_value
      - .offset:         24
        .size:           4
        .value_kind:     by_value
      - .actual_access:  read_only
        .address_space:  global
        .offset:         32
        .size:           8
        .value_kind:     global_buffer
      - .actual_access:  read_only
        .address_space:  global
        .offset:         40
        .size:           8
        .value_kind:     global_buffer
      - .actual_access:  read_only
        .address_space:  global
        .offset:         48
        .size:           8
        .value_kind:     global_buffer
      - .offset:         56
        .size:           8
        .value_kind:     by_value
      - .offset:         64
        .size:           4
        .value_kind:     by_value
      - .actual_access:  write_only
        .address_space:  global
        .offset:         72
        .size:           8
        .value_kind:     global_buffer
      - .actual_access:  write_only
        .address_space:  global
        .offset:         80
        .size:           8
        .value_kind:     global_buffer
      - .actual_access:  write_only
        .address_space:  global
        .offset:         88
        .size:           8
        .value_kind:     global_buffer
    .group_segment_fixed_size: 0
    .kernarg_segment_align: 8
    .kernarg_segment_size: 96
    .language:       OpenCL C
    .language_version:
      - 2
      - 0
    .max_flat_workgroup_size: 256
    .name:           _ZN9rocsparseL32bsr2csr_block_per_row_2_7_kernelILj256ELj5E21rocsparse_complex_numIfEilEEv20rocsparse_direction_T3_S4_21rocsparse_index_base_PKT1_PKT2_PKS4_S4_S5_PS6_PS9_PS4_
    .private_segment_fixed_size: 0
    .sgpr_count:     24
    .sgpr_spill_count: 0
    .symbol:         _ZN9rocsparseL32bsr2csr_block_per_row_2_7_kernelILj256ELj5E21rocsparse_complex_numIfEilEEv20rocsparse_direction_T3_S4_21rocsparse_index_base_PKT1_PKT2_PKS4_S4_S5_PS6_PS9_PS4_.kd
    .uniform_work_group_size: 1
    .uses_dynamic_stack: false
    .vgpr_count:     36
    .vgpr_spill_count: 0
    .wavefront_size: 64
  - .agpr_count:     0
    .args:
      - .offset:         0
        .size:           4
        .value_kind:     by_value
      - .offset:         8
        .size:           8
        .value_kind:     by_value
      - .offset:         16
        .size:           8
        .value_kind:     by_value
      - .offset:         24
        .size:           4
        .value_kind:     by_value
      - .actual_access:  read_only
        .address_space:  global
        .offset:         32
        .size:           8
        .value_kind:     global_buffer
      - .actual_access:  read_only
        .address_space:  global
        .offset:         40
        .size:           8
        .value_kind:     global_buffer
      - .actual_access:  read_only
        .address_space:  global
        .offset:         48
        .size:           8
        .value_kind:     global_buffer
      - .offset:         56
        .size:           8
        .value_kind:     by_value
      - .offset:         64
        .size:           4
        .value_kind:     by_value
      - .actual_access:  write_only
        .address_space:  global
        .offset:         72
        .size:           8
        .value_kind:     global_buffer
      - .actual_access:  write_only
        .address_space:  global
        .offset:         80
        .size:           8
        .value_kind:     global_buffer
      - .actual_access:  write_only
        .address_space:  global
        .offset:         88
        .size:           8
        .value_kind:     global_buffer
    .group_segment_fixed_size: 0
    .kernarg_segment_align: 8
    .kernarg_segment_size: 96
    .language:       OpenCL C
    .language_version:
      - 2
      - 0
    .max_flat_workgroup_size: 256
    .name:           _ZN9rocsparseL32bsr2csr_block_per_row_2_7_kernelILj256ELj6E21rocsparse_complex_numIfEilEEv20rocsparse_direction_T3_S4_21rocsparse_index_base_PKT1_PKT2_PKS4_S4_S5_PS6_PS9_PS4_
    .private_segment_fixed_size: 0
    .sgpr_count:     27
    .sgpr_spill_count: 0
    .symbol:         _ZN9rocsparseL32bsr2csr_block_per_row_2_7_kernelILj256ELj6E21rocsparse_complex_numIfEilEEv20rocsparse_direction_T3_S4_21rocsparse_index_base_PKT1_PKT2_PKS4_S4_S5_PS6_PS9_PS4_.kd
    .uniform_work_group_size: 1
    .uses_dynamic_stack: false
    .vgpr_count:     42
    .vgpr_spill_count: 0
    .wavefront_size: 64
  - .agpr_count:     0
    .args:
      - .offset:         0
        .size:           4
        .value_kind:     by_value
      - .offset:         8
        .size:           8
        .value_kind:     by_value
      - .offset:         16
        .size:           8
        .value_kind:     by_value
      - .offset:         24
        .size:           4
        .value_kind:     by_value
      - .actual_access:  read_only
        .address_space:  global
        .offset:         32
        .size:           8
        .value_kind:     global_buffer
      - .actual_access:  read_only
        .address_space:  global
        .offset:         40
        .size:           8
        .value_kind:     global_buffer
      - .actual_access:  read_only
        .address_space:  global
        .offset:         48
        .size:           8
        .value_kind:     global_buffer
      - .offset:         56
        .size:           8
        .value_kind:     by_value
      - .offset:         64
        .size:           4
        .value_kind:     by_value
      - .actual_access:  write_only
        .address_space:  global
        .offset:         72
        .size:           8
        .value_kind:     global_buffer
      - .actual_access:  write_only
        .address_space:  global
        .offset:         80
        .size:           8
        .value_kind:     global_buffer
      - .actual_access:  write_only
        .address_space:  global
        .offset:         88
        .size:           8
        .value_kind:     global_buffer
    .group_segment_fixed_size: 0
    .kernarg_segment_align: 8
    .kernarg_segment_size: 96
    .language:       OpenCL C
    .language_version:
      - 2
      - 0
    .max_flat_workgroup_size: 256
    .name:           _ZN9rocsparseL32bsr2csr_block_per_row_2_7_kernelILj256ELj7E21rocsparse_complex_numIfEilEEv20rocsparse_direction_T3_S4_21rocsparse_index_base_PKT1_PKT2_PKS4_S4_S5_PS6_PS9_PS4_
    .private_segment_fixed_size: 0
    .sgpr_count:     30
    .sgpr_spill_count: 0
    .symbol:         _ZN9rocsparseL32bsr2csr_block_per_row_2_7_kernelILj256ELj7E21rocsparse_complex_numIfEilEEv20rocsparse_direction_T3_S4_21rocsparse_index_base_PKT1_PKT2_PKS4_S4_S5_PS6_PS9_PS4_.kd
    .uniform_work_group_size: 1
    .uses_dynamic_stack: false
    .vgpr_count:     46
    .vgpr_spill_count: 0
    .wavefront_size: 64
  - .agpr_count:     0
    .args:
      - .offset:         0
        .size:           4
        .value_kind:     by_value
      - .offset:         8
        .size:           8
        .value_kind:     by_value
      - .offset:         16
        .size:           8
        .value_kind:     by_value
      - .offset:         24
        .size:           4
        .value_kind:     by_value
      - .actual_access:  read_only
        .address_space:  global
        .offset:         32
        .size:           8
        .value_kind:     global_buffer
      - .actual_access:  read_only
        .address_space:  global
        .offset:         40
        .size:           8
        .value_kind:     global_buffer
      - .actual_access:  read_only
        .address_space:  global
        .offset:         48
        .size:           8
        .value_kind:     global_buffer
      - .offset:         56
        .size:           8
        .value_kind:     by_value
      - .offset:         64
        .size:           4
        .value_kind:     by_value
      - .actual_access:  write_only
        .address_space:  global
        .offset:         72
        .size:           8
        .value_kind:     global_buffer
      - .actual_access:  write_only
        .address_space:  global
        .offset:         80
        .size:           8
        .value_kind:     global_buffer
      - .actual_access:  write_only
        .address_space:  global
        .offset:         88
        .size:           8
        .value_kind:     global_buffer
    .group_segment_fixed_size: 0
    .kernarg_segment_align: 8
    .kernarg_segment_size: 96
    .language:       OpenCL C
    .language_version:
      - 2
      - 0
    .max_flat_workgroup_size: 1024
    .name:           _ZN9rocsparseL33bsr2csr_block_per_row_8_32_kernelILj1024ELj8E21rocsparse_complex_numIfEilEEv20rocsparse_direction_T3_S4_21rocsparse_index_base_PKT1_PKT2_PKS4_S4_S5_PS6_PS9_PS4_
    .private_segment_fixed_size: 0
    .sgpr_count:     25
    .sgpr_spill_count: 0
    .symbol:         _ZN9rocsparseL33bsr2csr_block_per_row_8_32_kernelILj1024ELj8E21rocsparse_complex_numIfEilEEv20rocsparse_direction_T3_S4_21rocsparse_index_base_PKT1_PKT2_PKS4_S4_S5_PS6_PS9_PS4_.kd
    .uniform_work_group_size: 1
    .uses_dynamic_stack: false
    .vgpr_count:     23
    .vgpr_spill_count: 0
    .wavefront_size: 64
  - .agpr_count:     0
    .args:
      - .offset:         0
        .size:           4
        .value_kind:     by_value
      - .offset:         8
        .size:           8
        .value_kind:     by_value
      - .offset:         16
        .size:           8
        .value_kind:     by_value
      - .offset:         24
        .size:           4
        .value_kind:     by_value
      - .actual_access:  read_only
        .address_space:  global
        .offset:         32
        .size:           8
        .value_kind:     global_buffer
      - .actual_access:  read_only
        .address_space:  global
        .offset:         40
        .size:           8
        .value_kind:     global_buffer
      - .actual_access:  read_only
        .address_space:  global
        .offset:         48
        .size:           8
        .value_kind:     global_buffer
      - .offset:         56
        .size:           8
        .value_kind:     by_value
      - .offset:         64
        .size:           4
        .value_kind:     by_value
      - .actual_access:  write_only
        .address_space:  global
        .offset:         72
        .size:           8
        .value_kind:     global_buffer
      - .actual_access:  write_only
        .address_space:  global
        .offset:         80
        .size:           8
        .value_kind:     global_buffer
      - .actual_access:  write_only
        .address_space:  global
        .offset:         88
        .size:           8
        .value_kind:     global_buffer
    .group_segment_fixed_size: 0
    .kernarg_segment_align: 8
    .kernarg_segment_size: 96
    .language:       OpenCL C
    .language_version:
      - 2
      - 0
    .max_flat_workgroup_size: 1024
    .name:           _ZN9rocsparseL33bsr2csr_block_per_row_8_32_kernelILj1024ELj16E21rocsparse_complex_numIfEilEEv20rocsparse_direction_T3_S4_21rocsparse_index_base_PKT1_PKT2_PKS4_S4_S5_PS6_PS9_PS4_
    .private_segment_fixed_size: 0
    .sgpr_count:     25
    .sgpr_spill_count: 0
    .symbol:         _ZN9rocsparseL33bsr2csr_block_per_row_8_32_kernelILj1024ELj16E21rocsparse_complex_numIfEilEEv20rocsparse_direction_T3_S4_21rocsparse_index_base_PKT1_PKT2_PKS4_S4_S5_PS6_PS9_PS4_.kd
    .uniform_work_group_size: 1
    .uses_dynamic_stack: false
    .vgpr_count:     23
    .vgpr_spill_count: 0
    .wavefront_size: 64
  - .agpr_count:     0
    .args:
      - .offset:         0
        .size:           4
        .value_kind:     by_value
      - .offset:         8
        .size:           8
        .value_kind:     by_value
      - .offset:         16
        .size:           8
        .value_kind:     by_value
      - .offset:         24
        .size:           4
        .value_kind:     by_value
      - .actual_access:  read_only
        .address_space:  global
        .offset:         32
        .size:           8
        .value_kind:     global_buffer
      - .actual_access:  read_only
        .address_space:  global
        .offset:         40
        .size:           8
        .value_kind:     global_buffer
      - .actual_access:  read_only
        .address_space:  global
        .offset:         48
        .size:           8
        .value_kind:     global_buffer
      - .offset:         56
        .size:           8
        .value_kind:     by_value
      - .offset:         64
        .size:           4
        .value_kind:     by_value
      - .actual_access:  write_only
        .address_space:  global
        .offset:         72
        .size:           8
        .value_kind:     global_buffer
      - .actual_access:  write_only
        .address_space:  global
        .offset:         80
        .size:           8
        .value_kind:     global_buffer
      - .actual_access:  write_only
        .address_space:  global
        .offset:         88
        .size:           8
        .value_kind:     global_buffer
    .group_segment_fixed_size: 0
    .kernarg_segment_align: 8
    .kernarg_segment_size: 96
    .language:       OpenCL C
    .language_version:
      - 2
      - 0
    .max_flat_workgroup_size: 1024
    .name:           _ZN9rocsparseL33bsr2csr_block_per_row_8_32_kernelILj1024ELj32E21rocsparse_complex_numIfEilEEv20rocsparse_direction_T3_S4_21rocsparse_index_base_PKT1_PKT2_PKS4_S4_S5_PS6_PS9_PS4_
    .private_segment_fixed_size: 0
    .sgpr_count:     24
    .sgpr_spill_count: 0
    .symbol:         _ZN9rocsparseL33bsr2csr_block_per_row_8_32_kernelILj1024ELj32E21rocsparse_complex_numIfEilEEv20rocsparse_direction_T3_S4_21rocsparse_index_base_PKT1_PKT2_PKS4_S4_S5_PS6_PS9_PS4_.kd
    .uniform_work_group_size: 1
    .uses_dynamic_stack: false
    .vgpr_count:     20
    .vgpr_spill_count: 0
    .wavefront_size: 64
  - .agpr_count:     0
    .args:
      - .offset:         0
        .size:           4
        .value_kind:     by_value
      - .offset:         8
        .size:           8
        .value_kind:     by_value
      - .offset:         16
        .size:           8
        .value_kind:     by_value
      - .offset:         24
        .size:           4
        .value_kind:     by_value
      - .actual_access:  read_only
        .address_space:  global
        .offset:         32
        .size:           8
        .value_kind:     global_buffer
      - .actual_access:  read_only
        .address_space:  global
        .offset:         40
        .size:           8
        .value_kind:     global_buffer
      - .actual_access:  read_only
        .address_space:  global
        .offset:         48
        .size:           8
        .value_kind:     global_buffer
      - .offset:         56
        .size:           8
        .value_kind:     by_value
      - .offset:         64
        .size:           4
        .value_kind:     by_value
      - .actual_access:  write_only
        .address_space:  global
        .offset:         72
        .size:           8
        .value_kind:     global_buffer
      - .actual_access:  write_only
        .address_space:  global
        .offset:         80
        .size:           8
        .value_kind:     global_buffer
      - .actual_access:  write_only
        .address_space:  global
        .offset:         88
        .size:           8
        .value_kind:     global_buffer
    .group_segment_fixed_size: 0
    .kernarg_segment_align: 8
    .kernarg_segment_size: 96
    .language:       OpenCL C
    .language_version:
      - 2
      - 0
    .max_flat_workgroup_size: 1024
    .name:           _ZN9rocsparseL35bsr2csr_block_per_row_33_256_kernelILj1024ELj64ELj32E21rocsparse_complex_numIfEilEEv20rocsparse_direction_T4_S4_21rocsparse_index_base_PKT2_PKT3_PKS4_S4_S5_PS6_PS9_PS4_
    .private_segment_fixed_size: 0
    .sgpr_count:     36
    .sgpr_spill_count: 0
    .symbol:         _ZN9rocsparseL35bsr2csr_block_per_row_33_256_kernelILj1024ELj64ELj32E21rocsparse_complex_numIfEilEEv20rocsparse_direction_T4_S4_21rocsparse_index_base_PKT2_PKT3_PKS4_S4_S5_PS6_PS9_PS4_.kd
    .uniform_work_group_size: 1
    .uses_dynamic_stack: false
    .vgpr_count:     24
    .vgpr_spill_count: 0
    .wavefront_size: 64
  - .agpr_count:     0
    .args:
      - .offset:         0
        .size:           4
        .value_kind:     by_value
      - .offset:         8
        .size:           8
        .value_kind:     by_value
      - .offset:         16
        .size:           8
        .value_kind:     by_value
      - .offset:         24
        .size:           4
        .value_kind:     by_value
      - .actual_access:  read_only
        .address_space:  global
        .offset:         32
        .size:           8
        .value_kind:     global_buffer
      - .actual_access:  read_only
        .address_space:  global
        .offset:         40
        .size:           8
        .value_kind:     global_buffer
      - .actual_access:  read_only
        .address_space:  global
        .offset:         48
        .size:           8
        .value_kind:     global_buffer
      - .offset:         56
        .size:           8
        .value_kind:     by_value
      - .offset:         64
        .size:           4
        .value_kind:     by_value
      - .actual_access:  write_only
        .address_space:  global
        .offset:         72
        .size:           8
        .value_kind:     global_buffer
      - .actual_access:  write_only
        .address_space:  global
        .offset:         80
        .size:           8
        .value_kind:     global_buffer
      - .actual_access:  write_only
        .address_space:  global
        .offset:         88
        .size:           8
        .value_kind:     global_buffer
    .group_segment_fixed_size: 0
    .kernarg_segment_align: 8
    .kernarg_segment_size: 96
    .language:       OpenCL C
    .language_version:
      - 2
      - 0
    .max_flat_workgroup_size: 1024
    .name:           _ZN9rocsparseL35bsr2csr_block_per_row_33_256_kernelILj1024ELj128ELj32E21rocsparse_complex_numIfEilEEv20rocsparse_direction_T4_S4_21rocsparse_index_base_PKT2_PKT3_PKS4_S4_S5_PS6_PS9_PS4_
    .private_segment_fixed_size: 0
    .sgpr_count:     64
    .sgpr_spill_count: 0
    .symbol:         _ZN9rocsparseL35bsr2csr_block_per_row_33_256_kernelILj1024ELj128ELj32E21rocsparse_complex_numIfEilEEv20rocsparse_direction_T4_S4_21rocsparse_index_base_PKT2_PKT3_PKS4_S4_S5_PS6_PS9_PS4_.kd
    .uniform_work_group_size: 1
    .uses_dynamic_stack: false
    .vgpr_count:     42
    .vgpr_spill_count: 0
    .wavefront_size: 64
  - .agpr_count:     0
    .args:
      - .offset:         0
        .size:           4
        .value_kind:     by_value
      - .offset:         8
        .size:           8
        .value_kind:     by_value
      - .offset:         16
        .size:           8
        .value_kind:     by_value
      - .offset:         24
        .size:           4
        .value_kind:     by_value
      - .actual_access:  read_only
        .address_space:  global
        .offset:         32
        .size:           8
        .value_kind:     global_buffer
      - .actual_access:  read_only
        .address_space:  global
        .offset:         40
        .size:           8
        .value_kind:     global_buffer
      - .actual_access:  read_only
        .address_space:  global
        .offset:         48
        .size:           8
        .value_kind:     global_buffer
      - .offset:         56
        .size:           8
        .value_kind:     by_value
      - .offset:         64
        .size:           4
        .value_kind:     by_value
      - .actual_access:  write_only
        .address_space:  global
        .offset:         72
        .size:           8
        .value_kind:     global_buffer
      - .actual_access:  write_only
        .address_space:  global
        .offset:         80
        .size:           8
        .value_kind:     global_buffer
      - .actual_access:  write_only
        .address_space:  global
        .offset:         88
        .size:           8
        .value_kind:     global_buffer
    .group_segment_fixed_size: 0
    .kernarg_segment_align: 8
    .kernarg_segment_size: 96
    .language:       OpenCL C
    .language_version:
      - 2
      - 0
    .max_flat_workgroup_size: 1024
    .name:           _ZN9rocsparseL35bsr2csr_block_per_row_33_256_kernelILj1024ELj256ELj32E21rocsparse_complex_numIfEilEEv20rocsparse_direction_T4_S4_21rocsparse_index_base_PKT2_PKT3_PKS4_S4_S5_PS6_PS9_PS4_
    .private_segment_fixed_size: 0
    .sgpr_count:     100
    .sgpr_spill_count: 63
    .symbol:         _ZN9rocsparseL35bsr2csr_block_per_row_33_256_kernelILj1024ELj256ELj32E21rocsparse_complex_numIfEilEEv20rocsparse_direction_T4_S4_21rocsparse_index_base_PKT2_PKT3_PKS4_S4_S5_PS6_PS9_PS4_.kd
    .uniform_work_group_size: 1
    .uses_dynamic_stack: false
    .vgpr_count:     87
    .vgpr_spill_count: 0
    .wavefront_size: 64
  - .agpr_count:     0
    .args:
      - .offset:         0
        .size:           8
        .value_kind:     by_value
      - .offset:         8
        .size:           8
        .value_kind:     by_value
      - .offset:         16
        .size:           4
        .value_kind:     by_value
      - .actual_access:  read_only
        .address_space:  global
        .offset:         24
        .size:           8
        .value_kind:     global_buffer
      - .actual_access:  read_only
        .address_space:  global
        .offset:         32
        .size:           8
        .value_kind:     global_buffer
      - .actual_access:  read_only
        .address_space:  global
        .offset:         40
        .size:           8
        .value_kind:     global_buffer
      - .offset:         48
        .size:           4
        .value_kind:     by_value
      - .actual_access:  write_only
        .address_space:  global
        .offset:         56
        .size:           8
        .value_kind:     global_buffer
      - .actual_access:  write_only
        .address_space:  global
        .offset:         64
        .size:           8
        .value_kind:     global_buffer
      - .actual_access:  write_only
        .address_space:  global
        .offset:         72
        .size:           8
        .value_kind:     global_buffer
      - .offset:         80
        .size:           4
        .value_kind:     hidden_block_count_x
      - .offset:         84
        .size:           4
        .value_kind:     hidden_block_count_y
      - .offset:         88
        .size:           4
        .value_kind:     hidden_block_count_z
      - .offset:         92
        .size:           2
        .value_kind:     hidden_group_size_x
      - .offset:         94
        .size:           2
        .value_kind:     hidden_group_size_y
      - .offset:         96
        .size:           2
        .value_kind:     hidden_group_size_z
      - .offset:         98
        .size:           2
        .value_kind:     hidden_remainder_x
      - .offset:         100
        .size:           2
        .value_kind:     hidden_remainder_y
      - .offset:         102
        .size:           2
        .value_kind:     hidden_remainder_z
      - .offset:         120
        .size:           8
        .value_kind:     hidden_global_offset_x
      - .offset:         128
        .size:           8
        .value_kind:     hidden_global_offset_y
      - .offset:         136
        .size:           8
        .value_kind:     hidden_global_offset_z
      - .offset:         144
        .size:           2
        .value_kind:     hidden_grid_dims
    .group_segment_fixed_size: 0
    .kernarg_segment_align: 8
    .kernarg_segment_size: 336
    .language:       OpenCL C
    .language_version:
      - 2
      - 0
    .max_flat_workgroup_size: 1024
    .name:           _ZN9rocsparseL35bsr2csr_block_dim_equals_one_kernelILj1024E21rocsparse_complex_numIfEllEEvT2_S3_21rocsparse_index_base_PKT0_PKT1_PKS3_S4_PS5_PS8_PS3_
    .private_segment_fixed_size: 0
    .sgpr_count:     30
    .sgpr_spill_count: 0
    .symbol:         _ZN9rocsparseL35bsr2csr_block_dim_equals_one_kernelILj1024E21rocsparse_complex_numIfEllEEvT2_S3_21rocsparse_index_base_PKT0_PKT1_PKS3_S4_PS5_PS8_PS3_.kd
    .uniform_work_group_size: 1
    .uses_dynamic_stack: false
    .vgpr_count:     20
    .vgpr_spill_count: 0
    .wavefront_size: 64
  - .agpr_count:     0
    .args:
      - .offset:         0
        .size:           4
        .value_kind:     by_value
      - .offset:         8
        .size:           8
        .value_kind:     by_value
      - .offset:         16
        .size:           8
        .value_kind:     by_value
      - .offset:         24
        .size:           4
        .value_kind:     by_value
      - .actual_access:  read_only
        .address_space:  global
        .offset:         32
        .size:           8
        .value_kind:     global_buffer
      - .actual_access:  read_only
        .address_space:  global
        .offset:         40
        .size:           8
        .value_kind:     global_buffer
      - .actual_access:  read_only
        .address_space:  global
        .offset:         48
        .size:           8
        .value_kind:     global_buffer
      - .offset:         56
        .size:           8
        .value_kind:     by_value
      - .offset:         64
        .size:           4
        .value_kind:     by_value
      - .actual_access:  write_only
        .address_space:  global
        .offset:         72
        .size:           8
        .value_kind:     global_buffer
      - .actual_access:  write_only
        .address_space:  global
        .offset:         80
        .size:           8
        .value_kind:     global_buffer
      - .actual_access:  write_only
        .address_space:  global
        .offset:         88
        .size:           8
        .value_kind:     global_buffer
    .group_segment_fixed_size: 0
    .kernarg_segment_align: 8
    .kernarg_segment_size: 96
    .language:       OpenCL C
    .language_version:
      - 2
      - 0
    .max_flat_workgroup_size: 256
    .name:           _ZN9rocsparseL32bsr2csr_block_per_row_2_7_kernelILj256ELj2E21rocsparse_complex_numIfEllEEv20rocsparse_direction_T3_S4_21rocsparse_index_base_PKT1_PKT2_PKS4_S4_S5_PS6_PS9_PS4_
    .private_segment_fixed_size: 0
    .sgpr_count:     28
    .sgpr_spill_count: 0
    .symbol:         _ZN9rocsparseL32bsr2csr_block_per_row_2_7_kernelILj256ELj2E21rocsparse_complex_numIfEllEEv20rocsparse_direction_T3_S4_21rocsparse_index_base_PKT1_PKT2_PKS4_S4_S5_PS6_PS9_PS4_.kd
    .uniform_work_group_size: 1
    .uses_dynamic_stack: false
    .vgpr_count:     24
    .vgpr_spill_count: 0
    .wavefront_size: 64
  - .agpr_count:     0
    .args:
      - .offset:         0
        .size:           4
        .value_kind:     by_value
      - .offset:         8
        .size:           8
        .value_kind:     by_value
      - .offset:         16
        .size:           8
        .value_kind:     by_value
      - .offset:         24
        .size:           4
        .value_kind:     by_value
      - .actual_access:  read_only
        .address_space:  global
        .offset:         32
        .size:           8
        .value_kind:     global_buffer
      - .actual_access:  read_only
        .address_space:  global
        .offset:         40
        .size:           8
        .value_kind:     global_buffer
      - .actual_access:  read_only
        .address_space:  global
        .offset:         48
        .size:           8
        .value_kind:     global_buffer
      - .offset:         56
        .size:           8
        .value_kind:     by_value
      - .offset:         64
        .size:           4
        .value_kind:     by_value
      - .actual_access:  write_only
        .address_space:  global
        .offset:         72
        .size:           8
        .value_kind:     global_buffer
      - .actual_access:  write_only
        .address_space:  global
        .offset:         80
        .size:           8
        .value_kind:     global_buffer
      - .actual_access:  write_only
        .address_space:  global
        .offset:         88
        .size:           8
        .value_kind:     global_buffer
    .group_segment_fixed_size: 0
    .kernarg_segment_align: 8
    .kernarg_segment_size: 96
    .language:       OpenCL C
    .language_version:
      - 2
      - 0
    .max_flat_workgroup_size: 256
    .name:           _ZN9rocsparseL32bsr2csr_block_per_row_2_7_kernelILj256ELj3E21rocsparse_complex_numIfEllEEv20rocsparse_direction_T3_S4_21rocsparse_index_base_PKT1_PKT2_PKS4_S4_S5_PS6_PS9_PS4_
    .private_segment_fixed_size: 0
    .sgpr_count:     26
    .sgpr_spill_count: 0
    .symbol:         _ZN9rocsparseL32bsr2csr_block_per_row_2_7_kernelILj256ELj3E21rocsparse_complex_numIfEllEEv20rocsparse_direction_T3_S4_21rocsparse_index_base_PKT1_PKT2_PKS4_S4_S5_PS6_PS9_PS4_.kd
    .uniform_work_group_size: 1
    .uses_dynamic_stack: false
    .vgpr_count:     28
    .vgpr_spill_count: 0
    .wavefront_size: 64
  - .agpr_count:     0
    .args:
      - .offset:         0
        .size:           4
        .value_kind:     by_value
      - .offset:         8
        .size:           8
        .value_kind:     by_value
      - .offset:         16
        .size:           8
        .value_kind:     by_value
      - .offset:         24
        .size:           4
        .value_kind:     by_value
      - .actual_access:  read_only
        .address_space:  global
        .offset:         32
        .size:           8
        .value_kind:     global_buffer
      - .actual_access:  read_only
        .address_space:  global
        .offset:         40
        .size:           8
        .value_kind:     global_buffer
      - .actual_access:  read_only
        .address_space:  global
        .offset:         48
        .size:           8
        .value_kind:     global_buffer
      - .offset:         56
        .size:           8
        .value_kind:     by_value
      - .offset:         64
        .size:           4
        .value_kind:     by_value
      - .actual_access:  write_only
        .address_space:  global
        .offset:         72
        .size:           8
        .value_kind:     global_buffer
      - .actual_access:  write_only
        .address_space:  global
        .offset:         80
        .size:           8
        .value_kind:     global_buffer
      - .actual_access:  write_only
        .address_space:  global
        .offset:         88
        .size:           8
        .value_kind:     global_buffer
    .group_segment_fixed_size: 0
    .kernarg_segment_align: 8
    .kernarg_segment_size: 96
    .language:       OpenCL C
    .language_version:
      - 2
      - 0
    .max_flat_workgroup_size: 256
    .name:           _ZN9rocsparseL32bsr2csr_block_per_row_2_7_kernelILj256ELj4E21rocsparse_complex_numIfEllEEv20rocsparse_direction_T3_S4_21rocsparse_index_base_PKT1_PKT2_PKS4_S4_S5_PS6_PS9_PS4_
    .private_segment_fixed_size: 0
    .sgpr_count:     34
    .sgpr_spill_count: 0
    .symbol:         _ZN9rocsparseL32bsr2csr_block_per_row_2_7_kernelILj256ELj4E21rocsparse_complex_numIfEllEEv20rocsparse_direction_T3_S4_21rocsparse_index_base_PKT1_PKT2_PKS4_S4_S5_PS6_PS9_PS4_.kd
    .uniform_work_group_size: 1
    .uses_dynamic_stack: false
    .vgpr_count:     28
    .vgpr_spill_count: 0
    .wavefront_size: 64
  - .agpr_count:     0
    .args:
      - .offset:         0
        .size:           4
        .value_kind:     by_value
      - .offset:         8
        .size:           8
        .value_kind:     by_value
      - .offset:         16
        .size:           8
        .value_kind:     by_value
      - .offset:         24
        .size:           4
        .value_kind:     by_value
      - .actual_access:  read_only
        .address_space:  global
        .offset:         32
        .size:           8
        .value_kind:     global_buffer
      - .actual_access:  read_only
        .address_space:  global
        .offset:         40
        .size:           8
        .value_kind:     global_buffer
      - .actual_access:  read_only
        .address_space:  global
        .offset:         48
        .size:           8
        .value_kind:     global_buffer
      - .offset:         56
        .size:           8
        .value_kind:     by_value
      - .offset:         64
        .size:           4
        .value_kind:     by_value
      - .actual_access:  write_only
        .address_space:  global
        .offset:         72
        .size:           8
        .value_kind:     global_buffer
      - .actual_access:  write_only
        .address_space:  global
        .offset:         80
        .size:           8
        .value_kind:     global_buffer
      - .actual_access:  write_only
        .address_space:  global
        .offset:         88
        .size:           8
        .value_kind:     global_buffer
    .group_segment_fixed_size: 0
    .kernarg_segment_align: 8
    .kernarg_segment_size: 96
    .language:       OpenCL C
    .language_version:
      - 2
      - 0
    .max_flat_workgroup_size: 256
    .name:           _ZN9rocsparseL32bsr2csr_block_per_row_2_7_kernelILj256ELj5E21rocsparse_complex_numIfEllEEv20rocsparse_direction_T3_S4_21rocsparse_index_base_PKT1_PKT2_PKS4_S4_S5_PS6_PS9_PS4_
    .private_segment_fixed_size: 0
    .sgpr_count:     26
    .sgpr_spill_count: 0
    .symbol:         _ZN9rocsparseL32bsr2csr_block_per_row_2_7_kernelILj256ELj5E21rocsparse_complex_numIfEllEEv20rocsparse_direction_T3_S4_21rocsparse_index_base_PKT1_PKT2_PKS4_S4_S5_PS6_PS9_PS4_.kd
    .uniform_work_group_size: 1
    .uses_dynamic_stack: false
    .vgpr_count:     34
    .vgpr_spill_count: 0
    .wavefront_size: 64
  - .agpr_count:     0
    .args:
      - .offset:         0
        .size:           4
        .value_kind:     by_value
      - .offset:         8
        .size:           8
        .value_kind:     by_value
      - .offset:         16
        .size:           8
        .value_kind:     by_value
      - .offset:         24
        .size:           4
        .value_kind:     by_value
      - .actual_access:  read_only
        .address_space:  global
        .offset:         32
        .size:           8
        .value_kind:     global_buffer
      - .actual_access:  read_only
        .address_space:  global
        .offset:         40
        .size:           8
        .value_kind:     global_buffer
      - .actual_access:  read_only
        .address_space:  global
        .offset:         48
        .size:           8
        .value_kind:     global_buffer
      - .offset:         56
        .size:           8
        .value_kind:     by_value
      - .offset:         64
        .size:           4
        .value_kind:     by_value
      - .actual_access:  write_only
        .address_space:  global
        .offset:         72
        .size:           8
        .value_kind:     global_buffer
      - .actual_access:  write_only
        .address_space:  global
        .offset:         80
        .size:           8
        .value_kind:     global_buffer
      - .actual_access:  write_only
        .address_space:  global
        .offset:         88
        .size:           8
        .value_kind:     global_buffer
    .group_segment_fixed_size: 0
    .kernarg_segment_align: 8
    .kernarg_segment_size: 96
    .language:       OpenCL C
    .language_version:
      - 2
      - 0
    .max_flat_workgroup_size: 256
    .name:           _ZN9rocsparseL32bsr2csr_block_per_row_2_7_kernelILj256ELj6E21rocsparse_complex_numIfEllEEv20rocsparse_direction_T3_S4_21rocsparse_index_base_PKT1_PKT2_PKS4_S4_S5_PS6_PS9_PS4_
    .private_segment_fixed_size: 0
    .sgpr_count:     27
    .sgpr_spill_count: 0
    .symbol:         _ZN9rocsparseL32bsr2csr_block_per_row_2_7_kernelILj256ELj6E21rocsparse_complex_numIfEllEEv20rocsparse_direction_T3_S4_21rocsparse_index_base_PKT1_PKT2_PKS4_S4_S5_PS6_PS9_PS4_.kd
    .uniform_work_group_size: 1
    .uses_dynamic_stack: false
    .vgpr_count:     38
    .vgpr_spill_count: 0
    .wavefront_size: 64
  - .agpr_count:     0
    .args:
      - .offset:         0
        .size:           4
        .value_kind:     by_value
      - .offset:         8
        .size:           8
        .value_kind:     by_value
      - .offset:         16
        .size:           8
        .value_kind:     by_value
      - .offset:         24
        .size:           4
        .value_kind:     by_value
      - .actual_access:  read_only
        .address_space:  global
        .offset:         32
        .size:           8
        .value_kind:     global_buffer
      - .actual_access:  read_only
        .address_space:  global
        .offset:         40
        .size:           8
        .value_kind:     global_buffer
      - .actual_access:  read_only
        .address_space:  global
        .offset:         48
        .size:           8
        .value_kind:     global_buffer
      - .offset:         56
        .size:           8
        .value_kind:     by_value
      - .offset:         64
        .size:           4
        .value_kind:     by_value
      - .actual_access:  write_only
        .address_space:  global
        .offset:         72
        .size:           8
        .value_kind:     global_buffer
      - .actual_access:  write_only
        .address_space:  global
        .offset:         80
        .size:           8
        .value_kind:     global_buffer
      - .actual_access:  write_only
        .address_space:  global
        .offset:         88
        .size:           8
        .value_kind:     global_buffer
    .group_segment_fixed_size: 0
    .kernarg_segment_align: 8
    .kernarg_segment_size: 96
    .language:       OpenCL C
    .language_version:
      - 2
      - 0
    .max_flat_workgroup_size: 256
    .name:           _ZN9rocsparseL32bsr2csr_block_per_row_2_7_kernelILj256ELj7E21rocsparse_complex_numIfEllEEv20rocsparse_direction_T3_S4_21rocsparse_index_base_PKT1_PKT2_PKS4_S4_S5_PS6_PS9_PS4_
    .private_segment_fixed_size: 0
    .sgpr_count:     30
    .sgpr_spill_count: 0
    .symbol:         _ZN9rocsparseL32bsr2csr_block_per_row_2_7_kernelILj256ELj7E21rocsparse_complex_numIfEllEEv20rocsparse_direction_T3_S4_21rocsparse_index_base_PKT1_PKT2_PKS4_S4_S5_PS6_PS9_PS4_.kd
    .uniform_work_group_size: 1
    .uses_dynamic_stack: false
    .vgpr_count:     42
    .vgpr_spill_count: 0
    .wavefront_size: 64
  - .agpr_count:     0
    .args:
      - .offset:         0
        .size:           4
        .value_kind:     by_value
      - .offset:         8
        .size:           8
        .value_kind:     by_value
      - .offset:         16
        .size:           8
        .value_kind:     by_value
      - .offset:         24
        .size:           4
        .value_kind:     by_value
      - .actual_access:  read_only
        .address_space:  global
        .offset:         32
        .size:           8
        .value_kind:     global_buffer
      - .actual_access:  read_only
        .address_space:  global
        .offset:         40
        .size:           8
        .value_kind:     global_buffer
      - .actual_access:  read_only
        .address_space:  global
        .offset:         48
        .size:           8
        .value_kind:     global_buffer
      - .offset:         56
        .size:           8
        .value_kind:     by_value
      - .offset:         64
        .size:           4
        .value_kind:     by_value
      - .actual_access:  write_only
        .address_space:  global
        .offset:         72
        .size:           8
        .value_kind:     global_buffer
      - .actual_access:  write_only
        .address_space:  global
        .offset:         80
        .size:           8
        .value_kind:     global_buffer
      - .actual_access:  write_only
        .address_space:  global
        .offset:         88
        .size:           8
        .value_kind:     global_buffer
    .group_segment_fixed_size: 0
    .kernarg_segment_align: 8
    .kernarg_segment_size: 96
    .language:       OpenCL C
    .language_version:
      - 2
      - 0
    .max_flat_workgroup_size: 1024
    .name:           _ZN9rocsparseL33bsr2csr_block_per_row_8_32_kernelILj1024ELj8E21rocsparse_complex_numIfEllEEv20rocsparse_direction_T3_S4_21rocsparse_index_base_PKT1_PKT2_PKS4_S4_S5_PS6_PS9_PS4_
    .private_segment_fixed_size: 0
    .sgpr_count:     30
    .sgpr_spill_count: 0
    .symbol:         _ZN9rocsparseL33bsr2csr_block_per_row_8_32_kernelILj1024ELj8E21rocsparse_complex_numIfEllEEv20rocsparse_direction_T3_S4_21rocsparse_index_base_PKT1_PKT2_PKS4_S4_S5_PS6_PS9_PS4_.kd
    .uniform_work_group_size: 1
    .uses_dynamic_stack: false
    .vgpr_count:     22
    .vgpr_spill_count: 0
    .wavefront_size: 64
  - .agpr_count:     0
    .args:
      - .offset:         0
        .size:           4
        .value_kind:     by_value
      - .offset:         8
        .size:           8
        .value_kind:     by_value
      - .offset:         16
        .size:           8
        .value_kind:     by_value
      - .offset:         24
        .size:           4
        .value_kind:     by_value
      - .actual_access:  read_only
        .address_space:  global
        .offset:         32
        .size:           8
        .value_kind:     global_buffer
      - .actual_access:  read_only
        .address_space:  global
        .offset:         40
        .size:           8
        .value_kind:     global_buffer
      - .actual_access:  read_only
        .address_space:  global
        .offset:         48
        .size:           8
        .value_kind:     global_buffer
      - .offset:         56
        .size:           8
        .value_kind:     by_value
      - .offset:         64
        .size:           4
        .value_kind:     by_value
      - .actual_access:  write_only
        .address_space:  global
        .offset:         72
        .size:           8
        .value_kind:     global_buffer
      - .actual_access:  write_only
        .address_space:  global
        .offset:         80
        .size:           8
        .value_kind:     global_buffer
      - .actual_access:  write_only
        .address_space:  global
        .offset:         88
        .size:           8
        .value_kind:     global_buffer
    .group_segment_fixed_size: 0
    .kernarg_segment_align: 8
    .kernarg_segment_size: 96
    .language:       OpenCL C
    .language_version:
      - 2
      - 0
    .max_flat_workgroup_size: 1024
    .name:           _ZN9rocsparseL33bsr2csr_block_per_row_8_32_kernelILj1024ELj16E21rocsparse_complex_numIfEllEEv20rocsparse_direction_T3_S4_21rocsparse_index_base_PKT1_PKT2_PKS4_S4_S5_PS6_PS9_PS4_
    .private_segment_fixed_size: 0
    .sgpr_count:     30
    .sgpr_spill_count: 0
    .symbol:         _ZN9rocsparseL33bsr2csr_block_per_row_8_32_kernelILj1024ELj16E21rocsparse_complex_numIfEllEEv20rocsparse_direction_T3_S4_21rocsparse_index_base_PKT1_PKT2_PKS4_S4_S5_PS6_PS9_PS4_.kd
    .uniform_work_group_size: 1
    .uses_dynamic_stack: false
    .vgpr_count:     21
    .vgpr_spill_count: 0
    .wavefront_size: 64
  - .agpr_count:     0
    .args:
      - .offset:         0
        .size:           4
        .value_kind:     by_value
      - .offset:         8
        .size:           8
        .value_kind:     by_value
      - .offset:         16
        .size:           8
        .value_kind:     by_value
      - .offset:         24
        .size:           4
        .value_kind:     by_value
      - .actual_access:  read_only
        .address_space:  global
        .offset:         32
        .size:           8
        .value_kind:     global_buffer
      - .actual_access:  read_only
        .address_space:  global
        .offset:         40
        .size:           8
        .value_kind:     global_buffer
      - .actual_access:  read_only
        .address_space:  global
        .offset:         48
        .size:           8
        .value_kind:     global_buffer
      - .offset:         56
        .size:           8
        .value_kind:     by_value
      - .offset:         64
        .size:           4
        .value_kind:     by_value
      - .actual_access:  write_only
        .address_space:  global
        .offset:         72
        .size:           8
        .value_kind:     global_buffer
      - .actual_access:  write_only
        .address_space:  global
        .offset:         80
        .size:           8
        .value_kind:     global_buffer
      - .actual_access:  write_only
        .address_space:  global
        .offset:         88
        .size:           8
        .value_kind:     global_buffer
    .group_segment_fixed_size: 0
    .kernarg_segment_align: 8
    .kernarg_segment_size: 96
    .language:       OpenCL C
    .language_version:
      - 2
      - 0
    .max_flat_workgroup_size: 1024
    .name:           _ZN9rocsparseL33bsr2csr_block_per_row_8_32_kernelILj1024ELj32E21rocsparse_complex_numIfEllEEv20rocsparse_direction_T3_S4_21rocsparse_index_base_PKT1_PKT2_PKS4_S4_S5_PS6_PS9_PS4_
    .private_segment_fixed_size: 0
    .sgpr_count:     33
    .sgpr_spill_count: 0
    .symbol:         _ZN9rocsparseL33bsr2csr_block_per_row_8_32_kernelILj1024ELj32E21rocsparse_complex_numIfEllEEv20rocsparse_direction_T3_S4_21rocsparse_index_base_PKT1_PKT2_PKS4_S4_S5_PS6_PS9_PS4_.kd
    .uniform_work_group_size: 1
    .uses_dynamic_stack: false
    .vgpr_count:     22
    .vgpr_spill_count: 0
    .wavefront_size: 64
  - .agpr_count:     0
    .args:
      - .offset:         0
        .size:           4
        .value_kind:     by_value
      - .offset:         8
        .size:           8
        .value_kind:     by_value
      - .offset:         16
        .size:           8
        .value_kind:     by_value
      - .offset:         24
        .size:           4
        .value_kind:     by_value
      - .actual_access:  read_only
        .address_space:  global
        .offset:         32
        .size:           8
        .value_kind:     global_buffer
      - .actual_access:  read_only
        .address_space:  global
        .offset:         40
        .size:           8
        .value_kind:     global_buffer
      - .actual_access:  read_only
        .address_space:  global
        .offset:         48
        .size:           8
        .value_kind:     global_buffer
      - .offset:         56
        .size:           8
        .value_kind:     by_value
      - .offset:         64
        .size:           4
        .value_kind:     by_value
      - .actual_access:  write_only
        .address_space:  global
        .offset:         72
        .size:           8
        .value_kind:     global_buffer
      - .actual_access:  write_only
        .address_space:  global
        .offset:         80
        .size:           8
        .value_kind:     global_buffer
      - .actual_access:  write_only
        .address_space:  global
        .offset:         88
        .size:           8
        .value_kind:     global_buffer
    .group_segment_fixed_size: 0
    .kernarg_segment_align: 8
    .kernarg_segment_size: 96
    .language:       OpenCL C
    .language_version:
      - 2
      - 0
    .max_flat_workgroup_size: 1024
    .name:           _ZN9rocsparseL35bsr2csr_block_per_row_33_256_kernelILj1024ELj64ELj32E21rocsparse_complex_numIfEllEEv20rocsparse_direction_T4_S4_21rocsparse_index_base_PKT2_PKT3_PKS4_S4_S5_PS6_PS9_PS4_
    .private_segment_fixed_size: 0
    .sgpr_count:     47
    .sgpr_spill_count: 0
    .symbol:         _ZN9rocsparseL35bsr2csr_block_per_row_33_256_kernelILj1024ELj64ELj32E21rocsparse_complex_numIfEllEEv20rocsparse_direction_T4_S4_21rocsparse_index_base_PKT2_PKT3_PKS4_S4_S5_PS6_PS9_PS4_.kd
    .uniform_work_group_size: 1
    .uses_dynamic_stack: false
    .vgpr_count:     28
    .vgpr_spill_count: 0
    .wavefront_size: 64
  - .agpr_count:     0
    .args:
      - .offset:         0
        .size:           4
        .value_kind:     by_value
      - .offset:         8
        .size:           8
        .value_kind:     by_value
      - .offset:         16
        .size:           8
        .value_kind:     by_value
      - .offset:         24
        .size:           4
        .value_kind:     by_value
      - .actual_access:  read_only
        .address_space:  global
        .offset:         32
        .size:           8
        .value_kind:     global_buffer
      - .actual_access:  read_only
        .address_space:  global
        .offset:         40
        .size:           8
        .value_kind:     global_buffer
      - .actual_access:  read_only
        .address_space:  global
        .offset:         48
        .size:           8
        .value_kind:     global_buffer
      - .offset:         56
        .size:           8
        .value_kind:     by_value
      - .offset:         64
        .size:           4
        .value_kind:     by_value
      - .actual_access:  write_only
        .address_space:  global
        .offset:         72
        .size:           8
        .value_kind:     global_buffer
      - .actual_access:  write_only
        .address_space:  global
        .offset:         80
        .size:           8
        .value_kind:     global_buffer
      - .actual_access:  write_only
        .address_space:  global
        .offset:         88
        .size:           8
        .value_kind:     global_buffer
    .group_segment_fixed_size: 0
    .kernarg_segment_align: 8
    .kernarg_segment_size: 96
    .language:       OpenCL C
    .language_version:
      - 2
      - 0
    .max_flat_workgroup_size: 1024
    .name:           _ZN9rocsparseL35bsr2csr_block_per_row_33_256_kernelILj1024ELj128ELj32E21rocsparse_complex_numIfEllEEv20rocsparse_direction_T4_S4_21rocsparse_index_base_PKT2_PKT3_PKS4_S4_S5_PS6_PS9_PS4_
    .private_segment_fixed_size: 0
    .sgpr_count:     73
    .sgpr_spill_count: 0
    .symbol:         _ZN9rocsparseL35bsr2csr_block_per_row_33_256_kernelILj1024ELj128ELj32E21rocsparse_complex_numIfEllEEv20rocsparse_direction_T4_S4_21rocsparse_index_base_PKT2_PKT3_PKS4_S4_S5_PS6_PS9_PS4_.kd
    .uniform_work_group_size: 1
    .uses_dynamic_stack: false
    .vgpr_count:     48
    .vgpr_spill_count: 0
    .wavefront_size: 64
  - .agpr_count:     0
    .args:
      - .offset:         0
        .size:           4
        .value_kind:     by_value
      - .offset:         8
        .size:           8
        .value_kind:     by_value
      - .offset:         16
        .size:           8
        .value_kind:     by_value
      - .offset:         24
        .size:           4
        .value_kind:     by_value
      - .actual_access:  read_only
        .address_space:  global
        .offset:         32
        .size:           8
        .value_kind:     global_buffer
      - .actual_access:  read_only
        .address_space:  global
        .offset:         40
        .size:           8
        .value_kind:     global_buffer
      - .actual_access:  read_only
        .address_space:  global
        .offset:         48
        .size:           8
        .value_kind:     global_buffer
      - .offset:         56
        .size:           8
        .value_kind:     by_value
      - .offset:         64
        .size:           4
        .value_kind:     by_value
      - .actual_access:  write_only
        .address_space:  global
        .offset:         72
        .size:           8
        .value_kind:     global_buffer
      - .actual_access:  write_only
        .address_space:  global
        .offset:         80
        .size:           8
        .value_kind:     global_buffer
      - .actual_access:  write_only
        .address_space:  global
        .offset:         88
        .size:           8
        .value_kind:     global_buffer
    .group_segment_fixed_size: 0
    .kernarg_segment_align: 8
    .kernarg_segment_size: 96
    .language:       OpenCL C
    .language_version:
      - 2
      - 0
    .max_flat_workgroup_size: 1024
    .name:           _ZN9rocsparseL35bsr2csr_block_per_row_33_256_kernelILj1024ELj256ELj32E21rocsparse_complex_numIfEllEEv20rocsparse_direction_T4_S4_21rocsparse_index_base_PKT2_PKT3_PKS4_S4_S5_PS6_PS9_PS4_
    .private_segment_fixed_size: 0
    .sgpr_count:     100
    .sgpr_spill_count: 104
    .symbol:         _ZN9rocsparseL35bsr2csr_block_per_row_33_256_kernelILj1024ELj256ELj32E21rocsparse_complex_numIfEllEEv20rocsparse_direction_T4_S4_21rocsparse_index_base_PKT2_PKT3_PKS4_S4_S5_PS6_PS9_PS4_.kd
    .uniform_work_group_size: 1
    .uses_dynamic_stack: false
    .vgpr_count:     78
    .vgpr_spill_count: 0
    .wavefront_size: 64
  - .agpr_count:     0
    .args:
      - .offset:         0
        .size:           4
        .value_kind:     by_value
      - .offset:         4
        .size:           4
        .value_kind:     by_value
      - .offset:         8
        .size:           4
        .value_kind:     by_value
      - .actual_access:  read_only
        .address_space:  global
        .offset:         16
        .size:           8
        .value_kind:     global_buffer
      - .actual_access:  read_only
        .address_space:  global
        .offset:         24
        .size:           8
        .value_kind:     global_buffer
      - .actual_access:  read_only
        .address_space:  global
        .offset:         32
        .size:           8
        .value_kind:     global_buffer
      - .offset:         40
        .size:           4
        .value_kind:     by_value
      - .actual_access:  write_only
        .address_space:  global
        .offset:         48
        .size:           8
        .value_kind:     global_buffer
      - .actual_access:  write_only
        .address_space:  global
        .offset:         56
        .size:           8
        .value_kind:     global_buffer
      - .actual_access:  write_only
        .address_space:  global
        .offset:         64
        .size:           8
        .value_kind:     global_buffer
      - .offset:         72
        .size:           4
        .value_kind:     hidden_block_count_x
      - .offset:         76
        .size:           4
        .value_kind:     hidden_block_count_y
      - .offset:         80
        .size:           4
        .value_kind:     hidden_block_count_z
      - .offset:         84
        .size:           2
        .value_kind:     hidden_group_size_x
      - .offset:         86
        .size:           2
        .value_kind:     hidden_group_size_y
      - .offset:         88
        .size:           2
        .value_kind:     hidden_group_size_z
      - .offset:         90
        .size:           2
        .value_kind:     hidden_remainder_x
      - .offset:         92
        .size:           2
        .value_kind:     hidden_remainder_y
      - .offset:         94
        .size:           2
        .value_kind:     hidden_remainder_z
      - .offset:         112
        .size:           8
        .value_kind:     hidden_global_offset_x
      - .offset:         120
        .size:           8
        .value_kind:     hidden_global_offset_y
      - .offset:         128
        .size:           8
        .value_kind:     hidden_global_offset_z
      - .offset:         136
        .size:           2
        .value_kind:     hidden_grid_dims
    .group_segment_fixed_size: 0
    .kernarg_segment_align: 8
    .kernarg_segment_size: 328
    .language:       OpenCL C
    .language_version:
      - 2
      - 0
    .max_flat_workgroup_size: 1024
    .name:           _ZN9rocsparseL35bsr2csr_block_dim_equals_one_kernelILj1024EdiiEEvT2_S1_21rocsparse_index_base_PKT0_PKT1_PKS1_S2_PS3_PS6_PS1_
    .private_segment_fixed_size: 0
    .sgpr_count:     27
    .sgpr_spill_count: 0
    .symbol:         _ZN9rocsparseL35bsr2csr_block_dim_equals_one_kernelILj1024EdiiEEvT2_S1_21rocsparse_index_base_PKT0_PKT1_PKS1_S2_PS3_PS6_PS1_.kd
    .uniform_work_group_size: 1
    .uses_dynamic_stack: false
    .vgpr_count:     13
    .vgpr_spill_count: 0
    .wavefront_size: 64
  - .agpr_count:     0
    .args:
      - .offset:         0
        .size:           4
        .value_kind:     by_value
      - .offset:         4
        .size:           4
        .value_kind:     by_value
      - .offset:         8
        .size:           4
        .value_kind:     by_value
      - .offset:         12
        .size:           4
        .value_kind:     by_value
      - .actual_access:  read_only
        .address_space:  global
        .offset:         16
        .size:           8
        .value_kind:     global_buffer
      - .actual_access:  read_only
        .address_space:  global
        .offset:         24
        .size:           8
        .value_kind:     global_buffer
      - .actual_access:  read_only
        .address_space:  global
        .offset:         32
        .size:           8
        .value_kind:     global_buffer
      - .offset:         40
        .size:           4
        .value_kind:     by_value
      - .offset:         44
        .size:           4
        .value_kind:     by_value
      - .actual_access:  write_only
        .address_space:  global
        .offset:         48
        .size:           8
        .value_kind:     global_buffer
      - .actual_access:  write_only
        .address_space:  global
        .offset:         56
        .size:           8
        .value_kind:     global_buffer
      - .actual_access:  write_only
        .address_space:  global
        .offset:         64
        .size:           8
        .value_kind:     global_buffer
    .group_segment_fixed_size: 0
    .kernarg_segment_align: 8
    .kernarg_segment_size: 72
    .language:       OpenCL C
    .language_version:
      - 2
      - 0
    .max_flat_workgroup_size: 256
    .name:           _ZN9rocsparseL32bsr2csr_block_per_row_2_7_kernelILj256ELj2EdiiEEv20rocsparse_direction_T3_S2_21rocsparse_index_base_PKT1_PKT2_PKS2_S2_S3_PS4_PS7_PS2_
    .private_segment_fixed_size: 0
    .sgpr_count:     19
    .sgpr_spill_count: 0
    .symbol:         _ZN9rocsparseL32bsr2csr_block_per_row_2_7_kernelILj256ELj2EdiiEEv20rocsparse_direction_T3_S2_21rocsparse_index_base_PKT1_PKT2_PKS2_S2_S3_PS4_PS7_PS2_.kd
    .uniform_work_group_size: 1
    .uses_dynamic_stack: false
    .vgpr_count:     22
    .vgpr_spill_count: 0
    .wavefront_size: 64
  - .agpr_count:     0
    .args:
      - .offset:         0
        .size:           4
        .value_kind:     by_value
      - .offset:         4
        .size:           4
        .value_kind:     by_value
      - .offset:         8
        .size:           4
        .value_kind:     by_value
      - .offset:         12
        .size:           4
        .value_kind:     by_value
      - .actual_access:  read_only
        .address_space:  global
        .offset:         16
        .size:           8
        .value_kind:     global_buffer
      - .actual_access:  read_only
        .address_space:  global
        .offset:         24
        .size:           8
        .value_kind:     global_buffer
      - .actual_access:  read_only
        .address_space:  global
        .offset:         32
        .size:           8
        .value_kind:     global_buffer
      - .offset:         40
        .size:           4
        .value_kind:     by_value
      - .offset:         44
        .size:           4
        .value_kind:     by_value
      - .actual_access:  write_only
        .address_space:  global
        .offset:         48
        .size:           8
        .value_kind:     global_buffer
      - .actual_access:  write_only
        .address_space:  global
        .offset:         56
        .size:           8
        .value_kind:     global_buffer
      - .actual_access:  write_only
        .address_space:  global
        .offset:         64
        .size:           8
        .value_kind:     global_buffer
    .group_segment_fixed_size: 0
    .kernarg_segment_align: 8
    .kernarg_segment_size: 72
    .language:       OpenCL C
    .language_version:
      - 2
      - 0
    .max_flat_workgroup_size: 256
    .name:           _ZN9rocsparseL32bsr2csr_block_per_row_2_7_kernelILj256ELj3EdiiEEv20rocsparse_direction_T3_S2_21rocsparse_index_base_PKT1_PKT2_PKS2_S2_S3_PS4_PS7_PS2_
    .private_segment_fixed_size: 0
    .sgpr_count:     20
    .sgpr_spill_count: 0
    .symbol:         _ZN9rocsparseL32bsr2csr_block_per_row_2_7_kernelILj256ELj3EdiiEEv20rocsparse_direction_T3_S2_21rocsparse_index_base_PKT1_PKT2_PKS2_S2_S3_PS4_PS7_PS2_.kd
    .uniform_work_group_size: 1
    .uses_dynamic_stack: false
    .vgpr_count:     28
    .vgpr_spill_count: 0
    .wavefront_size: 64
  - .agpr_count:     0
    .args:
      - .offset:         0
        .size:           4
        .value_kind:     by_value
      - .offset:         4
        .size:           4
        .value_kind:     by_value
      - .offset:         8
        .size:           4
        .value_kind:     by_value
      - .offset:         12
        .size:           4
        .value_kind:     by_value
      - .actual_access:  read_only
        .address_space:  global
        .offset:         16
        .size:           8
        .value_kind:     global_buffer
      - .actual_access:  read_only
        .address_space:  global
        .offset:         24
        .size:           8
        .value_kind:     global_buffer
      - .actual_access:  read_only
        .address_space:  global
        .offset:         32
        .size:           8
        .value_kind:     global_buffer
      - .offset:         40
        .size:           4
        .value_kind:     by_value
      - .offset:         44
        .size:           4
        .value_kind:     by_value
      - .actual_access:  write_only
        .address_space:  global
        .offset:         48
        .size:           8
        .value_kind:     global_buffer
      - .actual_access:  write_only
        .address_space:  global
        .offset:         56
        .size:           8
        .value_kind:     global_buffer
      - .actual_access:  write_only
        .address_space:  global
        .offset:         64
        .size:           8
        .value_kind:     global_buffer
    .group_segment_fixed_size: 0
    .kernarg_segment_align: 8
    .kernarg_segment_size: 72
    .language:       OpenCL C
    .language_version:
      - 2
      - 0
    .max_flat_workgroup_size: 256
    .name:           _ZN9rocsparseL32bsr2csr_block_per_row_2_7_kernelILj256ELj4EdiiEEv20rocsparse_direction_T3_S2_21rocsparse_index_base_PKT1_PKT2_PKS2_S2_S3_PS4_PS7_PS2_
    .private_segment_fixed_size: 0
    .sgpr_count:     19
    .sgpr_spill_count: 0
    .symbol:         _ZN9rocsparseL32bsr2csr_block_per_row_2_7_kernelILj256ELj4EdiiEEv20rocsparse_direction_T3_S2_21rocsparse_index_base_PKT1_PKT2_PKS2_S2_S3_PS4_PS7_PS2_.kd
    .uniform_work_group_size: 1
    .uses_dynamic_stack: false
    .vgpr_count:     30
    .vgpr_spill_count: 0
    .wavefront_size: 64
  - .agpr_count:     0
    .args:
      - .offset:         0
        .size:           4
        .value_kind:     by_value
      - .offset:         4
        .size:           4
        .value_kind:     by_value
      - .offset:         8
        .size:           4
        .value_kind:     by_value
      - .offset:         12
        .size:           4
        .value_kind:     by_value
      - .actual_access:  read_only
        .address_space:  global
        .offset:         16
        .size:           8
        .value_kind:     global_buffer
      - .actual_access:  read_only
        .address_space:  global
        .offset:         24
        .size:           8
        .value_kind:     global_buffer
      - .actual_access:  read_only
        .address_space:  global
        .offset:         32
        .size:           8
        .value_kind:     global_buffer
      - .offset:         40
        .size:           4
        .value_kind:     by_value
      - .offset:         44
        .size:           4
        .value_kind:     by_value
      - .actual_access:  write_only
        .address_space:  global
        .offset:         48
        .size:           8
        .value_kind:     global_buffer
      - .actual_access:  write_only
        .address_space:  global
        .offset:         56
        .size:           8
        .value_kind:     global_buffer
      - .actual_access:  write_only
        .address_space:  global
        .offset:         64
        .size:           8
        .value_kind:     global_buffer
    .group_segment_fixed_size: 0
    .kernarg_segment_align: 8
    .kernarg_segment_size: 72
    .language:       OpenCL C
    .language_version:
      - 2
      - 0
    .max_flat_workgroup_size: 256
    .name:           _ZN9rocsparseL32bsr2csr_block_per_row_2_7_kernelILj256ELj5EdiiEEv20rocsparse_direction_T3_S2_21rocsparse_index_base_PKT1_PKT2_PKS2_S2_S3_PS4_PS7_PS2_
    .private_segment_fixed_size: 0
    .sgpr_count:     20
    .sgpr_spill_count: 0
    .symbol:         _ZN9rocsparseL32bsr2csr_block_per_row_2_7_kernelILj256ELj5EdiiEEv20rocsparse_direction_T3_S2_21rocsparse_index_base_PKT1_PKT2_PKS2_S2_S3_PS4_PS7_PS2_.kd
    .uniform_work_group_size: 1
    .uses_dynamic_stack: false
    .vgpr_count:     32
    .vgpr_spill_count: 0
    .wavefront_size: 64
  - .agpr_count:     0
    .args:
      - .offset:         0
        .size:           4
        .value_kind:     by_value
      - .offset:         4
        .size:           4
        .value_kind:     by_value
      - .offset:         8
        .size:           4
        .value_kind:     by_value
      - .offset:         12
        .size:           4
        .value_kind:     by_value
      - .actual_access:  read_only
        .address_space:  global
        .offset:         16
        .size:           8
        .value_kind:     global_buffer
      - .actual_access:  read_only
        .address_space:  global
        .offset:         24
        .size:           8
        .value_kind:     global_buffer
      - .actual_access:  read_only
        .address_space:  global
        .offset:         32
        .size:           8
        .value_kind:     global_buffer
      - .offset:         40
        .size:           4
        .value_kind:     by_value
      - .offset:         44
        .size:           4
        .value_kind:     by_value
      - .actual_access:  write_only
        .address_space:  global
        .offset:         48
        .size:           8
        .value_kind:     global_buffer
      - .actual_access:  write_only
        .address_space:  global
        .offset:         56
        .size:           8
        .value_kind:     global_buffer
      - .actual_access:  write_only
        .address_space:  global
        .offset:         64
        .size:           8
        .value_kind:     global_buffer
    .group_segment_fixed_size: 0
    .kernarg_segment_align: 8
    .kernarg_segment_size: 72
    .language:       OpenCL C
    .language_version:
      - 2
      - 0
    .max_flat_workgroup_size: 256
    .name:           _ZN9rocsparseL32bsr2csr_block_per_row_2_7_kernelILj256ELj6EdiiEEv20rocsparse_direction_T3_S2_21rocsparse_index_base_PKT1_PKT2_PKS2_S2_S3_PS4_PS7_PS2_
    .private_segment_fixed_size: 0
    .sgpr_count:     20
    .sgpr_spill_count: 0
    .symbol:         _ZN9rocsparseL32bsr2csr_block_per_row_2_7_kernelILj256ELj6EdiiEEv20rocsparse_direction_T3_S2_21rocsparse_index_base_PKT1_PKT2_PKS2_S2_S3_PS4_PS7_PS2_.kd
    .uniform_work_group_size: 1
    .uses_dynamic_stack: false
    .vgpr_count:     34
    .vgpr_spill_count: 0
    .wavefront_size: 64
  - .agpr_count:     0
    .args:
      - .offset:         0
        .size:           4
        .value_kind:     by_value
      - .offset:         4
        .size:           4
        .value_kind:     by_value
      - .offset:         8
        .size:           4
        .value_kind:     by_value
      - .offset:         12
        .size:           4
        .value_kind:     by_value
      - .actual_access:  read_only
        .address_space:  global
        .offset:         16
        .size:           8
        .value_kind:     global_buffer
      - .actual_access:  read_only
        .address_space:  global
        .offset:         24
        .size:           8
        .value_kind:     global_buffer
      - .actual_access:  read_only
        .address_space:  global
        .offset:         32
        .size:           8
        .value_kind:     global_buffer
      - .offset:         40
        .size:           4
        .value_kind:     by_value
      - .offset:         44
        .size:           4
        .value_kind:     by_value
      - .actual_access:  write_only
        .address_space:  global
        .offset:         48
        .size:           8
        .value_kind:     global_buffer
      - .actual_access:  write_only
        .address_space:  global
        .offset:         56
        .size:           8
        .value_kind:     global_buffer
      - .actual_access:  write_only
        .address_space:  global
        .offset:         64
        .size:           8
        .value_kind:     global_buffer
    .group_segment_fixed_size: 0
    .kernarg_segment_align: 8
    .kernarg_segment_size: 72
    .language:       OpenCL C
    .language_version:
      - 2
      - 0
    .max_flat_workgroup_size: 256
    .name:           _ZN9rocsparseL32bsr2csr_block_per_row_2_7_kernelILj256ELj7EdiiEEv20rocsparse_direction_T3_S2_21rocsparse_index_base_PKT1_PKT2_PKS2_S2_S3_PS4_PS7_PS2_
    .private_segment_fixed_size: 0
    .sgpr_count:     20
    .sgpr_spill_count: 0
    .symbol:         _ZN9rocsparseL32bsr2csr_block_per_row_2_7_kernelILj256ELj7EdiiEEv20rocsparse_direction_T3_S2_21rocsparse_index_base_PKT1_PKT2_PKS2_S2_S3_PS4_PS7_PS2_.kd
    .uniform_work_group_size: 1
    .uses_dynamic_stack: false
    .vgpr_count:     36
    .vgpr_spill_count: 0
    .wavefront_size: 64
  - .agpr_count:     0
    .args:
      - .offset:         0
        .size:           4
        .value_kind:     by_value
      - .offset:         4
        .size:           4
        .value_kind:     by_value
      - .offset:         8
        .size:           4
        .value_kind:     by_value
      - .offset:         12
        .size:           4
        .value_kind:     by_value
      - .actual_access:  read_only
        .address_space:  global
        .offset:         16
        .size:           8
        .value_kind:     global_buffer
      - .actual_access:  read_only
        .address_space:  global
        .offset:         24
        .size:           8
        .value_kind:     global_buffer
      - .actual_access:  read_only
        .address_space:  global
        .offset:         32
        .size:           8
        .value_kind:     global_buffer
      - .offset:         40
        .size:           4
        .value_kind:     by_value
      - .offset:         44
        .size:           4
        .value_kind:     by_value
      - .actual_access:  write_only
        .address_space:  global
        .offset:         48
        .size:           8
        .value_kind:     global_buffer
      - .actual_access:  write_only
        .address_space:  global
        .offset:         56
        .size:           8
        .value_kind:     global_buffer
      - .actual_access:  write_only
        .address_space:  global
        .offset:         64
        .size:           8
        .value_kind:     global_buffer
    .group_segment_fixed_size: 0
    .kernarg_segment_align: 8
    .kernarg_segment_size: 72
    .language:       OpenCL C
    .language_version:
      - 2
      - 0
    .max_flat_workgroup_size: 1024
    .name:           _ZN9rocsparseL33bsr2csr_block_per_row_8_32_kernelILj1024ELj8EdiiEEv20rocsparse_direction_T3_S2_21rocsparse_index_base_PKT1_PKT2_PKS2_S2_S3_PS4_PS7_PS2_
    .private_segment_fixed_size: 0
    .sgpr_count:     22
    .sgpr_spill_count: 0
    .symbol:         _ZN9rocsparseL33bsr2csr_block_per_row_8_32_kernelILj1024ELj8EdiiEEv20rocsparse_direction_T3_S2_21rocsparse_index_base_PKT1_PKT2_PKS2_S2_S3_PS4_PS7_PS2_.kd
    .uniform_work_group_size: 1
    .uses_dynamic_stack: false
    .vgpr_count:     18
    .vgpr_spill_count: 0
    .wavefront_size: 64
  - .agpr_count:     0
    .args:
      - .offset:         0
        .size:           4
        .value_kind:     by_value
      - .offset:         4
        .size:           4
        .value_kind:     by_value
      - .offset:         8
        .size:           4
        .value_kind:     by_value
      - .offset:         12
        .size:           4
        .value_kind:     by_value
      - .actual_access:  read_only
        .address_space:  global
        .offset:         16
        .size:           8
        .value_kind:     global_buffer
      - .actual_access:  read_only
        .address_space:  global
        .offset:         24
        .size:           8
        .value_kind:     global_buffer
      - .actual_access:  read_only
        .address_space:  global
        .offset:         32
        .size:           8
        .value_kind:     global_buffer
      - .offset:         40
        .size:           4
        .value_kind:     by_value
      - .offset:         44
        .size:           4
        .value_kind:     by_value
      - .actual_access:  write_only
        .address_space:  global
        .offset:         48
        .size:           8
        .value_kind:     global_buffer
      - .actual_access:  write_only
        .address_space:  global
        .offset:         56
        .size:           8
        .value_kind:     global_buffer
      - .actual_access:  write_only
        .address_space:  global
        .offset:         64
        .size:           8
        .value_kind:     global_buffer
    .group_segment_fixed_size: 0
    .kernarg_segment_align: 8
    .kernarg_segment_size: 72
    .language:       OpenCL C
    .language_version:
      - 2
      - 0
    .max_flat_workgroup_size: 1024
    .name:           _ZN9rocsparseL33bsr2csr_block_per_row_8_32_kernelILj1024ELj16EdiiEEv20rocsparse_direction_T3_S2_21rocsparse_index_base_PKT1_PKT2_PKS2_S2_S3_PS4_PS7_PS2_
    .private_segment_fixed_size: 0
    .sgpr_count:     22
    .sgpr_spill_count: 0
    .symbol:         _ZN9rocsparseL33bsr2csr_block_per_row_8_32_kernelILj1024ELj16EdiiEEv20rocsparse_direction_T3_S2_21rocsparse_index_base_PKT1_PKT2_PKS2_S2_S3_PS4_PS7_PS2_.kd
    .uniform_work_group_size: 1
    .uses_dynamic_stack: false
    .vgpr_count:     18
    .vgpr_spill_count: 0
    .wavefront_size: 64
  - .agpr_count:     0
    .args:
      - .offset:         0
        .size:           4
        .value_kind:     by_value
      - .offset:         4
        .size:           4
        .value_kind:     by_value
      - .offset:         8
        .size:           4
        .value_kind:     by_value
      - .offset:         12
        .size:           4
        .value_kind:     by_value
      - .actual_access:  read_only
        .address_space:  global
        .offset:         16
        .size:           8
        .value_kind:     global_buffer
      - .actual_access:  read_only
        .address_space:  global
        .offset:         24
        .size:           8
        .value_kind:     global_buffer
      - .actual_access:  read_only
        .address_space:  global
        .offset:         32
        .size:           8
        .value_kind:     global_buffer
      - .offset:         40
        .size:           4
        .value_kind:     by_value
      - .offset:         44
        .size:           4
        .value_kind:     by_value
      - .actual_access:  write_only
        .address_space:  global
        .offset:         48
        .size:           8
        .value_kind:     global_buffer
      - .actual_access:  write_only
        .address_space:  global
        .offset:         56
        .size:           8
        .value_kind:     global_buffer
      - .actual_access:  write_only
        .address_space:  global
        .offset:         64
        .size:           8
        .value_kind:     global_buffer
    .group_segment_fixed_size: 0
    .kernarg_segment_align: 8
    .kernarg_segment_size: 72
    .language:       OpenCL C
    .language_version:
      - 2
      - 0
    .max_flat_workgroup_size: 1024
    .name:           _ZN9rocsparseL33bsr2csr_block_per_row_8_32_kernelILj1024ELj32EdiiEEv20rocsparse_direction_T3_S2_21rocsparse_index_base_PKT1_PKT2_PKS2_S2_S3_PS4_PS7_PS2_
    .private_segment_fixed_size: 0
    .sgpr_count:     23
    .sgpr_spill_count: 0
    .symbol:         _ZN9rocsparseL33bsr2csr_block_per_row_8_32_kernelILj1024ELj32EdiiEEv20rocsparse_direction_T3_S2_21rocsparse_index_base_PKT1_PKT2_PKS2_S2_S3_PS4_PS7_PS2_.kd
    .uniform_work_group_size: 1
    .uses_dynamic_stack: false
    .vgpr_count:     14
    .vgpr_spill_count: 0
    .wavefront_size: 64
  - .agpr_count:     0
    .args:
      - .offset:         0
        .size:           4
        .value_kind:     by_value
      - .offset:         4
        .size:           4
        .value_kind:     by_value
      - .offset:         8
        .size:           4
        .value_kind:     by_value
      - .offset:         12
        .size:           4
        .value_kind:     by_value
      - .actual_access:  read_only
        .address_space:  global
        .offset:         16
        .size:           8
        .value_kind:     global_buffer
      - .actual_access:  read_only
        .address_space:  global
        .offset:         24
        .size:           8
        .value_kind:     global_buffer
      - .actual_access:  read_only
        .address_space:  global
        .offset:         32
        .size:           8
        .value_kind:     global_buffer
      - .offset:         40
        .size:           4
        .value_kind:     by_value
      - .offset:         44
        .size:           4
        .value_kind:     by_value
      - .actual_access:  write_only
        .address_space:  global
        .offset:         48
        .size:           8
        .value_kind:     global_buffer
      - .actual_access:  write_only
        .address_space:  global
        .offset:         56
        .size:           8
        .value_kind:     global_buffer
      - .actual_access:  write_only
        .address_space:  global
        .offset:         64
        .size:           8
        .value_kind:     global_buffer
    .group_segment_fixed_size: 0
    .kernarg_segment_align: 8
    .kernarg_segment_size: 72
    .language:       OpenCL C
    .language_version:
      - 2
      - 0
    .max_flat_workgroup_size: 1024
    .name:           _ZN9rocsparseL35bsr2csr_block_per_row_33_256_kernelILj1024ELj64ELj32EdiiEEv20rocsparse_direction_T4_S2_21rocsparse_index_base_PKT2_PKT3_PKS2_S2_S3_PS4_PS7_PS2_
    .private_segment_fixed_size: 0
    .sgpr_count:     34
    .sgpr_spill_count: 0
    .symbol:         _ZN9rocsparseL35bsr2csr_block_per_row_33_256_kernelILj1024ELj64ELj32EdiiEEv20rocsparse_direction_T4_S2_21rocsparse_index_base_PKT2_PKT3_PKS2_S2_S3_PS4_PS7_PS2_.kd
    .uniform_work_group_size: 1
    .uses_dynamic_stack: false
    .vgpr_count:     20
    .vgpr_spill_count: 0
    .wavefront_size: 64
  - .agpr_count:     0
    .args:
      - .offset:         0
        .size:           4
        .value_kind:     by_value
      - .offset:         4
        .size:           4
        .value_kind:     by_value
      - .offset:         8
        .size:           4
        .value_kind:     by_value
      - .offset:         12
        .size:           4
        .value_kind:     by_value
      - .actual_access:  read_only
        .address_space:  global
        .offset:         16
        .size:           8
        .value_kind:     global_buffer
      - .actual_access:  read_only
        .address_space:  global
        .offset:         24
        .size:           8
        .value_kind:     global_buffer
      - .actual_access:  read_only
        .address_space:  global
        .offset:         32
        .size:           8
        .value_kind:     global_buffer
      - .offset:         40
        .size:           4
        .value_kind:     by_value
      - .offset:         44
        .size:           4
        .value_kind:     by_value
      - .actual_access:  write_only
        .address_space:  global
        .offset:         48
        .size:           8
        .value_kind:     global_buffer
      - .actual_access:  write_only
        .address_space:  global
        .offset:         56
        .size:           8
        .value_kind:     global_buffer
      - .actual_access:  write_only
        .address_space:  global
        .offset:         64
        .size:           8
        .value_kind:     global_buffer
    .group_segment_fixed_size: 0
    .kernarg_segment_align: 8
    .kernarg_segment_size: 72
    .language:       OpenCL C
    .language_version:
      - 2
      - 0
    .max_flat_workgroup_size: 1024
    .name:           _ZN9rocsparseL35bsr2csr_block_per_row_33_256_kernelILj1024ELj128ELj32EdiiEEv20rocsparse_direction_T4_S2_21rocsparse_index_base_PKT2_PKT3_PKS2_S2_S3_PS4_PS7_PS2_
    .private_segment_fixed_size: 0
    .sgpr_count:     60
    .sgpr_spill_count: 0
    .symbol:         _ZN9rocsparseL35bsr2csr_block_per_row_33_256_kernelILj1024ELj128ELj32EdiiEEv20rocsparse_direction_T4_S2_21rocsparse_index_base_PKT2_PKT3_PKS2_S2_S3_PS4_PS7_PS2_.kd
    .uniform_work_group_size: 1
    .uses_dynamic_stack: false
    .vgpr_count:     32
    .vgpr_spill_count: 0
    .wavefront_size: 64
  - .agpr_count:     0
    .args:
      - .offset:         0
        .size:           4
        .value_kind:     by_value
      - .offset:         4
        .size:           4
        .value_kind:     by_value
      - .offset:         8
        .size:           4
        .value_kind:     by_value
      - .offset:         12
        .size:           4
        .value_kind:     by_value
      - .actual_access:  read_only
        .address_space:  global
        .offset:         16
        .size:           8
        .value_kind:     global_buffer
      - .actual_access:  read_only
        .address_space:  global
        .offset:         24
        .size:           8
        .value_kind:     global_buffer
      - .actual_access:  read_only
        .address_space:  global
        .offset:         32
        .size:           8
        .value_kind:     global_buffer
      - .offset:         40
        .size:           4
        .value_kind:     by_value
      - .offset:         44
        .size:           4
        .value_kind:     by_value
      - .actual_access:  write_only
        .address_space:  global
        .offset:         48
        .size:           8
        .value_kind:     global_buffer
      - .actual_access:  write_only
        .address_space:  global
        .offset:         56
        .size:           8
        .value_kind:     global_buffer
      - .actual_access:  write_only
        .address_space:  global
        .offset:         64
        .size:           8
        .value_kind:     global_buffer
    .group_segment_fixed_size: 0
    .kernarg_segment_align: 8
    .kernarg_segment_size: 72
    .language:       OpenCL C
    .language_version:
      - 2
      - 0
    .max_flat_workgroup_size: 1024
    .name:           _ZN9rocsparseL35bsr2csr_block_per_row_33_256_kernelILj1024ELj256ELj32EdiiEEv20rocsparse_direction_T4_S2_21rocsparse_index_base_PKT2_PKT3_PKS2_S2_S3_PS4_PS7_PS2_
    .private_segment_fixed_size: 0
    .sgpr_count:     100
    .sgpr_spill_count: 57
    .symbol:         _ZN9rocsparseL35bsr2csr_block_per_row_33_256_kernelILj1024ELj256ELj32EdiiEEv20rocsparse_direction_T4_S2_21rocsparse_index_base_PKT2_PKT3_PKS2_S2_S3_PS4_PS7_PS2_.kd
    .uniform_work_group_size: 1
    .uses_dynamic_stack: false
    .vgpr_count:     58
    .vgpr_spill_count: 0
    .wavefront_size: 64
  - .agpr_count:     0
    .args:
      - .offset:         0
        .size:           4
        .value_kind:     by_value
      - .offset:         4
        .size:           4
        .value_kind:     by_value
      - .offset:         8
        .size:           4
        .value_kind:     by_value
      - .actual_access:  read_only
        .address_space:  global
        .offset:         16
        .size:           8
        .value_kind:     global_buffer
      - .actual_access:  read_only
        .address_space:  global
        .offset:         24
        .size:           8
        .value_kind:     global_buffer
      - .actual_access:  read_only
        .address_space:  global
        .offset:         32
        .size:           8
        .value_kind:     global_buffer
      - .offset:         40
        .size:           4
        .value_kind:     by_value
      - .actual_access:  write_only
        .address_space:  global
        .offset:         48
        .size:           8
        .value_kind:     global_buffer
      - .actual_access:  write_only
        .address_space:  global
        .offset:         56
        .size:           8
        .value_kind:     global_buffer
      - .actual_access:  write_only
        .address_space:  global
        .offset:         64
        .size:           8
        .value_kind:     global_buffer
      - .offset:         72
        .size:           4
        .value_kind:     hidden_block_count_x
      - .offset:         76
        .size:           4
        .value_kind:     hidden_block_count_y
      - .offset:         80
        .size:           4
        .value_kind:     hidden_block_count_z
      - .offset:         84
        .size:           2
        .value_kind:     hidden_group_size_x
      - .offset:         86
        .size:           2
        .value_kind:     hidden_group_size_y
      - .offset:         88
        .size:           2
        .value_kind:     hidden_group_size_z
      - .offset:         90
        .size:           2
        .value_kind:     hidden_remainder_x
      - .offset:         92
        .size:           2
        .value_kind:     hidden_remainder_y
      - .offset:         94
        .size:           2
        .value_kind:     hidden_remainder_z
      - .offset:         112
        .size:           8
        .value_kind:     hidden_global_offset_x
      - .offset:         120
        .size:           8
        .value_kind:     hidden_global_offset_y
      - .offset:         128
        .size:           8
        .value_kind:     hidden_global_offset_z
      - .offset:         136
        .size:           2
        .value_kind:     hidden_grid_dims
    .group_segment_fixed_size: 0
    .kernarg_segment_align: 8
    .kernarg_segment_size: 328
    .language:       OpenCL C
    .language_version:
      - 2
      - 0
    .max_flat_workgroup_size: 1024
    .name:           _ZN9rocsparseL35bsr2csr_block_dim_equals_one_kernelILj1024EdliEEvT2_S1_21rocsparse_index_base_PKT0_PKT1_PKS1_S2_PS3_PS6_PS1_
    .private_segment_fixed_size: 0
    .sgpr_count:     32
    .sgpr_spill_count: 0
    .symbol:         _ZN9rocsparseL35bsr2csr_block_dim_equals_one_kernelILj1024EdliEEvT2_S1_21rocsparse_index_base_PKT0_PKT1_PKS1_S2_PS3_PS6_PS1_.kd
    .uniform_work_group_size: 1
    .uses_dynamic_stack: false
    .vgpr_count:     17
    .vgpr_spill_count: 0
    .wavefront_size: 64
  - .agpr_count:     0
    .args:
      - .offset:         0
        .size:           4
        .value_kind:     by_value
      - .offset:         4
        .size:           4
        .value_kind:     by_value
      - .offset:         8
        .size:           4
        .value_kind:     by_value
      - .offset:         12
        .size:           4
        .value_kind:     by_value
      - .actual_access:  read_only
        .address_space:  global
        .offset:         16
        .size:           8
        .value_kind:     global_buffer
      - .actual_access:  read_only
        .address_space:  global
        .offset:         24
        .size:           8
        .value_kind:     global_buffer
      - .actual_access:  read_only
        .address_space:  global
        .offset:         32
        .size:           8
        .value_kind:     global_buffer
      - .offset:         40
        .size:           4
        .value_kind:     by_value
      - .offset:         44
        .size:           4
        .value_kind:     by_value
      - .actual_access:  write_only
        .address_space:  global
        .offset:         48
        .size:           8
        .value_kind:     global_buffer
      - .actual_access:  write_only
        .address_space:  global
        .offset:         56
        .size:           8
        .value_kind:     global_buffer
      - .actual_access:  write_only
        .address_space:  global
        .offset:         64
        .size:           8
        .value_kind:     global_buffer
    .group_segment_fixed_size: 0
    .kernarg_segment_align: 8
    .kernarg_segment_size: 72
    .language:       OpenCL C
    .language_version:
      - 2
      - 0
    .max_flat_workgroup_size: 256
    .name:           _ZN9rocsparseL32bsr2csr_block_per_row_2_7_kernelILj256ELj2EdliEEv20rocsparse_direction_T3_S2_21rocsparse_index_base_PKT1_PKT2_PKS2_S2_S3_PS4_PS7_PS2_
    .private_segment_fixed_size: 0
    .sgpr_count:     28
    .sgpr_spill_count: 0
    .symbol:         _ZN9rocsparseL32bsr2csr_block_per_row_2_7_kernelILj256ELj2EdliEEv20rocsparse_direction_T3_S2_21rocsparse_index_base_PKT1_PKT2_PKS2_S2_S3_PS4_PS7_PS2_.kd
    .uniform_work_group_size: 1
    .uses_dynamic_stack: false
    .vgpr_count:     20
    .vgpr_spill_count: 0
    .wavefront_size: 64
  - .agpr_count:     0
    .args:
      - .offset:         0
        .size:           4
        .value_kind:     by_value
      - .offset:         4
        .size:           4
        .value_kind:     by_value
      - .offset:         8
        .size:           4
        .value_kind:     by_value
      - .offset:         12
        .size:           4
        .value_kind:     by_value
      - .actual_access:  read_only
        .address_space:  global
        .offset:         16
        .size:           8
        .value_kind:     global_buffer
      - .actual_access:  read_only
        .address_space:  global
        .offset:         24
        .size:           8
        .value_kind:     global_buffer
      - .actual_access:  read_only
        .address_space:  global
        .offset:         32
        .size:           8
        .value_kind:     global_buffer
      - .offset:         40
        .size:           4
        .value_kind:     by_value
      - .offset:         44
        .size:           4
        .value_kind:     by_value
      - .actual_access:  write_only
        .address_space:  global
        .offset:         48
        .size:           8
        .value_kind:     global_buffer
      - .actual_access:  write_only
        .address_space:  global
        .offset:         56
        .size:           8
        .value_kind:     global_buffer
      - .actual_access:  write_only
        .address_space:  global
        .offset:         64
        .size:           8
        .value_kind:     global_buffer
    .group_segment_fixed_size: 0
    .kernarg_segment_align: 8
    .kernarg_segment_size: 72
    .language:       OpenCL C
    .language_version:
      - 2
      - 0
    .max_flat_workgroup_size: 256
    .name:           _ZN9rocsparseL32bsr2csr_block_per_row_2_7_kernelILj256ELj3EdliEEv20rocsparse_direction_T3_S2_21rocsparse_index_base_PKT1_PKT2_PKS2_S2_S3_PS4_PS7_PS2_
    .private_segment_fixed_size: 0
    .sgpr_count:     26
    .sgpr_spill_count: 0
    .symbol:         _ZN9rocsparseL32bsr2csr_block_per_row_2_7_kernelILj256ELj3EdliEEv20rocsparse_direction_T3_S2_21rocsparse_index_base_PKT1_PKT2_PKS2_S2_S3_PS4_PS7_PS2_.kd
    .uniform_work_group_size: 1
    .uses_dynamic_stack: false
    .vgpr_count:     26
    .vgpr_spill_count: 0
    .wavefront_size: 64
  - .agpr_count:     0
    .args:
      - .offset:         0
        .size:           4
        .value_kind:     by_value
      - .offset:         4
        .size:           4
        .value_kind:     by_value
      - .offset:         8
        .size:           4
        .value_kind:     by_value
      - .offset:         12
        .size:           4
        .value_kind:     by_value
      - .actual_access:  read_only
        .address_space:  global
        .offset:         16
        .size:           8
        .value_kind:     global_buffer
      - .actual_access:  read_only
        .address_space:  global
        .offset:         24
        .size:           8
        .value_kind:     global_buffer
      - .actual_access:  read_only
        .address_space:  global
        .offset:         32
        .size:           8
        .value_kind:     global_buffer
      - .offset:         40
        .size:           4
        .value_kind:     by_value
      - .offset:         44
        .size:           4
        .value_kind:     by_value
      - .actual_access:  write_only
        .address_space:  global
        .offset:         48
        .size:           8
        .value_kind:     global_buffer
      - .actual_access:  write_only
        .address_space:  global
        .offset:         56
        .size:           8
        .value_kind:     global_buffer
      - .actual_access:  write_only
        .address_space:  global
        .offset:         64
        .size:           8
        .value_kind:     global_buffer
    .group_segment_fixed_size: 0
    .kernarg_segment_align: 8
    .kernarg_segment_size: 72
    .language:       OpenCL C
    .language_version:
      - 2
      - 0
    .max_flat_workgroup_size: 256
    .name:           _ZN9rocsparseL32bsr2csr_block_per_row_2_7_kernelILj256ELj4EdliEEv20rocsparse_direction_T3_S2_21rocsparse_index_base_PKT1_PKT2_PKS2_S2_S3_PS4_PS7_PS2_
    .private_segment_fixed_size: 0
    .sgpr_count:     32
    .sgpr_spill_count: 0
    .symbol:         _ZN9rocsparseL32bsr2csr_block_per_row_2_7_kernelILj256ELj4EdliEEv20rocsparse_direction_T3_S2_21rocsparse_index_base_PKT1_PKT2_PKS2_S2_S3_PS4_PS7_PS2_.kd
    .uniform_work_group_size: 1
    .uses_dynamic_stack: false
    .vgpr_count:     23
    .vgpr_spill_count: 0
    .wavefront_size: 64
  - .agpr_count:     0
    .args:
      - .offset:         0
        .size:           4
        .value_kind:     by_value
      - .offset:         4
        .size:           4
        .value_kind:     by_value
      - .offset:         8
        .size:           4
        .value_kind:     by_value
      - .offset:         12
        .size:           4
        .value_kind:     by_value
      - .actual_access:  read_only
        .address_space:  global
        .offset:         16
        .size:           8
        .value_kind:     global_buffer
      - .actual_access:  read_only
        .address_space:  global
        .offset:         24
        .size:           8
        .value_kind:     global_buffer
      - .actual_access:  read_only
        .address_space:  global
        .offset:         32
        .size:           8
        .value_kind:     global_buffer
      - .offset:         40
        .size:           4
        .value_kind:     by_value
      - .offset:         44
        .size:           4
        .value_kind:     by_value
      - .actual_access:  write_only
        .address_space:  global
        .offset:         48
        .size:           8
        .value_kind:     global_buffer
      - .actual_access:  write_only
        .address_space:  global
        .offset:         56
        .size:           8
        .value_kind:     global_buffer
      - .actual_access:  write_only
        .address_space:  global
        .offset:         64
        .size:           8
        .value_kind:     global_buffer
    .group_segment_fixed_size: 0
    .kernarg_segment_align: 8
    .kernarg_segment_size: 72
    .language:       OpenCL C
    .language_version:
      - 2
      - 0
    .max_flat_workgroup_size: 256
    .name:           _ZN9rocsparseL32bsr2csr_block_per_row_2_7_kernelILj256ELj5EdliEEv20rocsparse_direction_T3_S2_21rocsparse_index_base_PKT1_PKT2_PKS2_S2_S3_PS4_PS7_PS2_
    .private_segment_fixed_size: 0
    .sgpr_count:     26
    .sgpr_spill_count: 0
    .symbol:         _ZN9rocsparseL32bsr2csr_block_per_row_2_7_kernelILj256ELj5EdliEEv20rocsparse_direction_T3_S2_21rocsparse_index_base_PKT1_PKT2_PKS2_S2_S3_PS4_PS7_PS2_.kd
    .uniform_work_group_size: 1
    .uses_dynamic_stack: false
    .vgpr_count:     34
    .vgpr_spill_count: 0
    .wavefront_size: 64
  - .agpr_count:     0
    .args:
      - .offset:         0
        .size:           4
        .value_kind:     by_value
      - .offset:         4
        .size:           4
        .value_kind:     by_value
      - .offset:         8
        .size:           4
        .value_kind:     by_value
      - .offset:         12
        .size:           4
        .value_kind:     by_value
      - .actual_access:  read_only
        .address_space:  global
        .offset:         16
        .size:           8
        .value_kind:     global_buffer
      - .actual_access:  read_only
        .address_space:  global
        .offset:         24
        .size:           8
        .value_kind:     global_buffer
      - .actual_access:  read_only
        .address_space:  global
        .offset:         32
        .size:           8
        .value_kind:     global_buffer
      - .offset:         40
        .size:           4
        .value_kind:     by_value
      - .offset:         44
        .size:           4
        .value_kind:     by_value
      - .actual_access:  write_only
        .address_space:  global
        .offset:         48
        .size:           8
        .value_kind:     global_buffer
      - .actual_access:  write_only
        .address_space:  global
        .offset:         56
        .size:           8
        .value_kind:     global_buffer
      - .actual_access:  write_only
        .address_space:  global
        .offset:         64
        .size:           8
        .value_kind:     global_buffer
    .group_segment_fixed_size: 0
    .kernarg_segment_align: 8
    .kernarg_segment_size: 72
    .language:       OpenCL C
    .language_version:
      - 2
      - 0
    .max_flat_workgroup_size: 256
    .name:           _ZN9rocsparseL32bsr2csr_block_per_row_2_7_kernelILj256ELj6EdliEEv20rocsparse_direction_T3_S2_21rocsparse_index_base_PKT1_PKT2_PKS2_S2_S3_PS4_PS7_PS2_
    .private_segment_fixed_size: 0
    .sgpr_count:     26
    .sgpr_spill_count: 0
    .symbol:         _ZN9rocsparseL32bsr2csr_block_per_row_2_7_kernelILj256ELj6EdliEEv20rocsparse_direction_T3_S2_21rocsparse_index_base_PKT1_PKT2_PKS2_S2_S3_PS4_PS7_PS2_.kd
    .uniform_work_group_size: 1
    .uses_dynamic_stack: false
    .vgpr_count:     40
    .vgpr_spill_count: 0
    .wavefront_size: 64
  - .agpr_count:     0
    .args:
      - .offset:         0
        .size:           4
        .value_kind:     by_value
      - .offset:         4
        .size:           4
        .value_kind:     by_value
      - .offset:         8
        .size:           4
        .value_kind:     by_value
      - .offset:         12
        .size:           4
        .value_kind:     by_value
      - .actual_access:  read_only
        .address_space:  global
        .offset:         16
        .size:           8
        .value_kind:     global_buffer
      - .actual_access:  read_only
        .address_space:  global
        .offset:         24
        .size:           8
        .value_kind:     global_buffer
      - .actual_access:  read_only
        .address_space:  global
        .offset:         32
        .size:           8
        .value_kind:     global_buffer
      - .offset:         40
        .size:           4
        .value_kind:     by_value
      - .offset:         44
        .size:           4
        .value_kind:     by_value
      - .actual_access:  write_only
        .address_space:  global
        .offset:         48
        .size:           8
        .value_kind:     global_buffer
      - .actual_access:  write_only
        .address_space:  global
        .offset:         56
        .size:           8
        .value_kind:     global_buffer
      - .actual_access:  write_only
        .address_space:  global
        .offset:         64
        .size:           8
        .value_kind:     global_buffer
    .group_segment_fixed_size: 0
    .kernarg_segment_align: 8
    .kernarg_segment_size: 72
    .language:       OpenCL C
    .language_version:
      - 2
      - 0
    .max_flat_workgroup_size: 256
    .name:           _ZN9rocsparseL32bsr2csr_block_per_row_2_7_kernelILj256ELj7EdliEEv20rocsparse_direction_T3_S2_21rocsparse_index_base_PKT1_PKT2_PKS2_S2_S3_PS4_PS7_PS2_
    .private_segment_fixed_size: 0
    .sgpr_count:     26
    .sgpr_spill_count: 0
    .symbol:         _ZN9rocsparseL32bsr2csr_block_per_row_2_7_kernelILj256ELj7EdliEEv20rocsparse_direction_T3_S2_21rocsparse_index_base_PKT1_PKT2_PKS2_S2_S3_PS4_PS7_PS2_.kd
    .uniform_work_group_size: 1
    .uses_dynamic_stack: false
    .vgpr_count:     44
    .vgpr_spill_count: 0
    .wavefront_size: 64
  - .agpr_count:     0
    .args:
      - .offset:         0
        .size:           4
        .value_kind:     by_value
      - .offset:         4
        .size:           4
        .value_kind:     by_value
      - .offset:         8
        .size:           4
        .value_kind:     by_value
      - .offset:         12
        .size:           4
        .value_kind:     by_value
      - .actual_access:  read_only
        .address_space:  global
        .offset:         16
        .size:           8
        .value_kind:     global_buffer
      - .actual_access:  read_only
        .address_space:  global
        .offset:         24
        .size:           8
        .value_kind:     global_buffer
      - .actual_access:  read_only
        .address_space:  global
        .offset:         32
        .size:           8
        .value_kind:     global_buffer
      - .offset:         40
        .size:           4
        .value_kind:     by_value
      - .offset:         44
        .size:           4
        .value_kind:     by_value
      - .actual_access:  write_only
        .address_space:  global
        .offset:         48
        .size:           8
        .value_kind:     global_buffer
      - .actual_access:  write_only
        .address_space:  global
        .offset:         56
        .size:           8
        .value_kind:     global_buffer
      - .actual_access:  write_only
        .address_space:  global
        .offset:         64
        .size:           8
        .value_kind:     global_buffer
    .group_segment_fixed_size: 0
    .kernarg_segment_align: 8
    .kernarg_segment_size: 72
    .language:       OpenCL C
    .language_version:
      - 2
      - 0
    .max_flat_workgroup_size: 1024
    .name:           _ZN9rocsparseL33bsr2csr_block_per_row_8_32_kernelILj1024ELj8EdliEEv20rocsparse_direction_T3_S2_21rocsparse_index_base_PKT1_PKT2_PKS2_S2_S3_PS4_PS7_PS2_
    .private_segment_fixed_size: 0
    .sgpr_count:     28
    .sgpr_spill_count: 0
    .symbol:         _ZN9rocsparseL33bsr2csr_block_per_row_8_32_kernelILj1024ELj8EdliEEv20rocsparse_direction_T3_S2_21rocsparse_index_base_PKT1_PKT2_PKS2_S2_S3_PS4_PS7_PS2_.kd
    .uniform_work_group_size: 1
    .uses_dynamic_stack: false
    .vgpr_count:     17
    .vgpr_spill_count: 0
    .wavefront_size: 64
  - .agpr_count:     0
    .args:
      - .offset:         0
        .size:           4
        .value_kind:     by_value
      - .offset:         4
        .size:           4
        .value_kind:     by_value
      - .offset:         8
        .size:           4
        .value_kind:     by_value
      - .offset:         12
        .size:           4
        .value_kind:     by_value
      - .actual_access:  read_only
        .address_space:  global
        .offset:         16
        .size:           8
        .value_kind:     global_buffer
      - .actual_access:  read_only
        .address_space:  global
        .offset:         24
        .size:           8
        .value_kind:     global_buffer
      - .actual_access:  read_only
        .address_space:  global
        .offset:         32
        .size:           8
        .value_kind:     global_buffer
      - .offset:         40
        .size:           4
        .value_kind:     by_value
      - .offset:         44
        .size:           4
        .value_kind:     by_value
      - .actual_access:  write_only
        .address_space:  global
        .offset:         48
        .size:           8
        .value_kind:     global_buffer
      - .actual_access:  write_only
        .address_space:  global
        .offset:         56
        .size:           8
        .value_kind:     global_buffer
      - .actual_access:  write_only
        .address_space:  global
        .offset:         64
        .size:           8
        .value_kind:     global_buffer
    .group_segment_fixed_size: 0
    .kernarg_segment_align: 8
    .kernarg_segment_size: 72
    .language:       OpenCL C
    .language_version:
      - 2
      - 0
    .max_flat_workgroup_size: 1024
    .name:           _ZN9rocsparseL33bsr2csr_block_per_row_8_32_kernelILj1024ELj16EdliEEv20rocsparse_direction_T3_S2_21rocsparse_index_base_PKT1_PKT2_PKS2_S2_S3_PS4_PS7_PS2_
    .private_segment_fixed_size: 0
    .sgpr_count:     28
    .sgpr_spill_count: 0
    .symbol:         _ZN9rocsparseL33bsr2csr_block_per_row_8_32_kernelILj1024ELj16EdliEEv20rocsparse_direction_T3_S2_21rocsparse_index_base_PKT1_PKT2_PKS2_S2_S3_PS4_PS7_PS2_.kd
    .uniform_work_group_size: 1
    .uses_dynamic_stack: false
    .vgpr_count:     17
    .vgpr_spill_count: 0
    .wavefront_size: 64
  - .agpr_count:     0
    .args:
      - .offset:         0
        .size:           4
        .value_kind:     by_value
      - .offset:         4
        .size:           4
        .value_kind:     by_value
      - .offset:         8
        .size:           4
        .value_kind:     by_value
      - .offset:         12
        .size:           4
        .value_kind:     by_value
      - .actual_access:  read_only
        .address_space:  global
        .offset:         16
        .size:           8
        .value_kind:     global_buffer
      - .actual_access:  read_only
        .address_space:  global
        .offset:         24
        .size:           8
        .value_kind:     global_buffer
      - .actual_access:  read_only
        .address_space:  global
        .offset:         32
        .size:           8
        .value_kind:     global_buffer
      - .offset:         40
        .size:           4
        .value_kind:     by_value
      - .offset:         44
        .size:           4
        .value_kind:     by_value
      - .actual_access:  write_only
        .address_space:  global
        .offset:         48
        .size:           8
        .value_kind:     global_buffer
      - .actual_access:  write_only
        .address_space:  global
        .offset:         56
        .size:           8
        .value_kind:     global_buffer
      - .actual_access:  write_only
        .address_space:  global
        .offset:         64
        .size:           8
        .value_kind:     global_buffer
    .group_segment_fixed_size: 0
    .kernarg_segment_align: 8
    .kernarg_segment_size: 72
    .language:       OpenCL C
    .language_version:
      - 2
      - 0
    .max_flat_workgroup_size: 1024
    .name:           _ZN9rocsparseL33bsr2csr_block_per_row_8_32_kernelILj1024ELj32EdliEEv20rocsparse_direction_T3_S2_21rocsparse_index_base_PKT1_PKT2_PKS2_S2_S3_PS4_PS7_PS2_
    .private_segment_fixed_size: 0
    .sgpr_count:     31
    .sgpr_spill_count: 0
    .symbol:         _ZN9rocsparseL33bsr2csr_block_per_row_8_32_kernelILj1024ELj32EdliEEv20rocsparse_direction_T3_S2_21rocsparse_index_base_PKT1_PKT2_PKS2_S2_S3_PS4_PS7_PS2_.kd
    .uniform_work_group_size: 1
    .uses_dynamic_stack: false
    .vgpr_count:     15
    .vgpr_spill_count: 0
    .wavefront_size: 64
  - .agpr_count:     0
    .args:
      - .offset:         0
        .size:           4
        .value_kind:     by_value
      - .offset:         4
        .size:           4
        .value_kind:     by_value
      - .offset:         8
        .size:           4
        .value_kind:     by_value
      - .offset:         12
        .size:           4
        .value_kind:     by_value
      - .actual_access:  read_only
        .address_space:  global
        .offset:         16
        .size:           8
        .value_kind:     global_buffer
      - .actual_access:  read_only
        .address_space:  global
        .offset:         24
        .size:           8
        .value_kind:     global_buffer
      - .actual_access:  read_only
        .address_space:  global
        .offset:         32
        .size:           8
        .value_kind:     global_buffer
      - .offset:         40
        .size:           4
        .value_kind:     by_value
      - .offset:         44
        .size:           4
        .value_kind:     by_value
      - .actual_access:  write_only
        .address_space:  global
        .offset:         48
        .size:           8
        .value_kind:     global_buffer
      - .actual_access:  write_only
        .address_space:  global
        .offset:         56
        .size:           8
        .value_kind:     global_buffer
      - .actual_access:  write_only
        .address_space:  global
        .offset:         64
        .size:           8
        .value_kind:     global_buffer
    .group_segment_fixed_size: 0
    .kernarg_segment_align: 8
    .kernarg_segment_size: 72
    .language:       OpenCL C
    .language_version:
      - 2
      - 0
    .max_flat_workgroup_size: 1024
    .name:           _ZN9rocsparseL35bsr2csr_block_per_row_33_256_kernelILj1024ELj64ELj32EdliEEv20rocsparse_direction_T4_S2_21rocsparse_index_base_PKT2_PKT3_PKS2_S2_S3_PS4_PS7_PS2_
    .private_segment_fixed_size: 0
    .sgpr_count:     44
    .sgpr_spill_count: 0
    .symbol:         _ZN9rocsparseL35bsr2csr_block_per_row_33_256_kernelILj1024ELj64ELj32EdliEEv20rocsparse_direction_T4_S2_21rocsparse_index_base_PKT2_PKT3_PKS2_S2_S3_PS4_PS7_PS2_.kd
    .uniform_work_group_size: 1
    .uses_dynamic_stack: false
    .vgpr_count:     26
    .vgpr_spill_count: 0
    .wavefront_size: 64
  - .agpr_count:     0
    .args:
      - .offset:         0
        .size:           4
        .value_kind:     by_value
      - .offset:         4
        .size:           4
        .value_kind:     by_value
      - .offset:         8
        .size:           4
        .value_kind:     by_value
      - .offset:         12
        .size:           4
        .value_kind:     by_value
      - .actual_access:  read_only
        .address_space:  global
        .offset:         16
        .size:           8
        .value_kind:     global_buffer
      - .actual_access:  read_only
        .address_space:  global
        .offset:         24
        .size:           8
        .value_kind:     global_buffer
      - .actual_access:  read_only
        .address_space:  global
        .offset:         32
        .size:           8
        .value_kind:     global_buffer
      - .offset:         40
        .size:           4
        .value_kind:     by_value
      - .offset:         44
        .size:           4
        .value_kind:     by_value
      - .actual_access:  write_only
        .address_space:  global
        .offset:         48
        .size:           8
        .value_kind:     global_buffer
      - .actual_access:  write_only
        .address_space:  global
        .offset:         56
        .size:           8
        .value_kind:     global_buffer
      - .actual_access:  write_only
        .address_space:  global
        .offset:         64
        .size:           8
        .value_kind:     global_buffer
    .group_segment_fixed_size: 0
    .kernarg_segment_align: 8
    .kernarg_segment_size: 72
    .language:       OpenCL C
    .language_version:
      - 2
      - 0
    .max_flat_workgroup_size: 1024
    .name:           _ZN9rocsparseL35bsr2csr_block_per_row_33_256_kernelILj1024ELj128ELj32EdliEEv20rocsparse_direction_T4_S2_21rocsparse_index_base_PKT2_PKT3_PKS2_S2_S3_PS4_PS7_PS2_
    .private_segment_fixed_size: 0
    .sgpr_count:     68
    .sgpr_spill_count: 0
    .symbol:         _ZN9rocsparseL35bsr2csr_block_per_row_33_256_kernelILj1024ELj128ELj32EdliEEv20rocsparse_direction_T4_S2_21rocsparse_index_base_PKT2_PKT3_PKS2_S2_S3_PS4_PS7_PS2_.kd
    .uniform_work_group_size: 1
    .uses_dynamic_stack: false
    .vgpr_count:     44
    .vgpr_spill_count: 0
    .wavefront_size: 64
  - .agpr_count:     0
    .args:
      - .offset:         0
        .size:           4
        .value_kind:     by_value
      - .offset:         4
        .size:           4
        .value_kind:     by_value
      - .offset:         8
        .size:           4
        .value_kind:     by_value
      - .offset:         12
        .size:           4
        .value_kind:     by_value
      - .actual_access:  read_only
        .address_space:  global
        .offset:         16
        .size:           8
        .value_kind:     global_buffer
      - .actual_access:  read_only
        .address_space:  global
        .offset:         24
        .size:           8
        .value_kind:     global_buffer
      - .actual_access:  read_only
        .address_space:  global
        .offset:         32
        .size:           8
        .value_kind:     global_buffer
      - .offset:         40
        .size:           4
        .value_kind:     by_value
      - .offset:         44
        .size:           4
        .value_kind:     by_value
      - .actual_access:  write_only
        .address_space:  global
        .offset:         48
        .size:           8
        .value_kind:     global_buffer
      - .actual_access:  write_only
        .address_space:  global
        .offset:         56
        .size:           8
        .value_kind:     global_buffer
      - .actual_access:  write_only
        .address_space:  global
        .offset:         64
        .size:           8
        .value_kind:     global_buffer
    .group_segment_fixed_size: 0
    .kernarg_segment_align: 8
    .kernarg_segment_size: 72
    .language:       OpenCL C
    .language_version:
      - 2
      - 0
    .max_flat_workgroup_size: 1024
    .name:           _ZN9rocsparseL35bsr2csr_block_per_row_33_256_kernelILj1024ELj256ELj32EdliEEv20rocsparse_direction_T4_S2_21rocsparse_index_base_PKT2_PKT3_PKS2_S2_S3_PS4_PS7_PS2_
    .private_segment_fixed_size: 0
    .sgpr_count:     100
    .sgpr_spill_count: 97
    .symbol:         _ZN9rocsparseL35bsr2csr_block_per_row_33_256_kernelILj1024ELj256ELj32EdliEEv20rocsparse_direction_T4_S2_21rocsparse_index_base_PKT2_PKT3_PKS2_S2_S3_PS4_PS7_PS2_.kd
    .uniform_work_group_size: 1
    .uses_dynamic_stack: false
    .vgpr_count:     81
    .vgpr_spill_count: 0
    .wavefront_size: 64
  - .agpr_count:     0
    .args:
      - .offset:         0
        .size:           8
        .value_kind:     by_value
      - .offset:         8
        .size:           8
        .value_kind:     by_value
      - .offset:         16
        .size:           4
        .value_kind:     by_value
      - .actual_access:  read_only
        .address_space:  global
        .offset:         24
        .size:           8
        .value_kind:     global_buffer
      - .actual_access:  read_only
        .address_space:  global
        .offset:         32
        .size:           8
        .value_kind:     global_buffer
      - .actual_access:  read_only
        .address_space:  global
        .offset:         40
        .size:           8
        .value_kind:     global_buffer
      - .offset:         48
        .size:           4
        .value_kind:     by_value
      - .actual_access:  write_only
        .address_space:  global
        .offset:         56
        .size:           8
        .value_kind:     global_buffer
      - .actual_access:  write_only
        .address_space:  global
        .offset:         64
        .size:           8
        .value_kind:     global_buffer
      - .actual_access:  write_only
        .address_space:  global
        .offset:         72
        .size:           8
        .value_kind:     global_buffer
      - .offset:         80
        .size:           4
        .value_kind:     hidden_block_count_x
      - .offset:         84
        .size:           4
        .value_kind:     hidden_block_count_y
      - .offset:         88
        .size:           4
        .value_kind:     hidden_block_count_z
      - .offset:         92
        .size:           2
        .value_kind:     hidden_group_size_x
      - .offset:         94
        .size:           2
        .value_kind:     hidden_group_size_y
      - .offset:         96
        .size:           2
        .value_kind:     hidden_group_size_z
      - .offset:         98
        .size:           2
        .value_kind:     hidden_remainder_x
      - .offset:         100
        .size:           2
        .value_kind:     hidden_remainder_y
      - .offset:         102
        .size:           2
        .value_kind:     hidden_remainder_z
      - .offset:         120
        .size:           8
        .value_kind:     hidden_global_offset_x
      - .offset:         128
        .size:           8
        .value_kind:     hidden_global_offset_y
      - .offset:         136
        .size:           8
        .value_kind:     hidden_global_offset_z
      - .offset:         144
        .size:           2
        .value_kind:     hidden_grid_dims
    .group_segment_fixed_size: 0
    .kernarg_segment_align: 8
    .kernarg_segment_size: 336
    .language:       OpenCL C
    .language_version:
      - 2
      - 0
    .max_flat_workgroup_size: 1024
    .name:           _ZN9rocsparseL35bsr2csr_block_dim_equals_one_kernelILj1024EdilEEvT2_S1_21rocsparse_index_base_PKT0_PKT1_PKS1_S2_PS3_PS6_PS1_
    .private_segment_fixed_size: 0
    .sgpr_count:     28
    .sgpr_spill_count: 0
    .symbol:         _ZN9rocsparseL35bsr2csr_block_dim_equals_one_kernelILj1024EdilEEvT2_S1_21rocsparse_index_base_PKT0_PKT1_PKS1_S2_PS3_PS6_PS1_.kd
    .uniform_work_group_size: 1
    .uses_dynamic_stack: false
    .vgpr_count:     20
    .vgpr_spill_count: 0
    .wavefront_size: 64
  - .agpr_count:     0
    .args:
      - .offset:         0
        .size:           4
        .value_kind:     by_value
      - .offset:         8
        .size:           8
        .value_kind:     by_value
      - .offset:         16
        .size:           8
        .value_kind:     by_value
      - .offset:         24
        .size:           4
        .value_kind:     by_value
      - .actual_access:  read_only
        .address_space:  global
        .offset:         32
        .size:           8
        .value_kind:     global_buffer
      - .actual_access:  read_only
        .address_space:  global
        .offset:         40
        .size:           8
        .value_kind:     global_buffer
      - .actual_access:  read_only
        .address_space:  global
        .offset:         48
        .size:           8
        .value_kind:     global_buffer
      - .offset:         56
        .size:           8
        .value_kind:     by_value
      - .offset:         64
        .size:           4
        .value_kind:     by_value
      - .actual_access:  write_only
        .address_space:  global
        .offset:         72
        .size:           8
        .value_kind:     global_buffer
      - .actual_access:  write_only
        .address_space:  global
        .offset:         80
        .size:           8
        .value_kind:     global_buffer
      - .actual_access:  write_only
        .address_space:  global
        .offset:         88
        .size:           8
        .value_kind:     global_buffer
    .group_segment_fixed_size: 0
    .kernarg_segment_align: 8
    .kernarg_segment_size: 96
    .language:       OpenCL C
    .language_version:
      - 2
      - 0
    .max_flat_workgroup_size: 256
    .name:           _ZN9rocsparseL32bsr2csr_block_per_row_2_7_kernelILj256ELj2EdilEEv20rocsparse_direction_T3_S2_21rocsparse_index_base_PKT1_PKT2_PKS2_S2_S3_PS4_PS7_PS2_
    .private_segment_fixed_size: 0
    .sgpr_count:     24
    .sgpr_spill_count: 0
    .symbol:         _ZN9rocsparseL32bsr2csr_block_per_row_2_7_kernelILj256ELj2EdilEEv20rocsparse_direction_T3_S2_21rocsparse_index_base_PKT1_PKT2_PKS2_S2_S3_PS4_PS7_PS2_.kd
    .uniform_work_group_size: 1
    .uses_dynamic_stack: false
    .vgpr_count:     30
    .vgpr_spill_count: 0
    .wavefront_size: 64
  - .agpr_count:     0
    .args:
      - .offset:         0
        .size:           4
        .value_kind:     by_value
      - .offset:         8
        .size:           8
        .value_kind:     by_value
      - .offset:         16
        .size:           8
        .value_kind:     by_value
      - .offset:         24
        .size:           4
        .value_kind:     by_value
      - .actual_access:  read_only
        .address_space:  global
        .offset:         32
        .size:           8
        .value_kind:     global_buffer
      - .actual_access:  read_only
        .address_space:  global
        .offset:         40
        .size:           8
        .value_kind:     global_buffer
      - .actual_access:  read_only
        .address_space:  global
        .offset:         48
        .size:           8
        .value_kind:     global_buffer
      - .offset:         56
        .size:           8
        .value_kind:     by_value
      - .offset:         64
        .size:           4
        .value_kind:     by_value
      - .actual_access:  write_only
        .address_space:  global
        .offset:         72
        .size:           8
        .value_kind:     global_buffer
      - .actual_access:  write_only
        .address_space:  global
        .offset:         80
        .size:           8
        .value_kind:     global_buffer
      - .actual_access:  write_only
        .address_space:  global
        .offset:         88
        .size:           8
        .value_kind:     global_buffer
    .group_segment_fixed_size: 0
    .kernarg_segment_align: 8
    .kernarg_segment_size: 96
    .language:       OpenCL C
    .language_version:
      - 2
      - 0
    .max_flat_workgroup_size: 256
    .name:           _ZN9rocsparseL32bsr2csr_block_per_row_2_7_kernelILj256ELj3EdilEEv20rocsparse_direction_T3_S2_21rocsparse_index_base_PKT1_PKT2_PKS2_S2_S3_PS4_PS7_PS2_
    .private_segment_fixed_size: 0
    .sgpr_count:     21
    .sgpr_spill_count: 0
    .symbol:         _ZN9rocsparseL32bsr2csr_block_per_row_2_7_kernelILj256ELj3EdilEEv20rocsparse_direction_T3_S2_21rocsparse_index_base_PKT1_PKT2_PKS2_S2_S3_PS4_PS7_PS2_.kd
    .uniform_work_group_size: 1
    .uses_dynamic_stack: false
    .vgpr_count:     28
    .vgpr_spill_count: 0
    .wavefront_size: 64
  - .agpr_count:     0
    .args:
      - .offset:         0
        .size:           4
        .value_kind:     by_value
      - .offset:         8
        .size:           8
        .value_kind:     by_value
      - .offset:         16
        .size:           8
        .value_kind:     by_value
      - .offset:         24
        .size:           4
        .value_kind:     by_value
      - .actual_access:  read_only
        .address_space:  global
        .offset:         32
        .size:           8
        .value_kind:     global_buffer
      - .actual_access:  read_only
        .address_space:  global
        .offset:         40
        .size:           8
        .value_kind:     global_buffer
      - .actual_access:  read_only
        .address_space:  global
        .offset:         48
        .size:           8
        .value_kind:     global_buffer
      - .offset:         56
        .size:           8
        .value_kind:     by_value
      - .offset:         64
        .size:           4
        .value_kind:     by_value
      - .actual_access:  write_only
        .address_space:  global
        .offset:         72
        .size:           8
        .value_kind:     global_buffer
      - .actual_access:  write_only
        .address_space:  global
        .offset:         80
        .size:           8
        .value_kind:     global_buffer
      - .actual_access:  write_only
        .address_space:  global
        .offset:         88
        .size:           8
        .value_kind:     global_buffer
    .group_segment_fixed_size: 0
    .kernarg_segment_align: 8
    .kernarg_segment_size: 96
    .language:       OpenCL C
    .language_version:
      - 2
      - 0
    .max_flat_workgroup_size: 256
    .name:           _ZN9rocsparseL32bsr2csr_block_per_row_2_7_kernelILj256ELj4EdilEEv20rocsparse_direction_T3_S2_21rocsparse_index_base_PKT1_PKT2_PKS2_S2_S3_PS4_PS7_PS2_
    .private_segment_fixed_size: 0
    .sgpr_count:     20
    .sgpr_spill_count: 0
    .symbol:         _ZN9rocsparseL32bsr2csr_block_per_row_2_7_kernelILj256ELj4EdilEEv20rocsparse_direction_T3_S2_21rocsparse_index_base_PKT1_PKT2_PKS2_S2_S3_PS4_PS7_PS2_.kd
    .uniform_work_group_size: 1
    .uses_dynamic_stack: false
    .vgpr_count:     34
    .vgpr_spill_count: 0
    .wavefront_size: 64
  - .agpr_count:     0
    .args:
      - .offset:         0
        .size:           4
        .value_kind:     by_value
      - .offset:         8
        .size:           8
        .value_kind:     by_value
      - .offset:         16
        .size:           8
        .value_kind:     by_value
      - .offset:         24
        .size:           4
        .value_kind:     by_value
      - .actual_access:  read_only
        .address_space:  global
        .offset:         32
        .size:           8
        .value_kind:     global_buffer
      - .actual_access:  read_only
        .address_space:  global
        .offset:         40
        .size:           8
        .value_kind:     global_buffer
      - .actual_access:  read_only
        .address_space:  global
        .offset:         48
        .size:           8
        .value_kind:     global_buffer
      - .offset:         56
        .size:           8
        .value_kind:     by_value
      - .offset:         64
        .size:           4
        .value_kind:     by_value
      - .actual_access:  write_only
        .address_space:  global
        .offset:         72
        .size:           8
        .value_kind:     global_buffer
      - .actual_access:  write_only
        .address_space:  global
        .offset:         80
        .size:           8
        .value_kind:     global_buffer
      - .actual_access:  write_only
        .address_space:  global
        .offset:         88
        .size:           8
        .value_kind:     global_buffer
    .group_segment_fixed_size: 0
    .kernarg_segment_align: 8
    .kernarg_segment_size: 96
    .language:       OpenCL C
    .language_version:
      - 2
      - 0
    .max_flat_workgroup_size: 256
    .name:           _ZN9rocsparseL32bsr2csr_block_per_row_2_7_kernelILj256ELj5EdilEEv20rocsparse_direction_T3_S2_21rocsparse_index_base_PKT1_PKT2_PKS2_S2_S3_PS4_PS7_PS2_
    .private_segment_fixed_size: 0
    .sgpr_count:     24
    .sgpr_spill_count: 0
    .symbol:         _ZN9rocsparseL32bsr2csr_block_per_row_2_7_kernelILj256ELj5EdilEEv20rocsparse_direction_T3_S2_21rocsparse_index_base_PKT1_PKT2_PKS2_S2_S3_PS4_PS7_PS2_.kd
    .uniform_work_group_size: 1
    .uses_dynamic_stack: false
    .vgpr_count:     36
    .vgpr_spill_count: 0
    .wavefront_size: 64
  - .agpr_count:     0
    .args:
      - .offset:         0
        .size:           4
        .value_kind:     by_value
      - .offset:         8
        .size:           8
        .value_kind:     by_value
      - .offset:         16
        .size:           8
        .value_kind:     by_value
      - .offset:         24
        .size:           4
        .value_kind:     by_value
      - .actual_access:  read_only
        .address_space:  global
        .offset:         32
        .size:           8
        .value_kind:     global_buffer
      - .actual_access:  read_only
        .address_space:  global
        .offset:         40
        .size:           8
        .value_kind:     global_buffer
      - .actual_access:  read_only
        .address_space:  global
        .offset:         48
        .size:           8
        .value_kind:     global_buffer
      - .offset:         56
        .size:           8
        .value_kind:     by_value
      - .offset:         64
        .size:           4
        .value_kind:     by_value
      - .actual_access:  write_only
        .address_space:  global
        .offset:         72
        .size:           8
        .value_kind:     global_buffer
      - .actual_access:  write_only
        .address_space:  global
        .offset:         80
        .size:           8
        .value_kind:     global_buffer
      - .actual_access:  write_only
        .address_space:  global
        .offset:         88
        .size:           8
        .value_kind:     global_buffer
    .group_segment_fixed_size: 0
    .kernarg_segment_align: 8
    .kernarg_segment_size: 96
    .language:       OpenCL C
    .language_version:
      - 2
      - 0
    .max_flat_workgroup_size: 256
    .name:           _ZN9rocsparseL32bsr2csr_block_per_row_2_7_kernelILj256ELj6EdilEEv20rocsparse_direction_T3_S2_21rocsparse_index_base_PKT1_PKT2_PKS2_S2_S3_PS4_PS7_PS2_
    .private_segment_fixed_size: 0
    .sgpr_count:     27
    .sgpr_spill_count: 0
    .symbol:         _ZN9rocsparseL32bsr2csr_block_per_row_2_7_kernelILj256ELj6EdilEEv20rocsparse_direction_T3_S2_21rocsparse_index_base_PKT1_PKT2_PKS2_S2_S3_PS4_PS7_PS2_.kd
    .uniform_work_group_size: 1
    .uses_dynamic_stack: false
    .vgpr_count:     42
    .vgpr_spill_count: 0
    .wavefront_size: 64
  - .agpr_count:     0
    .args:
      - .offset:         0
        .size:           4
        .value_kind:     by_value
      - .offset:         8
        .size:           8
        .value_kind:     by_value
      - .offset:         16
        .size:           8
        .value_kind:     by_value
      - .offset:         24
        .size:           4
        .value_kind:     by_value
      - .actual_access:  read_only
        .address_space:  global
        .offset:         32
        .size:           8
        .value_kind:     global_buffer
      - .actual_access:  read_only
        .address_space:  global
        .offset:         40
        .size:           8
        .value_kind:     global_buffer
      - .actual_access:  read_only
        .address_space:  global
        .offset:         48
        .size:           8
        .value_kind:     global_buffer
      - .offset:         56
        .size:           8
        .value_kind:     by_value
      - .offset:         64
        .size:           4
        .value_kind:     by_value
      - .actual_access:  write_only
        .address_space:  global
        .offset:         72
        .size:           8
        .value_kind:     global_buffer
      - .actual_access:  write_only
        .address_space:  global
        .offset:         80
        .size:           8
        .value_kind:     global_buffer
      - .actual_access:  write_only
        .address_space:  global
        .offset:         88
        .size:           8
        .value_kind:     global_buffer
    .group_segment_fixed_size: 0
    .kernarg_segment_align: 8
    .kernarg_segment_size: 96
    .language:       OpenCL C
    .language_version:
      - 2
      - 0
    .max_flat_workgroup_size: 256
    .name:           _ZN9rocsparseL32bsr2csr_block_per_row_2_7_kernelILj256ELj7EdilEEv20rocsparse_direction_T3_S2_21rocsparse_index_base_PKT1_PKT2_PKS2_S2_S3_PS4_PS7_PS2_
    .private_segment_fixed_size: 0
    .sgpr_count:     30
    .sgpr_spill_count: 0
    .symbol:         _ZN9rocsparseL32bsr2csr_block_per_row_2_7_kernelILj256ELj7EdilEEv20rocsparse_direction_T3_S2_21rocsparse_index_base_PKT1_PKT2_PKS2_S2_S3_PS4_PS7_PS2_.kd
    .uniform_work_group_size: 1
    .uses_dynamic_stack: false
    .vgpr_count:     46
    .vgpr_spill_count: 0
    .wavefront_size: 64
  - .agpr_count:     0
    .args:
      - .offset:         0
        .size:           4
        .value_kind:     by_value
      - .offset:         8
        .size:           8
        .value_kind:     by_value
      - .offset:         16
        .size:           8
        .value_kind:     by_value
      - .offset:         24
        .size:           4
        .value_kind:     by_value
      - .actual_access:  read_only
        .address_space:  global
        .offset:         32
        .size:           8
        .value_kind:     global_buffer
      - .actual_access:  read_only
        .address_space:  global
        .offset:         40
        .size:           8
        .value_kind:     global_buffer
      - .actual_access:  read_only
        .address_space:  global
        .offset:         48
        .size:           8
        .value_kind:     global_buffer
      - .offset:         56
        .size:           8
        .value_kind:     by_value
      - .offset:         64
        .size:           4
        .value_kind:     by_value
      - .actual_access:  write_only
        .address_space:  global
        .offset:         72
        .size:           8
        .value_kind:     global_buffer
      - .actual_access:  write_only
        .address_space:  global
        .offset:         80
        .size:           8
        .value_kind:     global_buffer
      - .actual_access:  write_only
        .address_space:  global
        .offset:         88
        .size:           8
        .value_kind:     global_buffer
    .group_segment_fixed_size: 0
    .kernarg_segment_align: 8
    .kernarg_segment_size: 96
    .language:       OpenCL C
    .language_version:
      - 2
      - 0
    .max_flat_workgroup_size: 1024
    .name:           _ZN9rocsparseL33bsr2csr_block_per_row_8_32_kernelILj1024ELj8EdilEEv20rocsparse_direction_T3_S2_21rocsparse_index_base_PKT1_PKT2_PKS2_S2_S3_PS4_PS7_PS2_
    .private_segment_fixed_size: 0
    .sgpr_count:     25
    .sgpr_spill_count: 0
    .symbol:         _ZN9rocsparseL33bsr2csr_block_per_row_8_32_kernelILj1024ELj8EdilEEv20rocsparse_direction_T3_S2_21rocsparse_index_base_PKT1_PKT2_PKS2_S2_S3_PS4_PS7_PS2_.kd
    .uniform_work_group_size: 1
    .uses_dynamic_stack: false
    .vgpr_count:     23
    .vgpr_spill_count: 0
    .wavefront_size: 64
  - .agpr_count:     0
    .args:
      - .offset:         0
        .size:           4
        .value_kind:     by_value
      - .offset:         8
        .size:           8
        .value_kind:     by_value
      - .offset:         16
        .size:           8
        .value_kind:     by_value
      - .offset:         24
        .size:           4
        .value_kind:     by_value
      - .actual_access:  read_only
        .address_space:  global
        .offset:         32
        .size:           8
        .value_kind:     global_buffer
      - .actual_access:  read_only
        .address_space:  global
        .offset:         40
        .size:           8
        .value_kind:     global_buffer
      - .actual_access:  read_only
        .address_space:  global
        .offset:         48
        .size:           8
        .value_kind:     global_buffer
      - .offset:         56
        .size:           8
        .value_kind:     by_value
      - .offset:         64
        .size:           4
        .value_kind:     by_value
      - .actual_access:  write_only
        .address_space:  global
        .offset:         72
        .size:           8
        .value_kind:     global_buffer
      - .actual_access:  write_only
        .address_space:  global
        .offset:         80
        .size:           8
        .value_kind:     global_buffer
      - .actual_access:  write_only
        .address_space:  global
        .offset:         88
        .size:           8
        .value_kind:     global_buffer
    .group_segment_fixed_size: 0
    .kernarg_segment_align: 8
    .kernarg_segment_size: 96
    .language:       OpenCL C
    .language_version:
      - 2
      - 0
    .max_flat_workgroup_size: 1024
    .name:           _ZN9rocsparseL33bsr2csr_block_per_row_8_32_kernelILj1024ELj16EdilEEv20rocsparse_direction_T3_S2_21rocsparse_index_base_PKT1_PKT2_PKS2_S2_S3_PS4_PS7_PS2_
    .private_segment_fixed_size: 0
    .sgpr_count:     25
    .sgpr_spill_count: 0
    .symbol:         _ZN9rocsparseL33bsr2csr_block_per_row_8_32_kernelILj1024ELj16EdilEEv20rocsparse_direction_T3_S2_21rocsparse_index_base_PKT1_PKT2_PKS2_S2_S3_PS4_PS7_PS2_.kd
    .uniform_work_group_size: 1
    .uses_dynamic_stack: false
    .vgpr_count:     23
    .vgpr_spill_count: 0
    .wavefront_size: 64
  - .agpr_count:     0
    .args:
      - .offset:         0
        .size:           4
        .value_kind:     by_value
      - .offset:         8
        .size:           8
        .value_kind:     by_value
      - .offset:         16
        .size:           8
        .value_kind:     by_value
      - .offset:         24
        .size:           4
        .value_kind:     by_value
      - .actual_access:  read_only
        .address_space:  global
        .offset:         32
        .size:           8
        .value_kind:     global_buffer
      - .actual_access:  read_only
        .address_space:  global
        .offset:         40
        .size:           8
        .value_kind:     global_buffer
      - .actual_access:  read_only
        .address_space:  global
        .offset:         48
        .size:           8
        .value_kind:     global_buffer
      - .offset:         56
        .size:           8
        .value_kind:     by_value
      - .offset:         64
        .size:           4
        .value_kind:     by_value
      - .actual_access:  write_only
        .address_space:  global
        .offset:         72
        .size:           8
        .value_kind:     global_buffer
      - .actual_access:  write_only
        .address_space:  global
        .offset:         80
        .size:           8
        .value_kind:     global_buffer
      - .actual_access:  write_only
        .address_space:  global
        .offset:         88
        .size:           8
        .value_kind:     global_buffer
    .group_segment_fixed_size: 0
    .kernarg_segment_align: 8
    .kernarg_segment_size: 96
    .language:       OpenCL C
    .language_version:
      - 2
      - 0
    .max_flat_workgroup_size: 1024
    .name:           _ZN9rocsparseL33bsr2csr_block_per_row_8_32_kernelILj1024ELj32EdilEEv20rocsparse_direction_T3_S2_21rocsparse_index_base_PKT1_PKT2_PKS2_S2_S3_PS4_PS7_PS2_
    .private_segment_fixed_size: 0
    .sgpr_count:     24
    .sgpr_spill_count: 0
    .symbol:         _ZN9rocsparseL33bsr2csr_block_per_row_8_32_kernelILj1024ELj32EdilEEv20rocsparse_direction_T3_S2_21rocsparse_index_base_PKT1_PKT2_PKS2_S2_S3_PS4_PS7_PS2_.kd
    .uniform_work_group_size: 1
    .uses_dynamic_stack: false
    .vgpr_count:     20
    .vgpr_spill_count: 0
    .wavefront_size: 64
  - .agpr_count:     0
    .args:
      - .offset:         0
        .size:           4
        .value_kind:     by_value
      - .offset:         8
        .size:           8
        .value_kind:     by_value
      - .offset:         16
        .size:           8
        .value_kind:     by_value
      - .offset:         24
        .size:           4
        .value_kind:     by_value
      - .actual_access:  read_only
        .address_space:  global
        .offset:         32
        .size:           8
        .value_kind:     global_buffer
      - .actual_access:  read_only
        .address_space:  global
        .offset:         40
        .size:           8
        .value_kind:     global_buffer
      - .actual_access:  read_only
        .address_space:  global
        .offset:         48
        .size:           8
        .value_kind:     global_buffer
      - .offset:         56
        .size:           8
        .value_kind:     by_value
      - .offset:         64
        .size:           4
        .value_kind:     by_value
      - .actual_access:  write_only
        .address_space:  global
        .offset:         72
        .size:           8
        .value_kind:     global_buffer
      - .actual_access:  write_only
        .address_space:  global
        .offset:         80
        .size:           8
        .value_kind:     global_buffer
      - .actual_access:  write_only
        .address_space:  global
        .offset:         88
        .size:           8
        .value_kind:     global_buffer
    .group_segment_fixed_size: 0
    .kernarg_segment_align: 8
    .kernarg_segment_size: 96
    .language:       OpenCL C
    .language_version:
      - 2
      - 0
    .max_flat_workgroup_size: 1024
    .name:           _ZN9rocsparseL35bsr2csr_block_per_row_33_256_kernelILj1024ELj64ELj32EdilEEv20rocsparse_direction_T4_S2_21rocsparse_index_base_PKT2_PKT3_PKS2_S2_S3_PS4_PS7_PS2_
    .private_segment_fixed_size: 0
    .sgpr_count:     36
    .sgpr_spill_count: 0
    .symbol:         _ZN9rocsparseL35bsr2csr_block_per_row_33_256_kernelILj1024ELj64ELj32EdilEEv20rocsparse_direction_T4_S2_21rocsparse_index_base_PKT2_PKT3_PKS2_S2_S3_PS4_PS7_PS2_.kd
    .uniform_work_group_size: 1
    .uses_dynamic_stack: false
    .vgpr_count:     24
    .vgpr_spill_count: 0
    .wavefront_size: 64
  - .agpr_count:     0
    .args:
      - .offset:         0
        .size:           4
        .value_kind:     by_value
      - .offset:         8
        .size:           8
        .value_kind:     by_value
      - .offset:         16
        .size:           8
        .value_kind:     by_value
      - .offset:         24
        .size:           4
        .value_kind:     by_value
      - .actual_access:  read_only
        .address_space:  global
        .offset:         32
        .size:           8
        .value_kind:     global_buffer
      - .actual_access:  read_only
        .address_space:  global
        .offset:         40
        .size:           8
        .value_kind:     global_buffer
      - .actual_access:  read_only
        .address_space:  global
        .offset:         48
        .size:           8
        .value_kind:     global_buffer
      - .offset:         56
        .size:           8
        .value_kind:     by_value
      - .offset:         64
        .size:           4
        .value_kind:     by_value
      - .actual_access:  write_only
        .address_space:  global
        .offset:         72
        .size:           8
        .value_kind:     global_buffer
      - .actual_access:  write_only
        .address_space:  global
        .offset:         80
        .size:           8
        .value_kind:     global_buffer
      - .actual_access:  write_only
        .address_space:  global
        .offset:         88
        .size:           8
        .value_kind:     global_buffer
    .group_segment_fixed_size: 0
    .kernarg_segment_align: 8
    .kernarg_segment_size: 96
    .language:       OpenCL C
    .language_version:
      - 2
      - 0
    .max_flat_workgroup_size: 1024
    .name:           _ZN9rocsparseL35bsr2csr_block_per_row_33_256_kernelILj1024ELj128ELj32EdilEEv20rocsparse_direction_T4_S2_21rocsparse_index_base_PKT2_PKT3_PKS2_S2_S3_PS4_PS7_PS2_
    .private_segment_fixed_size: 0
    .sgpr_count:     64
    .sgpr_spill_count: 0
    .symbol:         _ZN9rocsparseL35bsr2csr_block_per_row_33_256_kernelILj1024ELj128ELj32EdilEEv20rocsparse_direction_T4_S2_21rocsparse_index_base_PKT2_PKT3_PKS2_S2_S3_PS4_PS7_PS2_.kd
    .uniform_work_group_size: 1
    .uses_dynamic_stack: false
    .vgpr_count:     42
    .vgpr_spill_count: 0
    .wavefront_size: 64
  - .agpr_count:     0
    .args:
      - .offset:         0
        .size:           4
        .value_kind:     by_value
      - .offset:         8
        .size:           8
        .value_kind:     by_value
      - .offset:         16
        .size:           8
        .value_kind:     by_value
      - .offset:         24
        .size:           4
        .value_kind:     by_value
      - .actual_access:  read_only
        .address_space:  global
        .offset:         32
        .size:           8
        .value_kind:     global_buffer
      - .actual_access:  read_only
        .address_space:  global
        .offset:         40
        .size:           8
        .value_kind:     global_buffer
      - .actual_access:  read_only
        .address_space:  global
        .offset:         48
        .size:           8
        .value_kind:     global_buffer
      - .offset:         56
        .size:           8
        .value_kind:     by_value
      - .offset:         64
        .size:           4
        .value_kind:     by_value
      - .actual_access:  write_only
        .address_space:  global
        .offset:         72
        .size:           8
        .value_kind:     global_buffer
      - .actual_access:  write_only
        .address_space:  global
        .offset:         80
        .size:           8
        .value_kind:     global_buffer
      - .actual_access:  write_only
        .address_space:  global
        .offset:         88
        .size:           8
        .value_kind:     global_buffer
    .group_segment_fixed_size: 0
    .kernarg_segment_align: 8
    .kernarg_segment_size: 96
    .language:       OpenCL C
    .language_version:
      - 2
      - 0
    .max_flat_workgroup_size: 1024
    .name:           _ZN9rocsparseL35bsr2csr_block_per_row_33_256_kernelILj1024ELj256ELj32EdilEEv20rocsparse_direction_T4_S2_21rocsparse_index_base_PKT2_PKT3_PKS2_S2_S3_PS4_PS7_PS2_
    .private_segment_fixed_size: 0
    .sgpr_count:     100
    .sgpr_spill_count: 63
    .symbol:         _ZN9rocsparseL35bsr2csr_block_per_row_33_256_kernelILj1024ELj256ELj32EdilEEv20rocsparse_direction_T4_S2_21rocsparse_index_base_PKT2_PKT3_PKS2_S2_S3_PS4_PS7_PS2_.kd
    .uniform_work_group_size: 1
    .uses_dynamic_stack: false
    .vgpr_count:     87
    .vgpr_spill_count: 0
    .wavefront_size: 64
  - .agpr_count:     0
    .args:
      - .offset:         0
        .size:           8
        .value_kind:     by_value
      - .offset:         8
        .size:           8
        .value_kind:     by_value
      - .offset:         16
        .size:           4
        .value_kind:     by_value
      - .actual_access:  read_only
        .address_space:  global
        .offset:         24
        .size:           8
        .value_kind:     global_buffer
      - .actual_access:  read_only
        .address_space:  global
        .offset:         32
        .size:           8
        .value_kind:     global_buffer
      - .actual_access:  read_only
        .address_space:  global
        .offset:         40
        .size:           8
        .value_kind:     global_buffer
      - .offset:         48
        .size:           4
        .value_kind:     by_value
      - .actual_access:  write_only
        .address_space:  global
        .offset:         56
        .size:           8
        .value_kind:     global_buffer
      - .actual_access:  write_only
        .address_space:  global
        .offset:         64
        .size:           8
        .value_kind:     global_buffer
      - .actual_access:  write_only
        .address_space:  global
        .offset:         72
        .size:           8
        .value_kind:     global_buffer
      - .offset:         80
        .size:           4
        .value_kind:     hidden_block_count_x
      - .offset:         84
        .size:           4
        .value_kind:     hidden_block_count_y
      - .offset:         88
        .size:           4
        .value_kind:     hidden_block_count_z
      - .offset:         92
        .size:           2
        .value_kind:     hidden_group_size_x
      - .offset:         94
        .size:           2
        .value_kind:     hidden_group_size_y
      - .offset:         96
        .size:           2
        .value_kind:     hidden_group_size_z
      - .offset:         98
        .size:           2
        .value_kind:     hidden_remainder_x
      - .offset:         100
        .size:           2
        .value_kind:     hidden_remainder_y
      - .offset:         102
        .size:           2
        .value_kind:     hidden_remainder_z
      - .offset:         120
        .size:           8
        .value_kind:     hidden_global_offset_x
      - .offset:         128
        .size:           8
        .value_kind:     hidden_global_offset_y
      - .offset:         136
        .size:           8
        .value_kind:     hidden_global_offset_z
      - .offset:         144
        .size:           2
        .value_kind:     hidden_grid_dims
    .group_segment_fixed_size: 0
    .kernarg_segment_align: 8
    .kernarg_segment_size: 336
    .language:       OpenCL C
    .language_version:
      - 2
      - 0
    .max_flat_workgroup_size: 1024
    .name:           _ZN9rocsparseL35bsr2csr_block_dim_equals_one_kernelILj1024EdllEEvT2_S1_21rocsparse_index_base_PKT0_PKT1_PKS1_S2_PS3_PS6_PS1_
    .private_segment_fixed_size: 0
    .sgpr_count:     30
    .sgpr_spill_count: 0
    .symbol:         _ZN9rocsparseL35bsr2csr_block_dim_equals_one_kernelILj1024EdllEEvT2_S1_21rocsparse_index_base_PKT0_PKT1_PKS1_S2_PS3_PS6_PS1_.kd
    .uniform_work_group_size: 1
    .uses_dynamic_stack: false
    .vgpr_count:     20
    .vgpr_spill_count: 0
    .wavefront_size: 64
  - .agpr_count:     0
    .args:
      - .offset:         0
        .size:           4
        .value_kind:     by_value
      - .offset:         8
        .size:           8
        .value_kind:     by_value
      - .offset:         16
        .size:           8
        .value_kind:     by_value
      - .offset:         24
        .size:           4
        .value_kind:     by_value
      - .actual_access:  read_only
        .address_space:  global
        .offset:         32
        .size:           8
        .value_kind:     global_buffer
      - .actual_access:  read_only
        .address_space:  global
        .offset:         40
        .size:           8
        .value_kind:     global_buffer
      - .actual_access:  read_only
        .address_space:  global
        .offset:         48
        .size:           8
        .value_kind:     global_buffer
      - .offset:         56
        .size:           8
        .value_kind:     by_value
      - .offset:         64
        .size:           4
        .value_kind:     by_value
      - .actual_access:  write_only
        .address_space:  global
        .offset:         72
        .size:           8
        .value_kind:     global_buffer
      - .actual_access:  write_only
        .address_space:  global
        .offset:         80
        .size:           8
        .value_kind:     global_buffer
      - .actual_access:  write_only
        .address_space:  global
        .offset:         88
        .size:           8
        .value_kind:     global_buffer
    .group_segment_fixed_size: 0
    .kernarg_segment_align: 8
    .kernarg_segment_size: 96
    .language:       OpenCL C
    .language_version:
      - 2
      - 0
    .max_flat_workgroup_size: 256
    .name:           _ZN9rocsparseL32bsr2csr_block_per_row_2_7_kernelILj256ELj2EdllEEv20rocsparse_direction_T3_S2_21rocsparse_index_base_PKT1_PKT2_PKS2_S2_S3_PS4_PS7_PS2_
    .private_segment_fixed_size: 0
    .sgpr_count:     28
    .sgpr_spill_count: 0
    .symbol:         _ZN9rocsparseL32bsr2csr_block_per_row_2_7_kernelILj256ELj2EdllEEv20rocsparse_direction_T3_S2_21rocsparse_index_base_PKT1_PKT2_PKS2_S2_S3_PS4_PS7_PS2_.kd
    .uniform_work_group_size: 1
    .uses_dynamic_stack: false
    .vgpr_count:     24
    .vgpr_spill_count: 0
    .wavefront_size: 64
  - .agpr_count:     0
    .args:
      - .offset:         0
        .size:           4
        .value_kind:     by_value
      - .offset:         8
        .size:           8
        .value_kind:     by_value
      - .offset:         16
        .size:           8
        .value_kind:     by_value
      - .offset:         24
        .size:           4
        .value_kind:     by_value
      - .actual_access:  read_only
        .address_space:  global
        .offset:         32
        .size:           8
        .value_kind:     global_buffer
      - .actual_access:  read_only
        .address_space:  global
        .offset:         40
        .size:           8
        .value_kind:     global_buffer
      - .actual_access:  read_only
        .address_space:  global
        .offset:         48
        .size:           8
        .value_kind:     global_buffer
      - .offset:         56
        .size:           8
        .value_kind:     by_value
      - .offset:         64
        .size:           4
        .value_kind:     by_value
      - .actual_access:  write_only
        .address_space:  global
        .offset:         72
        .size:           8
        .value_kind:     global_buffer
      - .actual_access:  write_only
        .address_space:  global
        .offset:         80
        .size:           8
        .value_kind:     global_buffer
      - .actual_access:  write_only
        .address_space:  global
        .offset:         88
        .size:           8
        .value_kind:     global_buffer
    .group_segment_fixed_size: 0
    .kernarg_segment_align: 8
    .kernarg_segment_size: 96
    .language:       OpenCL C
    .language_version:
      - 2
      - 0
    .max_flat_workgroup_size: 256
    .name:           _ZN9rocsparseL32bsr2csr_block_per_row_2_7_kernelILj256ELj3EdllEEv20rocsparse_direction_T3_S2_21rocsparse_index_base_PKT1_PKT2_PKS2_S2_S3_PS4_PS7_PS2_
    .private_segment_fixed_size: 0
    .sgpr_count:     26
    .sgpr_spill_count: 0
    .symbol:         _ZN9rocsparseL32bsr2csr_block_per_row_2_7_kernelILj256ELj3EdllEEv20rocsparse_direction_T3_S2_21rocsparse_index_base_PKT1_PKT2_PKS2_S2_S3_PS4_PS7_PS2_.kd
    .uniform_work_group_size: 1
    .uses_dynamic_stack: false
    .vgpr_count:     28
    .vgpr_spill_count: 0
    .wavefront_size: 64
  - .agpr_count:     0
    .args:
      - .offset:         0
        .size:           4
        .value_kind:     by_value
      - .offset:         8
        .size:           8
        .value_kind:     by_value
      - .offset:         16
        .size:           8
        .value_kind:     by_value
      - .offset:         24
        .size:           4
        .value_kind:     by_value
      - .actual_access:  read_only
        .address_space:  global
        .offset:         32
        .size:           8
        .value_kind:     global_buffer
      - .actual_access:  read_only
        .address_space:  global
        .offset:         40
        .size:           8
        .value_kind:     global_buffer
      - .actual_access:  read_only
        .address_space:  global
        .offset:         48
        .size:           8
        .value_kind:     global_buffer
      - .offset:         56
        .size:           8
        .value_kind:     by_value
      - .offset:         64
        .size:           4
        .value_kind:     by_value
      - .actual_access:  write_only
        .address_space:  global
        .offset:         72
        .size:           8
        .value_kind:     global_buffer
      - .actual_access:  write_only
        .address_space:  global
        .offset:         80
        .size:           8
        .value_kind:     global_buffer
      - .actual_access:  write_only
        .address_space:  global
        .offset:         88
        .size:           8
        .value_kind:     global_buffer
    .group_segment_fixed_size: 0
    .kernarg_segment_align: 8
    .kernarg_segment_size: 96
    .language:       OpenCL C
    .language_version:
      - 2
      - 0
    .max_flat_workgroup_size: 256
    .name:           _ZN9rocsparseL32bsr2csr_block_per_row_2_7_kernelILj256ELj4EdllEEv20rocsparse_direction_T3_S2_21rocsparse_index_base_PKT1_PKT2_PKS2_S2_S3_PS4_PS7_PS2_
    .private_segment_fixed_size: 0
    .sgpr_count:     34
    .sgpr_spill_count: 0
    .symbol:         _ZN9rocsparseL32bsr2csr_block_per_row_2_7_kernelILj256ELj4EdllEEv20rocsparse_direction_T3_S2_21rocsparse_index_base_PKT1_PKT2_PKS2_S2_S3_PS4_PS7_PS2_.kd
    .uniform_work_group_size: 1
    .uses_dynamic_stack: false
    .vgpr_count:     28
    .vgpr_spill_count: 0
    .wavefront_size: 64
  - .agpr_count:     0
    .args:
      - .offset:         0
        .size:           4
        .value_kind:     by_value
      - .offset:         8
        .size:           8
        .value_kind:     by_value
      - .offset:         16
        .size:           8
        .value_kind:     by_value
      - .offset:         24
        .size:           4
        .value_kind:     by_value
      - .actual_access:  read_only
        .address_space:  global
        .offset:         32
        .size:           8
        .value_kind:     global_buffer
      - .actual_access:  read_only
        .address_space:  global
        .offset:         40
        .size:           8
        .value_kind:     global_buffer
      - .actual_access:  read_only
        .address_space:  global
        .offset:         48
        .size:           8
        .value_kind:     global_buffer
      - .offset:         56
        .size:           8
        .value_kind:     by_value
      - .offset:         64
        .size:           4
        .value_kind:     by_value
      - .actual_access:  write_only
        .address_space:  global
        .offset:         72
        .size:           8
        .value_kind:     global_buffer
      - .actual_access:  write_only
        .address_space:  global
        .offset:         80
        .size:           8
        .value_kind:     global_buffer
      - .actual_access:  write_only
        .address_space:  global
        .offset:         88
        .size:           8
        .value_kind:     global_buffer
    .group_segment_fixed_size: 0
    .kernarg_segment_align: 8
    .kernarg_segment_size: 96
    .language:       OpenCL C
    .language_version:
      - 2
      - 0
    .max_flat_workgroup_size: 256
    .name:           _ZN9rocsparseL32bsr2csr_block_per_row_2_7_kernelILj256ELj5EdllEEv20rocsparse_direction_T3_S2_21rocsparse_index_base_PKT1_PKT2_PKS2_S2_S3_PS4_PS7_PS2_
    .private_segment_fixed_size: 0
    .sgpr_count:     26
    .sgpr_spill_count: 0
    .symbol:         _ZN9rocsparseL32bsr2csr_block_per_row_2_7_kernelILj256ELj5EdllEEv20rocsparse_direction_T3_S2_21rocsparse_index_base_PKT1_PKT2_PKS2_S2_S3_PS4_PS7_PS2_.kd
    .uniform_work_group_size: 1
    .uses_dynamic_stack: false
    .vgpr_count:     34
    .vgpr_spill_count: 0
    .wavefront_size: 64
  - .agpr_count:     0
    .args:
      - .offset:         0
        .size:           4
        .value_kind:     by_value
      - .offset:         8
        .size:           8
        .value_kind:     by_value
      - .offset:         16
        .size:           8
        .value_kind:     by_value
      - .offset:         24
        .size:           4
        .value_kind:     by_value
      - .actual_access:  read_only
        .address_space:  global
        .offset:         32
        .size:           8
        .value_kind:     global_buffer
      - .actual_access:  read_only
        .address_space:  global
        .offset:         40
        .size:           8
        .value_kind:     global_buffer
      - .actual_access:  read_only
        .address_space:  global
        .offset:         48
        .size:           8
        .value_kind:     global_buffer
      - .offset:         56
        .size:           8
        .value_kind:     by_value
      - .offset:         64
        .size:           4
        .value_kind:     by_value
      - .actual_access:  write_only
        .address_space:  global
        .offset:         72
        .size:           8
        .value_kind:     global_buffer
      - .actual_access:  write_only
        .address_space:  global
        .offset:         80
        .size:           8
        .value_kind:     global_buffer
      - .actual_access:  write_only
        .address_space:  global
        .offset:         88
        .size:           8
        .value_kind:     global_buffer
    .group_segment_fixed_size: 0
    .kernarg_segment_align: 8
    .kernarg_segment_size: 96
    .language:       OpenCL C
    .language_version:
      - 2
      - 0
    .max_flat_workgroup_size: 256
    .name:           _ZN9rocsparseL32bsr2csr_block_per_row_2_7_kernelILj256ELj6EdllEEv20rocsparse_direction_T3_S2_21rocsparse_index_base_PKT1_PKT2_PKS2_S2_S3_PS4_PS7_PS2_
    .private_segment_fixed_size: 0
    .sgpr_count:     27
    .sgpr_spill_count: 0
    .symbol:         _ZN9rocsparseL32bsr2csr_block_per_row_2_7_kernelILj256ELj6EdllEEv20rocsparse_direction_T3_S2_21rocsparse_index_base_PKT1_PKT2_PKS2_S2_S3_PS4_PS7_PS2_.kd
    .uniform_work_group_size: 1
    .uses_dynamic_stack: false
    .vgpr_count:     38
    .vgpr_spill_count: 0
    .wavefront_size: 64
  - .agpr_count:     0
    .args:
      - .offset:         0
        .size:           4
        .value_kind:     by_value
      - .offset:         8
        .size:           8
        .value_kind:     by_value
      - .offset:         16
        .size:           8
        .value_kind:     by_value
      - .offset:         24
        .size:           4
        .value_kind:     by_value
      - .actual_access:  read_only
        .address_space:  global
        .offset:         32
        .size:           8
        .value_kind:     global_buffer
      - .actual_access:  read_only
        .address_space:  global
        .offset:         40
        .size:           8
        .value_kind:     global_buffer
      - .actual_access:  read_only
        .address_space:  global
        .offset:         48
        .size:           8
        .value_kind:     global_buffer
      - .offset:         56
        .size:           8
        .value_kind:     by_value
      - .offset:         64
        .size:           4
        .value_kind:     by_value
      - .actual_access:  write_only
        .address_space:  global
        .offset:         72
        .size:           8
        .value_kind:     global_buffer
      - .actual_access:  write_only
        .address_space:  global
        .offset:         80
        .size:           8
        .value_kind:     global_buffer
      - .actual_access:  write_only
        .address_space:  global
        .offset:         88
        .size:           8
        .value_kind:     global_buffer
    .group_segment_fixed_size: 0
    .kernarg_segment_align: 8
    .kernarg_segment_size: 96
    .language:       OpenCL C
    .language_version:
      - 2
      - 0
    .max_flat_workgroup_size: 256
    .name:           _ZN9rocsparseL32bsr2csr_block_per_row_2_7_kernelILj256ELj7EdllEEv20rocsparse_direction_T3_S2_21rocsparse_index_base_PKT1_PKT2_PKS2_S2_S3_PS4_PS7_PS2_
    .private_segment_fixed_size: 0
    .sgpr_count:     30
    .sgpr_spill_count: 0
    .symbol:         _ZN9rocsparseL32bsr2csr_block_per_row_2_7_kernelILj256ELj7EdllEEv20rocsparse_direction_T3_S2_21rocsparse_index_base_PKT1_PKT2_PKS2_S2_S3_PS4_PS7_PS2_.kd
    .uniform_work_group_size: 1
    .uses_dynamic_stack: false
    .vgpr_count:     42
    .vgpr_spill_count: 0
    .wavefront_size: 64
  - .agpr_count:     0
    .args:
      - .offset:         0
        .size:           4
        .value_kind:     by_value
      - .offset:         8
        .size:           8
        .value_kind:     by_value
      - .offset:         16
        .size:           8
        .value_kind:     by_value
      - .offset:         24
        .size:           4
        .value_kind:     by_value
      - .actual_access:  read_only
        .address_space:  global
        .offset:         32
        .size:           8
        .value_kind:     global_buffer
      - .actual_access:  read_only
        .address_space:  global
        .offset:         40
        .size:           8
        .value_kind:     global_buffer
      - .actual_access:  read_only
        .address_space:  global
        .offset:         48
        .size:           8
        .value_kind:     global_buffer
      - .offset:         56
        .size:           8
        .value_kind:     by_value
      - .offset:         64
        .size:           4
        .value_kind:     by_value
      - .actual_access:  write_only
        .address_space:  global
        .offset:         72
        .size:           8
        .value_kind:     global_buffer
      - .actual_access:  write_only
        .address_space:  global
        .offset:         80
        .size:           8
        .value_kind:     global_buffer
      - .actual_access:  write_only
        .address_space:  global
        .offset:         88
        .size:           8
        .value_kind:     global_buffer
    .group_segment_fixed_size: 0
    .kernarg_segment_align: 8
    .kernarg_segment_size: 96
    .language:       OpenCL C
    .language_version:
      - 2
      - 0
    .max_flat_workgroup_size: 1024
    .name:           _ZN9rocsparseL33bsr2csr_block_per_row_8_32_kernelILj1024ELj8EdllEEv20rocsparse_direction_T3_S2_21rocsparse_index_base_PKT1_PKT2_PKS2_S2_S3_PS4_PS7_PS2_
    .private_segment_fixed_size: 0
    .sgpr_count:     30
    .sgpr_spill_count: 0
    .symbol:         _ZN9rocsparseL33bsr2csr_block_per_row_8_32_kernelILj1024ELj8EdllEEv20rocsparse_direction_T3_S2_21rocsparse_index_base_PKT1_PKT2_PKS2_S2_S3_PS4_PS7_PS2_.kd
    .uniform_work_group_size: 1
    .uses_dynamic_stack: false
    .vgpr_count:     22
    .vgpr_spill_count: 0
    .wavefront_size: 64
  - .agpr_count:     0
    .args:
      - .offset:         0
        .size:           4
        .value_kind:     by_value
      - .offset:         8
        .size:           8
        .value_kind:     by_value
      - .offset:         16
        .size:           8
        .value_kind:     by_value
      - .offset:         24
        .size:           4
        .value_kind:     by_value
      - .actual_access:  read_only
        .address_space:  global
        .offset:         32
        .size:           8
        .value_kind:     global_buffer
      - .actual_access:  read_only
        .address_space:  global
        .offset:         40
        .size:           8
        .value_kind:     global_buffer
      - .actual_access:  read_only
        .address_space:  global
        .offset:         48
        .size:           8
        .value_kind:     global_buffer
      - .offset:         56
        .size:           8
        .value_kind:     by_value
      - .offset:         64
        .size:           4
        .value_kind:     by_value
      - .actual_access:  write_only
        .address_space:  global
        .offset:         72
        .size:           8
        .value_kind:     global_buffer
      - .actual_access:  write_only
        .address_space:  global
        .offset:         80
        .size:           8
        .value_kind:     global_buffer
      - .actual_access:  write_only
        .address_space:  global
        .offset:         88
        .size:           8
        .value_kind:     global_buffer
    .group_segment_fixed_size: 0
    .kernarg_segment_align: 8
    .kernarg_segment_size: 96
    .language:       OpenCL C
    .language_version:
      - 2
      - 0
    .max_flat_workgroup_size: 1024
    .name:           _ZN9rocsparseL33bsr2csr_block_per_row_8_32_kernelILj1024ELj16EdllEEv20rocsparse_direction_T3_S2_21rocsparse_index_base_PKT1_PKT2_PKS2_S2_S3_PS4_PS7_PS2_
    .private_segment_fixed_size: 0
    .sgpr_count:     30
    .sgpr_spill_count: 0
    .symbol:         _ZN9rocsparseL33bsr2csr_block_per_row_8_32_kernelILj1024ELj16EdllEEv20rocsparse_direction_T3_S2_21rocsparse_index_base_PKT1_PKT2_PKS2_S2_S3_PS4_PS7_PS2_.kd
    .uniform_work_group_size: 1
    .uses_dynamic_stack: false
    .vgpr_count:     21
    .vgpr_spill_count: 0
    .wavefront_size: 64
  - .agpr_count:     0
    .args:
      - .offset:         0
        .size:           4
        .value_kind:     by_value
      - .offset:         8
        .size:           8
        .value_kind:     by_value
      - .offset:         16
        .size:           8
        .value_kind:     by_value
      - .offset:         24
        .size:           4
        .value_kind:     by_value
      - .actual_access:  read_only
        .address_space:  global
        .offset:         32
        .size:           8
        .value_kind:     global_buffer
      - .actual_access:  read_only
        .address_space:  global
        .offset:         40
        .size:           8
        .value_kind:     global_buffer
      - .actual_access:  read_only
        .address_space:  global
        .offset:         48
        .size:           8
        .value_kind:     global_buffer
      - .offset:         56
        .size:           8
        .value_kind:     by_value
      - .offset:         64
        .size:           4
        .value_kind:     by_value
      - .actual_access:  write_only
        .address_space:  global
        .offset:         72
        .size:           8
        .value_kind:     global_buffer
      - .actual_access:  write_only
        .address_space:  global
        .offset:         80
        .size:           8
        .value_kind:     global_buffer
      - .actual_access:  write_only
        .address_space:  global
        .offset:         88
        .size:           8
        .value_kind:     global_buffer
    .group_segment_fixed_size: 0
    .kernarg_segment_align: 8
    .kernarg_segment_size: 96
    .language:       OpenCL C
    .language_version:
      - 2
      - 0
    .max_flat_workgroup_size: 1024
    .name:           _ZN9rocsparseL33bsr2csr_block_per_row_8_32_kernelILj1024ELj32EdllEEv20rocsparse_direction_T3_S2_21rocsparse_index_base_PKT1_PKT2_PKS2_S2_S3_PS4_PS7_PS2_
    .private_segment_fixed_size: 0
    .sgpr_count:     33
    .sgpr_spill_count: 0
    .symbol:         _ZN9rocsparseL33bsr2csr_block_per_row_8_32_kernelILj1024ELj32EdllEEv20rocsparse_direction_T3_S2_21rocsparse_index_base_PKT1_PKT2_PKS2_S2_S3_PS4_PS7_PS2_.kd
    .uniform_work_group_size: 1
    .uses_dynamic_stack: false
    .vgpr_count:     22
    .vgpr_spill_count: 0
    .wavefront_size: 64
  - .agpr_count:     0
    .args:
      - .offset:         0
        .size:           4
        .value_kind:     by_value
      - .offset:         8
        .size:           8
        .value_kind:     by_value
      - .offset:         16
        .size:           8
        .value_kind:     by_value
      - .offset:         24
        .size:           4
        .value_kind:     by_value
      - .actual_access:  read_only
        .address_space:  global
        .offset:         32
        .size:           8
        .value_kind:     global_buffer
      - .actual_access:  read_only
        .address_space:  global
        .offset:         40
        .size:           8
        .value_kind:     global_buffer
      - .actual_access:  read_only
        .address_space:  global
        .offset:         48
        .size:           8
        .value_kind:     global_buffer
      - .offset:         56
        .size:           8
        .value_kind:     by_value
      - .offset:         64
        .size:           4
        .value_kind:     by_value
      - .actual_access:  write_only
        .address_space:  global
        .offset:         72
        .size:           8
        .value_kind:     global_buffer
      - .actual_access:  write_only
        .address_space:  global
        .offset:         80
        .size:           8
        .value_kind:     global_buffer
      - .actual_access:  write_only
        .address_space:  global
        .offset:         88
        .size:           8
        .value_kind:     global_buffer
    .group_segment_fixed_size: 0
    .kernarg_segment_align: 8
    .kernarg_segment_size: 96
    .language:       OpenCL C
    .language_version:
      - 2
      - 0
    .max_flat_workgroup_size: 1024
    .name:           _ZN9rocsparseL35bsr2csr_block_per_row_33_256_kernelILj1024ELj64ELj32EdllEEv20rocsparse_direction_T4_S2_21rocsparse_index_base_PKT2_PKT3_PKS2_S2_S3_PS4_PS7_PS2_
    .private_segment_fixed_size: 0
    .sgpr_count:     47
    .sgpr_spill_count: 0
    .symbol:         _ZN9rocsparseL35bsr2csr_block_per_row_33_256_kernelILj1024ELj64ELj32EdllEEv20rocsparse_direction_T4_S2_21rocsparse_index_base_PKT2_PKT3_PKS2_S2_S3_PS4_PS7_PS2_.kd
    .uniform_work_group_size: 1
    .uses_dynamic_stack: false
    .vgpr_count:     28
    .vgpr_spill_count: 0
    .wavefront_size: 64
  - .agpr_count:     0
    .args:
      - .offset:         0
        .size:           4
        .value_kind:     by_value
      - .offset:         8
        .size:           8
        .value_kind:     by_value
      - .offset:         16
        .size:           8
        .value_kind:     by_value
      - .offset:         24
        .size:           4
        .value_kind:     by_value
      - .actual_access:  read_only
        .address_space:  global
        .offset:         32
        .size:           8
        .value_kind:     global_buffer
      - .actual_access:  read_only
        .address_space:  global
        .offset:         40
        .size:           8
        .value_kind:     global_buffer
      - .actual_access:  read_only
        .address_space:  global
        .offset:         48
        .size:           8
        .value_kind:     global_buffer
      - .offset:         56
        .size:           8
        .value_kind:     by_value
      - .offset:         64
        .size:           4
        .value_kind:     by_value
      - .actual_access:  write_only
        .address_space:  global
        .offset:         72
        .size:           8
        .value_kind:     global_buffer
      - .actual_access:  write_only
        .address_space:  global
        .offset:         80
        .size:           8
        .value_kind:     global_buffer
      - .actual_access:  write_only
        .address_space:  global
        .offset:         88
        .size:           8
        .value_kind:     global_buffer
    .group_segment_fixed_size: 0
    .kernarg_segment_align: 8
    .kernarg_segment_size: 96
    .language:       OpenCL C
    .language_version:
      - 2
      - 0
    .max_flat_workgroup_size: 1024
    .name:           _ZN9rocsparseL35bsr2csr_block_per_row_33_256_kernelILj1024ELj128ELj32EdllEEv20rocsparse_direction_T4_S2_21rocsparse_index_base_PKT2_PKT3_PKS2_S2_S3_PS4_PS7_PS2_
    .private_segment_fixed_size: 0
    .sgpr_count:     73
    .sgpr_spill_count: 0
    .symbol:         _ZN9rocsparseL35bsr2csr_block_per_row_33_256_kernelILj1024ELj128ELj32EdllEEv20rocsparse_direction_T4_S2_21rocsparse_index_base_PKT2_PKT3_PKS2_S2_S3_PS4_PS7_PS2_.kd
    .uniform_work_group_size: 1
    .uses_dynamic_stack: false
    .vgpr_count:     48
    .vgpr_spill_count: 0
    .wavefront_size: 64
  - .agpr_count:     0
    .args:
      - .offset:         0
        .size:           4
        .value_kind:     by_value
      - .offset:         8
        .size:           8
        .value_kind:     by_value
      - .offset:         16
        .size:           8
        .value_kind:     by_value
      - .offset:         24
        .size:           4
        .value_kind:     by_value
      - .actual_access:  read_only
        .address_space:  global
        .offset:         32
        .size:           8
        .value_kind:     global_buffer
      - .actual_access:  read_only
        .address_space:  global
        .offset:         40
        .size:           8
        .value_kind:     global_buffer
      - .actual_access:  read_only
        .address_space:  global
        .offset:         48
        .size:           8
        .value_kind:     global_buffer
      - .offset:         56
        .size:           8
        .value_kind:     by_value
      - .offset:         64
        .size:           4
        .value_kind:     by_value
      - .actual_access:  write_only
        .address_space:  global
        .offset:         72
        .size:           8
        .value_kind:     global_buffer
      - .actual_access:  write_only
        .address_space:  global
        .offset:         80
        .size:           8
        .value_kind:     global_buffer
      - .actual_access:  write_only
        .address_space:  global
        .offset:         88
        .size:           8
        .value_kind:     global_buffer
    .group_segment_fixed_size: 0
    .kernarg_segment_align: 8
    .kernarg_segment_size: 96
    .language:       OpenCL C
    .language_version:
      - 2
      - 0
    .max_flat_workgroup_size: 1024
    .name:           _ZN9rocsparseL35bsr2csr_block_per_row_33_256_kernelILj1024ELj256ELj32EdllEEv20rocsparse_direction_T4_S2_21rocsparse_index_base_PKT2_PKT3_PKS2_S2_S3_PS4_PS7_PS2_
    .private_segment_fixed_size: 0
    .sgpr_count:     100
    .sgpr_spill_count: 104
    .symbol:         _ZN9rocsparseL35bsr2csr_block_per_row_33_256_kernelILj1024ELj256ELj32EdllEEv20rocsparse_direction_T4_S2_21rocsparse_index_base_PKT2_PKT3_PKS2_S2_S3_PS4_PS7_PS2_.kd
    .uniform_work_group_size: 1
    .uses_dynamic_stack: false
    .vgpr_count:     76
    .vgpr_spill_count: 0
    .wavefront_size: 64
  - .agpr_count:     0
    .args:
      - .offset:         0
        .size:           4
        .value_kind:     by_value
      - .offset:         4
        .size:           4
        .value_kind:     by_value
      - .offset:         8
        .size:           4
        .value_kind:     by_value
      - .actual_access:  read_only
        .address_space:  global
        .offset:         16
        .size:           8
        .value_kind:     global_buffer
      - .actual_access:  read_only
        .address_space:  global
        .offset:         24
        .size:           8
        .value_kind:     global_buffer
      - .actual_access:  read_only
        .address_space:  global
        .offset:         32
        .size:           8
        .value_kind:     global_buffer
      - .offset:         40
        .size:           4
        .value_kind:     by_value
      - .actual_access:  write_only
        .address_space:  global
        .offset:         48
        .size:           8
        .value_kind:     global_buffer
      - .actual_access:  write_only
        .address_space:  global
        .offset:         56
        .size:           8
        .value_kind:     global_buffer
      - .actual_access:  write_only
        .address_space:  global
        .offset:         64
        .size:           8
        .value_kind:     global_buffer
      - .offset:         72
        .size:           4
        .value_kind:     hidden_block_count_x
      - .offset:         76
        .size:           4
        .value_kind:     hidden_block_count_y
      - .offset:         80
        .size:           4
        .value_kind:     hidden_block_count_z
      - .offset:         84
        .size:           2
        .value_kind:     hidden_group_size_x
      - .offset:         86
        .size:           2
        .value_kind:     hidden_group_size_y
      - .offset:         88
        .size:           2
        .value_kind:     hidden_group_size_z
      - .offset:         90
        .size:           2
        .value_kind:     hidden_remainder_x
      - .offset:         92
        .size:           2
        .value_kind:     hidden_remainder_y
      - .offset:         94
        .size:           2
        .value_kind:     hidden_remainder_z
      - .offset:         112
        .size:           8
        .value_kind:     hidden_global_offset_x
      - .offset:         120
        .size:           8
        .value_kind:     hidden_global_offset_y
      - .offset:         128
        .size:           8
        .value_kind:     hidden_global_offset_z
      - .offset:         136
        .size:           2
        .value_kind:     hidden_grid_dims
    .group_segment_fixed_size: 0
    .kernarg_segment_align: 8
    .kernarg_segment_size: 328
    .language:       OpenCL C
    .language_version:
      - 2
      - 0
    .max_flat_workgroup_size: 1024
    .name:           _ZN9rocsparseL35bsr2csr_block_dim_equals_one_kernelILj1024E21rocsparse_complex_numIdEiiEEvT2_S3_21rocsparse_index_base_PKT0_PKT1_PKS3_S4_PS5_PS8_PS3_
    .private_segment_fixed_size: 0
    .sgpr_count:     27
    .sgpr_spill_count: 0
    .symbol:         _ZN9rocsparseL35bsr2csr_block_dim_equals_one_kernelILj1024E21rocsparse_complex_numIdEiiEEvT2_S3_21rocsparse_index_base_PKT0_PKT1_PKS3_S4_PS5_PS8_PS3_.kd
    .uniform_work_group_size: 1
    .uses_dynamic_stack: false
    .vgpr_count:     15
    .vgpr_spill_count: 0
    .wavefront_size: 64
  - .agpr_count:     0
    .args:
      - .offset:         0
        .size:           4
        .value_kind:     by_value
      - .offset:         4
        .size:           4
        .value_kind:     by_value
      - .offset:         8
        .size:           4
        .value_kind:     by_value
      - .offset:         12
        .size:           4
        .value_kind:     by_value
      - .actual_access:  read_only
        .address_space:  global
        .offset:         16
        .size:           8
        .value_kind:     global_buffer
      - .actual_access:  read_only
        .address_space:  global
        .offset:         24
        .size:           8
        .value_kind:     global_buffer
      - .actual_access:  read_only
        .address_space:  global
        .offset:         32
        .size:           8
        .value_kind:     global_buffer
      - .offset:         40
        .size:           4
        .value_kind:     by_value
      - .offset:         44
        .size:           4
        .value_kind:     by_value
      - .actual_access:  write_only
        .address_space:  global
        .offset:         48
        .size:           8
        .value_kind:     global_buffer
      - .actual_access:  write_only
        .address_space:  global
        .offset:         56
        .size:           8
        .value_kind:     global_buffer
      - .actual_access:  write_only
        .address_space:  global
        .offset:         64
        .size:           8
        .value_kind:     global_buffer
    .group_segment_fixed_size: 0
    .kernarg_segment_align: 8
    .kernarg_segment_size: 72
    .language:       OpenCL C
    .language_version:
      - 2
      - 0
    .max_flat_workgroup_size: 256
    .name:           _ZN9rocsparseL32bsr2csr_block_per_row_2_7_kernelILj256ELj2E21rocsparse_complex_numIdEiiEEv20rocsparse_direction_T3_S4_21rocsparse_index_base_PKT1_PKT2_PKS4_S4_S5_PS6_PS9_PS4_
    .private_segment_fixed_size: 0
    .sgpr_count:     19
    .sgpr_spill_count: 0
    .symbol:         _ZN9rocsparseL32bsr2csr_block_per_row_2_7_kernelILj256ELj2E21rocsparse_complex_numIdEiiEEv20rocsparse_direction_T3_S4_21rocsparse_index_base_PKT1_PKT2_PKS4_S4_S5_PS6_PS9_PS4_.kd
    .uniform_work_group_size: 1
    .uses_dynamic_stack: false
    .vgpr_count:     24
    .vgpr_spill_count: 0
    .wavefront_size: 64
  - .agpr_count:     0
    .args:
      - .offset:         0
        .size:           4
        .value_kind:     by_value
      - .offset:         4
        .size:           4
        .value_kind:     by_value
      - .offset:         8
        .size:           4
        .value_kind:     by_value
      - .offset:         12
        .size:           4
        .value_kind:     by_value
      - .actual_access:  read_only
        .address_space:  global
        .offset:         16
        .size:           8
        .value_kind:     global_buffer
      - .actual_access:  read_only
        .address_space:  global
        .offset:         24
        .size:           8
        .value_kind:     global_buffer
      - .actual_access:  read_only
        .address_space:  global
        .offset:         32
        .size:           8
        .value_kind:     global_buffer
      - .offset:         40
        .size:           4
        .value_kind:     by_value
      - .offset:         44
        .size:           4
        .value_kind:     by_value
      - .actual_access:  write_only
        .address_space:  global
        .offset:         48
        .size:           8
        .value_kind:     global_buffer
      - .actual_access:  write_only
        .address_space:  global
        .offset:         56
        .size:           8
        .value_kind:     global_buffer
      - .actual_access:  write_only
        .address_space:  global
        .offset:         64
        .size:           8
        .value_kind:     global_buffer
    .group_segment_fixed_size: 0
    .kernarg_segment_align: 8
    .kernarg_segment_size: 72
    .language:       OpenCL C
    .language_version:
      - 2
      - 0
    .max_flat_workgroup_size: 256
    .name:           _ZN9rocsparseL32bsr2csr_block_per_row_2_7_kernelILj256ELj3E21rocsparse_complex_numIdEiiEEv20rocsparse_direction_T3_S4_21rocsparse_index_base_PKT1_PKT2_PKS4_S4_S5_PS6_PS9_PS4_
    .private_segment_fixed_size: 0
    .sgpr_count:     20
    .sgpr_spill_count: 0
    .symbol:         _ZN9rocsparseL32bsr2csr_block_per_row_2_7_kernelILj256ELj3E21rocsparse_complex_numIdEiiEEv20rocsparse_direction_T3_S4_21rocsparse_index_base_PKT1_PKT2_PKS4_S4_S5_PS6_PS9_PS4_.kd
    .uniform_work_group_size: 1
    .uses_dynamic_stack: false
    .vgpr_count:     34
    .vgpr_spill_count: 0
    .wavefront_size: 64
  - .agpr_count:     0
    .args:
      - .offset:         0
        .size:           4
        .value_kind:     by_value
      - .offset:         4
        .size:           4
        .value_kind:     by_value
      - .offset:         8
        .size:           4
        .value_kind:     by_value
      - .offset:         12
        .size:           4
        .value_kind:     by_value
      - .actual_access:  read_only
        .address_space:  global
        .offset:         16
        .size:           8
        .value_kind:     global_buffer
      - .actual_access:  read_only
        .address_space:  global
        .offset:         24
        .size:           8
        .value_kind:     global_buffer
      - .actual_access:  read_only
        .address_space:  global
        .offset:         32
        .size:           8
        .value_kind:     global_buffer
      - .offset:         40
        .size:           4
        .value_kind:     by_value
      - .offset:         44
        .size:           4
        .value_kind:     by_value
      - .actual_access:  write_only
        .address_space:  global
        .offset:         48
        .size:           8
        .value_kind:     global_buffer
      - .actual_access:  write_only
        .address_space:  global
        .offset:         56
        .size:           8
        .value_kind:     global_buffer
      - .actual_access:  write_only
        .address_space:  global
        .offset:         64
        .size:           8
        .value_kind:     global_buffer
    .group_segment_fixed_size: 0
    .kernarg_segment_align: 8
    .kernarg_segment_size: 72
    .language:       OpenCL C
    .language_version:
      - 2
      - 0
    .max_flat_workgroup_size: 256
    .name:           _ZN9rocsparseL32bsr2csr_block_per_row_2_7_kernelILj256ELj4E21rocsparse_complex_numIdEiiEEv20rocsparse_direction_T3_S4_21rocsparse_index_base_PKT1_PKT2_PKS4_S4_S5_PS6_PS9_PS4_
    .private_segment_fixed_size: 0
    .sgpr_count:     19
    .sgpr_spill_count: 0
    .symbol:         _ZN9rocsparseL32bsr2csr_block_per_row_2_7_kernelILj256ELj4E21rocsparse_complex_numIdEiiEEv20rocsparse_direction_T3_S4_21rocsparse_index_base_PKT1_PKT2_PKS4_S4_S5_PS6_PS9_PS4_.kd
    .uniform_work_group_size: 1
    .uses_dynamic_stack: false
    .vgpr_count:     38
    .vgpr_spill_count: 0
    .wavefront_size: 64
  - .agpr_count:     0
    .args:
      - .offset:         0
        .size:           4
        .value_kind:     by_value
      - .offset:         4
        .size:           4
        .value_kind:     by_value
      - .offset:         8
        .size:           4
        .value_kind:     by_value
      - .offset:         12
        .size:           4
        .value_kind:     by_value
      - .actual_access:  read_only
        .address_space:  global
        .offset:         16
        .size:           8
        .value_kind:     global_buffer
      - .actual_access:  read_only
        .address_space:  global
        .offset:         24
        .size:           8
        .value_kind:     global_buffer
      - .actual_access:  read_only
        .address_space:  global
        .offset:         32
        .size:           8
        .value_kind:     global_buffer
      - .offset:         40
        .size:           4
        .value_kind:     by_value
      - .offset:         44
        .size:           4
        .value_kind:     by_value
      - .actual_access:  write_only
        .address_space:  global
        .offset:         48
        .size:           8
        .value_kind:     global_buffer
      - .actual_access:  write_only
        .address_space:  global
        .offset:         56
        .size:           8
        .value_kind:     global_buffer
      - .actual_access:  write_only
        .address_space:  global
        .offset:         64
        .size:           8
        .value_kind:     global_buffer
    .group_segment_fixed_size: 0
    .kernarg_segment_align: 8
    .kernarg_segment_size: 72
    .language:       OpenCL C
    .language_version:
      - 2
      - 0
    .max_flat_workgroup_size: 256
    .name:           _ZN9rocsparseL32bsr2csr_block_per_row_2_7_kernelILj256ELj5E21rocsparse_complex_numIdEiiEEv20rocsparse_direction_T3_S4_21rocsparse_index_base_PKT1_PKT2_PKS4_S4_S5_PS6_PS9_PS4_
    .private_segment_fixed_size: 0
    .sgpr_count:     20
    .sgpr_spill_count: 0
    .symbol:         _ZN9rocsparseL32bsr2csr_block_per_row_2_7_kernelILj256ELj5E21rocsparse_complex_numIdEiiEEv20rocsparse_direction_T3_S4_21rocsparse_index_base_PKT1_PKT2_PKS4_S4_S5_PS6_PS9_PS4_.kd
    .uniform_work_group_size: 1
    .uses_dynamic_stack: false
    .vgpr_count:     42
    .vgpr_spill_count: 0
    .wavefront_size: 64
  - .agpr_count:     0
    .args:
      - .offset:         0
        .size:           4
        .value_kind:     by_value
      - .offset:         4
        .size:           4
        .value_kind:     by_value
      - .offset:         8
        .size:           4
        .value_kind:     by_value
      - .offset:         12
        .size:           4
        .value_kind:     by_value
      - .actual_access:  read_only
        .address_space:  global
        .offset:         16
        .size:           8
        .value_kind:     global_buffer
      - .actual_access:  read_only
        .address_space:  global
        .offset:         24
        .size:           8
        .value_kind:     global_buffer
      - .actual_access:  read_only
        .address_space:  global
        .offset:         32
        .size:           8
        .value_kind:     global_buffer
      - .offset:         40
        .size:           4
        .value_kind:     by_value
      - .offset:         44
        .size:           4
        .value_kind:     by_value
      - .actual_access:  write_only
        .address_space:  global
        .offset:         48
        .size:           8
        .value_kind:     global_buffer
      - .actual_access:  write_only
        .address_space:  global
        .offset:         56
        .size:           8
        .value_kind:     global_buffer
      - .actual_access:  write_only
        .address_space:  global
        .offset:         64
        .size:           8
        .value_kind:     global_buffer
    .group_segment_fixed_size: 0
    .kernarg_segment_align: 8
    .kernarg_segment_size: 72
    .language:       OpenCL C
    .language_version:
      - 2
      - 0
    .max_flat_workgroup_size: 256
    .name:           _ZN9rocsparseL32bsr2csr_block_per_row_2_7_kernelILj256ELj6E21rocsparse_complex_numIdEiiEEv20rocsparse_direction_T3_S4_21rocsparse_index_base_PKT1_PKT2_PKS4_S4_S5_PS6_PS9_PS4_
    .private_segment_fixed_size: 0
    .sgpr_count:     20
    .sgpr_spill_count: 0
    .symbol:         _ZN9rocsparseL32bsr2csr_block_per_row_2_7_kernelILj256ELj6E21rocsparse_complex_numIdEiiEEv20rocsparse_direction_T3_S4_21rocsparse_index_base_PKT1_PKT2_PKS4_S4_S5_PS6_PS9_PS4_.kd
    .uniform_work_group_size: 1
    .uses_dynamic_stack: false
    .vgpr_count:     46
    .vgpr_spill_count: 0
    .wavefront_size: 64
  - .agpr_count:     0
    .args:
      - .offset:         0
        .size:           4
        .value_kind:     by_value
      - .offset:         4
        .size:           4
        .value_kind:     by_value
      - .offset:         8
        .size:           4
        .value_kind:     by_value
      - .offset:         12
        .size:           4
        .value_kind:     by_value
      - .actual_access:  read_only
        .address_space:  global
        .offset:         16
        .size:           8
        .value_kind:     global_buffer
      - .actual_access:  read_only
        .address_space:  global
        .offset:         24
        .size:           8
        .value_kind:     global_buffer
      - .actual_access:  read_only
        .address_space:  global
        .offset:         32
        .size:           8
        .value_kind:     global_buffer
      - .offset:         40
        .size:           4
        .value_kind:     by_value
      - .offset:         44
        .size:           4
        .value_kind:     by_value
      - .actual_access:  write_only
        .address_space:  global
        .offset:         48
        .size:           8
        .value_kind:     global_buffer
      - .actual_access:  write_only
        .address_space:  global
        .offset:         56
        .size:           8
        .value_kind:     global_buffer
      - .actual_access:  write_only
        .address_space:  global
        .offset:         64
        .size:           8
        .value_kind:     global_buffer
    .group_segment_fixed_size: 0
    .kernarg_segment_align: 8
    .kernarg_segment_size: 72
    .language:       OpenCL C
    .language_version:
      - 2
      - 0
    .max_flat_workgroup_size: 256
    .name:           _ZN9rocsparseL32bsr2csr_block_per_row_2_7_kernelILj256ELj7E21rocsparse_complex_numIdEiiEEv20rocsparse_direction_T3_S4_21rocsparse_index_base_PKT1_PKT2_PKS4_S4_S5_PS6_PS9_PS4_
    .private_segment_fixed_size: 0
    .sgpr_count:     20
    .sgpr_spill_count: 0
    .symbol:         _ZN9rocsparseL32bsr2csr_block_per_row_2_7_kernelILj256ELj7E21rocsparse_complex_numIdEiiEEv20rocsparse_direction_T3_S4_21rocsparse_index_base_PKT1_PKT2_PKS4_S4_S5_PS6_PS9_PS4_.kd
    .uniform_work_group_size: 1
    .uses_dynamic_stack: false
    .vgpr_count:     50
    .vgpr_spill_count: 0
    .wavefront_size: 64
  - .agpr_count:     0
    .args:
      - .offset:         0
        .size:           4
        .value_kind:     by_value
      - .offset:         4
        .size:           4
        .value_kind:     by_value
      - .offset:         8
        .size:           4
        .value_kind:     by_value
      - .offset:         12
        .size:           4
        .value_kind:     by_value
      - .actual_access:  read_only
        .address_space:  global
        .offset:         16
        .size:           8
        .value_kind:     global_buffer
      - .actual_access:  read_only
        .address_space:  global
        .offset:         24
        .size:           8
        .value_kind:     global_buffer
      - .actual_access:  read_only
        .address_space:  global
        .offset:         32
        .size:           8
        .value_kind:     global_buffer
      - .offset:         40
        .size:           4
        .value_kind:     by_value
      - .offset:         44
        .size:           4
        .value_kind:     by_value
      - .actual_access:  write_only
        .address_space:  global
        .offset:         48
        .size:           8
        .value_kind:     global_buffer
      - .actual_access:  write_only
        .address_space:  global
        .offset:         56
        .size:           8
        .value_kind:     global_buffer
      - .actual_access:  write_only
        .address_space:  global
        .offset:         64
        .size:           8
        .value_kind:     global_buffer
    .group_segment_fixed_size: 0
    .kernarg_segment_align: 8
    .kernarg_segment_size: 72
    .language:       OpenCL C
    .language_version:
      - 2
      - 0
    .max_flat_workgroup_size: 1024
    .name:           _ZN9rocsparseL33bsr2csr_block_per_row_8_32_kernelILj1024ELj8E21rocsparse_complex_numIdEiiEEv20rocsparse_direction_T3_S4_21rocsparse_index_base_PKT1_PKT2_PKS4_S4_S5_PS6_PS9_PS4_
    .private_segment_fixed_size: 0
    .sgpr_count:     22
    .sgpr_spill_count: 0
    .symbol:         _ZN9rocsparseL33bsr2csr_block_per_row_8_32_kernelILj1024ELj8E21rocsparse_complex_numIdEiiEEv20rocsparse_direction_T3_S4_21rocsparse_index_base_PKT1_PKT2_PKS4_S4_S5_PS6_PS9_PS4_.kd
    .uniform_work_group_size: 1
    .uses_dynamic_stack: false
    .vgpr_count:     20
    .vgpr_spill_count: 0
    .wavefront_size: 64
  - .agpr_count:     0
    .args:
      - .offset:         0
        .size:           4
        .value_kind:     by_value
      - .offset:         4
        .size:           4
        .value_kind:     by_value
      - .offset:         8
        .size:           4
        .value_kind:     by_value
      - .offset:         12
        .size:           4
        .value_kind:     by_value
      - .actual_access:  read_only
        .address_space:  global
        .offset:         16
        .size:           8
        .value_kind:     global_buffer
      - .actual_access:  read_only
        .address_space:  global
        .offset:         24
        .size:           8
        .value_kind:     global_buffer
      - .actual_access:  read_only
        .address_space:  global
        .offset:         32
        .size:           8
        .value_kind:     global_buffer
      - .offset:         40
        .size:           4
        .value_kind:     by_value
      - .offset:         44
        .size:           4
        .value_kind:     by_value
      - .actual_access:  write_only
        .address_space:  global
        .offset:         48
        .size:           8
        .value_kind:     global_buffer
      - .actual_access:  write_only
        .address_space:  global
        .offset:         56
        .size:           8
        .value_kind:     global_buffer
      - .actual_access:  write_only
        .address_space:  global
        .offset:         64
        .size:           8
        .value_kind:     global_buffer
    .group_segment_fixed_size: 0
    .kernarg_segment_align: 8
    .kernarg_segment_size: 72
    .language:       OpenCL C
    .language_version:
      - 2
      - 0
    .max_flat_workgroup_size: 1024
    .name:           _ZN9rocsparseL33bsr2csr_block_per_row_8_32_kernelILj1024ELj16E21rocsparse_complex_numIdEiiEEv20rocsparse_direction_T3_S4_21rocsparse_index_base_PKT1_PKT2_PKS4_S4_S5_PS6_PS9_PS4_
    .private_segment_fixed_size: 0
    .sgpr_count:     22
    .sgpr_spill_count: 0
    .symbol:         _ZN9rocsparseL33bsr2csr_block_per_row_8_32_kernelILj1024ELj16E21rocsparse_complex_numIdEiiEEv20rocsparse_direction_T3_S4_21rocsparse_index_base_PKT1_PKT2_PKS4_S4_S5_PS6_PS9_PS4_.kd
    .uniform_work_group_size: 1
    .uses_dynamic_stack: false
    .vgpr_count:     20
    .vgpr_spill_count: 0
    .wavefront_size: 64
  - .agpr_count:     0
    .args:
      - .offset:         0
        .size:           4
        .value_kind:     by_value
      - .offset:         4
        .size:           4
        .value_kind:     by_value
      - .offset:         8
        .size:           4
        .value_kind:     by_value
      - .offset:         12
        .size:           4
        .value_kind:     by_value
      - .actual_access:  read_only
        .address_space:  global
        .offset:         16
        .size:           8
        .value_kind:     global_buffer
      - .actual_access:  read_only
        .address_space:  global
        .offset:         24
        .size:           8
        .value_kind:     global_buffer
      - .actual_access:  read_only
        .address_space:  global
        .offset:         32
        .size:           8
        .value_kind:     global_buffer
      - .offset:         40
        .size:           4
        .value_kind:     by_value
      - .offset:         44
        .size:           4
        .value_kind:     by_value
      - .actual_access:  write_only
        .address_space:  global
        .offset:         48
        .size:           8
        .value_kind:     global_buffer
      - .actual_access:  write_only
        .address_space:  global
        .offset:         56
        .size:           8
        .value_kind:     global_buffer
      - .actual_access:  write_only
        .address_space:  global
        .offset:         64
        .size:           8
        .value_kind:     global_buffer
    .group_segment_fixed_size: 0
    .kernarg_segment_align: 8
    .kernarg_segment_size: 72
    .language:       OpenCL C
    .language_version:
      - 2
      - 0
    .max_flat_workgroup_size: 1024
    .name:           _ZN9rocsparseL33bsr2csr_block_per_row_8_32_kernelILj1024ELj32E21rocsparse_complex_numIdEiiEEv20rocsparse_direction_T3_S4_21rocsparse_index_base_PKT1_PKT2_PKS4_S4_S5_PS6_PS9_PS4_
    .private_segment_fixed_size: 0
    .sgpr_count:     23
    .sgpr_spill_count: 0
    .symbol:         _ZN9rocsparseL33bsr2csr_block_per_row_8_32_kernelILj1024ELj32E21rocsparse_complex_numIdEiiEEv20rocsparse_direction_T3_S4_21rocsparse_index_base_PKT1_PKT2_PKS4_S4_S5_PS6_PS9_PS4_.kd
    .uniform_work_group_size: 1
    .uses_dynamic_stack: false
    .vgpr_count:     16
    .vgpr_spill_count: 0
    .wavefront_size: 64
  - .agpr_count:     0
    .args:
      - .offset:         0
        .size:           4
        .value_kind:     by_value
      - .offset:         4
        .size:           4
        .value_kind:     by_value
      - .offset:         8
        .size:           4
        .value_kind:     by_value
      - .offset:         12
        .size:           4
        .value_kind:     by_value
      - .actual_access:  read_only
        .address_space:  global
        .offset:         16
        .size:           8
        .value_kind:     global_buffer
      - .actual_access:  read_only
        .address_space:  global
        .offset:         24
        .size:           8
        .value_kind:     global_buffer
      - .actual_access:  read_only
        .address_space:  global
        .offset:         32
        .size:           8
        .value_kind:     global_buffer
      - .offset:         40
        .size:           4
        .value_kind:     by_value
      - .offset:         44
        .size:           4
        .value_kind:     by_value
      - .actual_access:  write_only
        .address_space:  global
        .offset:         48
        .size:           8
        .value_kind:     global_buffer
      - .actual_access:  write_only
        .address_space:  global
        .offset:         56
        .size:           8
        .value_kind:     global_buffer
      - .actual_access:  write_only
        .address_space:  global
        .offset:         64
        .size:           8
        .value_kind:     global_buffer
    .group_segment_fixed_size: 0
    .kernarg_segment_align: 8
    .kernarg_segment_size: 72
    .language:       OpenCL C
    .language_version:
      - 2
      - 0
    .max_flat_workgroup_size: 1024
    .name:           _ZN9rocsparseL35bsr2csr_block_per_row_33_256_kernelILj1024ELj64ELj32E21rocsparse_complex_numIdEiiEEv20rocsparse_direction_T4_S4_21rocsparse_index_base_PKT2_PKT3_PKS4_S4_S5_PS6_PS9_PS4_
    .private_segment_fixed_size: 0
    .sgpr_count:     34
    .sgpr_spill_count: 0
    .symbol:         _ZN9rocsparseL35bsr2csr_block_per_row_33_256_kernelILj1024ELj64ELj32E21rocsparse_complex_numIdEiiEEv20rocsparse_direction_T4_S4_21rocsparse_index_base_PKT2_PKT3_PKS4_S4_S5_PS6_PS9_PS4_.kd
    .uniform_work_group_size: 1
    .uses_dynamic_stack: false
    .vgpr_count:     22
    .vgpr_spill_count: 0
    .wavefront_size: 64
  - .agpr_count:     0
    .args:
      - .offset:         0
        .size:           4
        .value_kind:     by_value
      - .offset:         4
        .size:           4
        .value_kind:     by_value
      - .offset:         8
        .size:           4
        .value_kind:     by_value
      - .offset:         12
        .size:           4
        .value_kind:     by_value
      - .actual_access:  read_only
        .address_space:  global
        .offset:         16
        .size:           8
        .value_kind:     global_buffer
      - .actual_access:  read_only
        .address_space:  global
        .offset:         24
        .size:           8
        .value_kind:     global_buffer
      - .actual_access:  read_only
        .address_space:  global
        .offset:         32
        .size:           8
        .value_kind:     global_buffer
      - .offset:         40
        .size:           4
        .value_kind:     by_value
      - .offset:         44
        .size:           4
        .value_kind:     by_value
      - .actual_access:  write_only
        .address_space:  global
        .offset:         48
        .size:           8
        .value_kind:     global_buffer
      - .actual_access:  write_only
        .address_space:  global
        .offset:         56
        .size:           8
        .value_kind:     global_buffer
      - .actual_access:  write_only
        .address_space:  global
        .offset:         64
        .size:           8
        .value_kind:     global_buffer
    .group_segment_fixed_size: 0
    .kernarg_segment_align: 8
    .kernarg_segment_size: 72
    .language:       OpenCL C
    .language_version:
      - 2
      - 0
    .max_flat_workgroup_size: 1024
    .name:           _ZN9rocsparseL35bsr2csr_block_per_row_33_256_kernelILj1024ELj128ELj32E21rocsparse_complex_numIdEiiEEv20rocsparse_direction_T4_S4_21rocsparse_index_base_PKT2_PKT3_PKS4_S4_S5_PS6_PS9_PS4_
    .private_segment_fixed_size: 0
    .sgpr_count:     60
    .sgpr_spill_count: 0
    .symbol:         _ZN9rocsparseL35bsr2csr_block_per_row_33_256_kernelILj1024ELj128ELj32E21rocsparse_complex_numIdEiiEEv20rocsparse_direction_T4_S4_21rocsparse_index_base_PKT2_PKT3_PKS4_S4_S5_PS6_PS9_PS4_.kd
    .uniform_work_group_size: 1
    .uses_dynamic_stack: false
    .vgpr_count:     34
    .vgpr_spill_count: 0
    .wavefront_size: 64
  - .agpr_count:     0
    .args:
      - .offset:         0
        .size:           4
        .value_kind:     by_value
      - .offset:         4
        .size:           4
        .value_kind:     by_value
      - .offset:         8
        .size:           4
        .value_kind:     by_value
      - .offset:         12
        .size:           4
        .value_kind:     by_value
      - .actual_access:  read_only
        .address_space:  global
        .offset:         16
        .size:           8
        .value_kind:     global_buffer
      - .actual_access:  read_only
        .address_space:  global
        .offset:         24
        .size:           8
        .value_kind:     global_buffer
      - .actual_access:  read_only
        .address_space:  global
        .offset:         32
        .size:           8
        .value_kind:     global_buffer
      - .offset:         40
        .size:           4
        .value_kind:     by_value
      - .offset:         44
        .size:           4
        .value_kind:     by_value
      - .actual_access:  write_only
        .address_space:  global
        .offset:         48
        .size:           8
        .value_kind:     global_buffer
      - .actual_access:  write_only
        .address_space:  global
        .offset:         56
        .size:           8
        .value_kind:     global_buffer
      - .actual_access:  write_only
        .address_space:  global
        .offset:         64
        .size:           8
        .value_kind:     global_buffer
    .group_segment_fixed_size: 0
    .kernarg_segment_align: 8
    .kernarg_segment_size: 72
    .language:       OpenCL C
    .language_version:
      - 2
      - 0
    .max_flat_workgroup_size: 1024
    .name:           _ZN9rocsparseL35bsr2csr_block_per_row_33_256_kernelILj1024ELj256ELj32E21rocsparse_complex_numIdEiiEEv20rocsparse_direction_T4_S4_21rocsparse_index_base_PKT2_PKT3_PKS4_S4_S5_PS6_PS9_PS4_
    .private_segment_fixed_size: 0
    .sgpr_count:     100
    .sgpr_spill_count: 57
    .symbol:         _ZN9rocsparseL35bsr2csr_block_per_row_33_256_kernelILj1024ELj256ELj32E21rocsparse_complex_numIdEiiEEv20rocsparse_direction_T4_S4_21rocsparse_index_base_PKT2_PKT3_PKS4_S4_S5_PS6_PS9_PS4_.kd
    .uniform_work_group_size: 1
    .uses_dynamic_stack: false
    .vgpr_count:     60
    .vgpr_spill_count: 0
    .wavefront_size: 64
  - .agpr_count:     0
    .args:
      - .offset:         0
        .size:           4
        .value_kind:     by_value
      - .offset:         4
        .size:           4
        .value_kind:     by_value
      - .offset:         8
        .size:           4
        .value_kind:     by_value
      - .actual_access:  read_only
        .address_space:  global
        .offset:         16
        .size:           8
        .value_kind:     global_buffer
      - .actual_access:  read_only
        .address_space:  global
        .offset:         24
        .size:           8
        .value_kind:     global_buffer
      - .actual_access:  read_only
        .address_space:  global
        .offset:         32
        .size:           8
        .value_kind:     global_buffer
      - .offset:         40
        .size:           4
        .value_kind:     by_value
      - .actual_access:  write_only
        .address_space:  global
        .offset:         48
        .size:           8
        .value_kind:     global_buffer
      - .actual_access:  write_only
        .address_space:  global
        .offset:         56
        .size:           8
        .value_kind:     global_buffer
      - .actual_access:  write_only
        .address_space:  global
        .offset:         64
        .size:           8
        .value_kind:     global_buffer
      - .offset:         72
        .size:           4
        .value_kind:     hidden_block_count_x
      - .offset:         76
        .size:           4
        .value_kind:     hidden_block_count_y
      - .offset:         80
        .size:           4
        .value_kind:     hidden_block_count_z
      - .offset:         84
        .size:           2
        .value_kind:     hidden_group_size_x
      - .offset:         86
        .size:           2
        .value_kind:     hidden_group_size_y
      - .offset:         88
        .size:           2
        .value_kind:     hidden_group_size_z
      - .offset:         90
        .size:           2
        .value_kind:     hidden_remainder_x
      - .offset:         92
        .size:           2
        .value_kind:     hidden_remainder_y
      - .offset:         94
        .size:           2
        .value_kind:     hidden_remainder_z
      - .offset:         112
        .size:           8
        .value_kind:     hidden_global_offset_x
      - .offset:         120
        .size:           8
        .value_kind:     hidden_global_offset_y
      - .offset:         128
        .size:           8
        .value_kind:     hidden_global_offset_z
      - .offset:         136
        .size:           2
        .value_kind:     hidden_grid_dims
    .group_segment_fixed_size: 0
    .kernarg_segment_align: 8
    .kernarg_segment_size: 328
    .language:       OpenCL C
    .language_version:
      - 2
      - 0
    .max_flat_workgroup_size: 1024
    .name:           _ZN9rocsparseL35bsr2csr_block_dim_equals_one_kernelILj1024E21rocsparse_complex_numIdEliEEvT2_S3_21rocsparse_index_base_PKT0_PKT1_PKS3_S4_PS5_PS8_PS3_
    .private_segment_fixed_size: 0
    .sgpr_count:     32
    .sgpr_spill_count: 0
    .symbol:         _ZN9rocsparseL35bsr2csr_block_dim_equals_one_kernelILj1024E21rocsparse_complex_numIdEliEEvT2_S3_21rocsparse_index_base_PKT0_PKT1_PKS3_S4_PS5_PS8_PS3_.kd
    .uniform_work_group_size: 1
    .uses_dynamic_stack: false
    .vgpr_count:     19
    .vgpr_spill_count: 0
    .wavefront_size: 64
  - .agpr_count:     0
    .args:
      - .offset:         0
        .size:           4
        .value_kind:     by_value
      - .offset:         4
        .size:           4
        .value_kind:     by_value
      - .offset:         8
        .size:           4
        .value_kind:     by_value
      - .offset:         12
        .size:           4
        .value_kind:     by_value
      - .actual_access:  read_only
        .address_space:  global
        .offset:         16
        .size:           8
        .value_kind:     global_buffer
      - .actual_access:  read_only
        .address_space:  global
        .offset:         24
        .size:           8
        .value_kind:     global_buffer
      - .actual_access:  read_only
        .address_space:  global
        .offset:         32
        .size:           8
        .value_kind:     global_buffer
      - .offset:         40
        .size:           4
        .value_kind:     by_value
      - .offset:         44
        .size:           4
        .value_kind:     by_value
      - .actual_access:  write_only
        .address_space:  global
        .offset:         48
        .size:           8
        .value_kind:     global_buffer
      - .actual_access:  write_only
        .address_space:  global
        .offset:         56
        .size:           8
        .value_kind:     global_buffer
      - .actual_access:  write_only
        .address_space:  global
        .offset:         64
        .size:           8
        .value_kind:     global_buffer
    .group_segment_fixed_size: 0
    .kernarg_segment_align: 8
    .kernarg_segment_size: 72
    .language:       OpenCL C
    .language_version:
      - 2
      - 0
    .max_flat_workgroup_size: 256
    .name:           _ZN9rocsparseL32bsr2csr_block_per_row_2_7_kernelILj256ELj2E21rocsparse_complex_numIdEliEEv20rocsparse_direction_T3_S4_21rocsparse_index_base_PKT1_PKT2_PKS4_S4_S5_PS6_PS9_PS4_
    .private_segment_fixed_size: 0
    .sgpr_count:     28
    .sgpr_spill_count: 0
    .symbol:         _ZN9rocsparseL32bsr2csr_block_per_row_2_7_kernelILj256ELj2E21rocsparse_complex_numIdEliEEv20rocsparse_direction_T3_S4_21rocsparse_index_base_PKT1_PKT2_PKS4_S4_S5_PS6_PS9_PS4_.kd
    .uniform_work_group_size: 1
    .uses_dynamic_stack: false
    .vgpr_count:     23
    .vgpr_spill_count: 0
    .wavefront_size: 64
  - .agpr_count:     0
    .args:
      - .offset:         0
        .size:           4
        .value_kind:     by_value
      - .offset:         4
        .size:           4
        .value_kind:     by_value
      - .offset:         8
        .size:           4
        .value_kind:     by_value
      - .offset:         12
        .size:           4
        .value_kind:     by_value
      - .actual_access:  read_only
        .address_space:  global
        .offset:         16
        .size:           8
        .value_kind:     global_buffer
      - .actual_access:  read_only
        .address_space:  global
        .offset:         24
        .size:           8
        .value_kind:     global_buffer
      - .actual_access:  read_only
        .address_space:  global
        .offset:         32
        .size:           8
        .value_kind:     global_buffer
      - .offset:         40
        .size:           4
        .value_kind:     by_value
      - .offset:         44
        .size:           4
        .value_kind:     by_value
      - .actual_access:  write_only
        .address_space:  global
        .offset:         48
        .size:           8
        .value_kind:     global_buffer
      - .actual_access:  write_only
        .address_space:  global
        .offset:         56
        .size:           8
        .value_kind:     global_buffer
      - .actual_access:  write_only
        .address_space:  global
        .offset:         64
        .size:           8
        .value_kind:     global_buffer
    .group_segment_fixed_size: 0
    .kernarg_segment_align: 8
    .kernarg_segment_size: 72
    .language:       OpenCL C
    .language_version:
      - 2
      - 0
    .max_flat_workgroup_size: 256
    .name:           _ZN9rocsparseL32bsr2csr_block_per_row_2_7_kernelILj256ELj3E21rocsparse_complex_numIdEliEEv20rocsparse_direction_T3_S4_21rocsparse_index_base_PKT1_PKT2_PKS4_S4_S5_PS6_PS9_PS4_
    .private_segment_fixed_size: 0
    .sgpr_count:     26
    .sgpr_spill_count: 0
    .symbol:         _ZN9rocsparseL32bsr2csr_block_per_row_2_7_kernelILj256ELj3E21rocsparse_complex_numIdEliEEv20rocsparse_direction_T3_S4_21rocsparse_index_base_PKT1_PKT2_PKS4_S4_S5_PS6_PS9_PS4_.kd
    .uniform_work_group_size: 1
    .uses_dynamic_stack: false
    .vgpr_count:     32
    .vgpr_spill_count: 0
    .wavefront_size: 64
  - .agpr_count:     0
    .args:
      - .offset:         0
        .size:           4
        .value_kind:     by_value
      - .offset:         4
        .size:           4
        .value_kind:     by_value
      - .offset:         8
        .size:           4
        .value_kind:     by_value
      - .offset:         12
        .size:           4
        .value_kind:     by_value
      - .actual_access:  read_only
        .address_space:  global
        .offset:         16
        .size:           8
        .value_kind:     global_buffer
      - .actual_access:  read_only
        .address_space:  global
        .offset:         24
        .size:           8
        .value_kind:     global_buffer
      - .actual_access:  read_only
        .address_space:  global
        .offset:         32
        .size:           8
        .value_kind:     global_buffer
      - .offset:         40
        .size:           4
        .value_kind:     by_value
      - .offset:         44
        .size:           4
        .value_kind:     by_value
      - .actual_access:  write_only
        .address_space:  global
        .offset:         48
        .size:           8
        .value_kind:     global_buffer
      - .actual_access:  write_only
        .address_space:  global
        .offset:         56
        .size:           8
        .value_kind:     global_buffer
      - .actual_access:  write_only
        .address_space:  global
        .offset:         64
        .size:           8
        .value_kind:     global_buffer
    .group_segment_fixed_size: 0
    .kernarg_segment_align: 8
    .kernarg_segment_size: 72
    .language:       OpenCL C
    .language_version:
      - 2
      - 0
    .max_flat_workgroup_size: 256
    .name:           _ZN9rocsparseL32bsr2csr_block_per_row_2_7_kernelILj256ELj4E21rocsparse_complex_numIdEliEEv20rocsparse_direction_T3_S4_21rocsparse_index_base_PKT1_PKT2_PKS4_S4_S5_PS6_PS9_PS4_
    .private_segment_fixed_size: 0
    .sgpr_count:     32
    .sgpr_spill_count: 0
    .symbol:         _ZN9rocsparseL32bsr2csr_block_per_row_2_7_kernelILj256ELj4E21rocsparse_complex_numIdEliEEv20rocsparse_direction_T3_S4_21rocsparse_index_base_PKT1_PKT2_PKS4_S4_S5_PS6_PS9_PS4_.kd
    .uniform_work_group_size: 1
    .uses_dynamic_stack: false
    .vgpr_count:     28
    .vgpr_spill_count: 0
    .wavefront_size: 64
  - .agpr_count:     0
    .args:
      - .offset:         0
        .size:           4
        .value_kind:     by_value
      - .offset:         4
        .size:           4
        .value_kind:     by_value
      - .offset:         8
        .size:           4
        .value_kind:     by_value
      - .offset:         12
        .size:           4
        .value_kind:     by_value
      - .actual_access:  read_only
        .address_space:  global
        .offset:         16
        .size:           8
        .value_kind:     global_buffer
      - .actual_access:  read_only
        .address_space:  global
        .offset:         24
        .size:           8
        .value_kind:     global_buffer
      - .actual_access:  read_only
        .address_space:  global
        .offset:         32
        .size:           8
        .value_kind:     global_buffer
      - .offset:         40
        .size:           4
        .value_kind:     by_value
      - .offset:         44
        .size:           4
        .value_kind:     by_value
      - .actual_access:  write_only
        .address_space:  global
        .offset:         48
        .size:           8
        .value_kind:     global_buffer
      - .actual_access:  write_only
        .address_space:  global
        .offset:         56
        .size:           8
        .value_kind:     global_buffer
      - .actual_access:  write_only
        .address_space:  global
        .offset:         64
        .size:           8
        .value_kind:     global_buffer
    .group_segment_fixed_size: 0
    .kernarg_segment_align: 8
    .kernarg_segment_size: 72
    .language:       OpenCL C
    .language_version:
      - 2
      - 0
    .max_flat_workgroup_size: 256
    .name:           _ZN9rocsparseL32bsr2csr_block_per_row_2_7_kernelILj256ELj5E21rocsparse_complex_numIdEliEEv20rocsparse_direction_T3_S4_21rocsparse_index_base_PKT1_PKT2_PKS4_S4_S5_PS6_PS9_PS4_
    .private_segment_fixed_size: 0
    .sgpr_count:     26
    .sgpr_spill_count: 0
    .symbol:         _ZN9rocsparseL32bsr2csr_block_per_row_2_7_kernelILj256ELj5E21rocsparse_complex_numIdEliEEv20rocsparse_direction_T3_S4_21rocsparse_index_base_PKT1_PKT2_PKS4_S4_S5_PS6_PS9_PS4_.kd
    .uniform_work_group_size: 1
    .uses_dynamic_stack: false
    .vgpr_count:     44
    .vgpr_spill_count: 0
    .wavefront_size: 64
  - .agpr_count:     0
    .args:
      - .offset:         0
        .size:           4
        .value_kind:     by_value
      - .offset:         4
        .size:           4
        .value_kind:     by_value
      - .offset:         8
        .size:           4
        .value_kind:     by_value
      - .offset:         12
        .size:           4
        .value_kind:     by_value
      - .actual_access:  read_only
        .address_space:  global
        .offset:         16
        .size:           8
        .value_kind:     global_buffer
      - .actual_access:  read_only
        .address_space:  global
        .offset:         24
        .size:           8
        .value_kind:     global_buffer
      - .actual_access:  read_only
        .address_space:  global
        .offset:         32
        .size:           8
        .value_kind:     global_buffer
      - .offset:         40
        .size:           4
        .value_kind:     by_value
      - .offset:         44
        .size:           4
        .value_kind:     by_value
      - .actual_access:  write_only
        .address_space:  global
        .offset:         48
        .size:           8
        .value_kind:     global_buffer
      - .actual_access:  write_only
        .address_space:  global
        .offset:         56
        .size:           8
        .value_kind:     global_buffer
      - .actual_access:  write_only
        .address_space:  global
        .offset:         64
        .size:           8
        .value_kind:     global_buffer
    .group_segment_fixed_size: 0
    .kernarg_segment_align: 8
    .kernarg_segment_size: 72
    .language:       OpenCL C
    .language_version:
      - 2
      - 0
    .max_flat_workgroup_size: 256
    .name:           _ZN9rocsparseL32bsr2csr_block_per_row_2_7_kernelILj256ELj6E21rocsparse_complex_numIdEliEEv20rocsparse_direction_T3_S4_21rocsparse_index_base_PKT1_PKT2_PKS4_S4_S5_PS6_PS9_PS4_
    .private_segment_fixed_size: 0
    .sgpr_count:     26
    .sgpr_spill_count: 0
    .symbol:         _ZN9rocsparseL32bsr2csr_block_per_row_2_7_kernelILj256ELj6E21rocsparse_complex_numIdEliEEv20rocsparse_direction_T3_S4_21rocsparse_index_base_PKT1_PKT2_PKS4_S4_S5_PS6_PS9_PS4_.kd
    .uniform_work_group_size: 1
    .uses_dynamic_stack: false
    .vgpr_count:     50
    .vgpr_spill_count: 0
    .wavefront_size: 64
  - .agpr_count:     0
    .args:
      - .offset:         0
        .size:           4
        .value_kind:     by_value
      - .offset:         4
        .size:           4
        .value_kind:     by_value
      - .offset:         8
        .size:           4
        .value_kind:     by_value
      - .offset:         12
        .size:           4
        .value_kind:     by_value
      - .actual_access:  read_only
        .address_space:  global
        .offset:         16
        .size:           8
        .value_kind:     global_buffer
      - .actual_access:  read_only
        .address_space:  global
        .offset:         24
        .size:           8
        .value_kind:     global_buffer
      - .actual_access:  read_only
        .address_space:  global
        .offset:         32
        .size:           8
        .value_kind:     global_buffer
      - .offset:         40
        .size:           4
        .value_kind:     by_value
      - .offset:         44
        .size:           4
        .value_kind:     by_value
      - .actual_access:  write_only
        .address_space:  global
        .offset:         48
        .size:           8
        .value_kind:     global_buffer
      - .actual_access:  write_only
        .address_space:  global
        .offset:         56
        .size:           8
        .value_kind:     global_buffer
      - .actual_access:  write_only
        .address_space:  global
        .offset:         64
        .size:           8
        .value_kind:     global_buffer
    .group_segment_fixed_size: 0
    .kernarg_segment_align: 8
    .kernarg_segment_size: 72
    .language:       OpenCL C
    .language_version:
      - 2
      - 0
    .max_flat_workgroup_size: 256
    .name:           _ZN9rocsparseL32bsr2csr_block_per_row_2_7_kernelILj256ELj7E21rocsparse_complex_numIdEliEEv20rocsparse_direction_T3_S4_21rocsparse_index_base_PKT1_PKT2_PKS4_S4_S5_PS6_PS9_PS4_
    .private_segment_fixed_size: 0
    .sgpr_count:     26
    .sgpr_spill_count: 0
    .symbol:         _ZN9rocsparseL32bsr2csr_block_per_row_2_7_kernelILj256ELj7E21rocsparse_complex_numIdEliEEv20rocsparse_direction_T3_S4_21rocsparse_index_base_PKT1_PKT2_PKS4_S4_S5_PS6_PS9_PS4_.kd
    .uniform_work_group_size: 1
    .uses_dynamic_stack: false
    .vgpr_count:     56
    .vgpr_spill_count: 0
    .wavefront_size: 64
  - .agpr_count:     0
    .args:
      - .offset:         0
        .size:           4
        .value_kind:     by_value
      - .offset:         4
        .size:           4
        .value_kind:     by_value
      - .offset:         8
        .size:           4
        .value_kind:     by_value
      - .offset:         12
        .size:           4
        .value_kind:     by_value
      - .actual_access:  read_only
        .address_space:  global
        .offset:         16
        .size:           8
        .value_kind:     global_buffer
      - .actual_access:  read_only
        .address_space:  global
        .offset:         24
        .size:           8
        .value_kind:     global_buffer
      - .actual_access:  read_only
        .address_space:  global
        .offset:         32
        .size:           8
        .value_kind:     global_buffer
      - .offset:         40
        .size:           4
        .value_kind:     by_value
      - .offset:         44
        .size:           4
        .value_kind:     by_value
      - .actual_access:  write_only
        .address_space:  global
        .offset:         48
        .size:           8
        .value_kind:     global_buffer
      - .actual_access:  write_only
        .address_space:  global
        .offset:         56
        .size:           8
        .value_kind:     global_buffer
      - .actual_access:  write_only
        .address_space:  global
        .offset:         64
        .size:           8
        .value_kind:     global_buffer
    .group_segment_fixed_size: 0
    .kernarg_segment_align: 8
    .kernarg_segment_size: 72
    .language:       OpenCL C
    .language_version:
      - 2
      - 0
    .max_flat_workgroup_size: 1024
    .name:           _ZN9rocsparseL33bsr2csr_block_per_row_8_32_kernelILj1024ELj8E21rocsparse_complex_numIdEliEEv20rocsparse_direction_T3_S4_21rocsparse_index_base_PKT1_PKT2_PKS4_S4_S5_PS6_PS9_PS4_
    .private_segment_fixed_size: 0
    .sgpr_count:     28
    .sgpr_spill_count: 0
    .symbol:         _ZN9rocsparseL33bsr2csr_block_per_row_8_32_kernelILj1024ELj8E21rocsparse_complex_numIdEliEEv20rocsparse_direction_T3_S4_21rocsparse_index_base_PKT1_PKT2_PKS4_S4_S5_PS6_PS9_PS4_.kd
    .uniform_work_group_size: 1
    .uses_dynamic_stack: false
    .vgpr_count:     19
    .vgpr_spill_count: 0
    .wavefront_size: 64
  - .agpr_count:     0
    .args:
      - .offset:         0
        .size:           4
        .value_kind:     by_value
      - .offset:         4
        .size:           4
        .value_kind:     by_value
      - .offset:         8
        .size:           4
        .value_kind:     by_value
      - .offset:         12
        .size:           4
        .value_kind:     by_value
      - .actual_access:  read_only
        .address_space:  global
        .offset:         16
        .size:           8
        .value_kind:     global_buffer
      - .actual_access:  read_only
        .address_space:  global
        .offset:         24
        .size:           8
        .value_kind:     global_buffer
      - .actual_access:  read_only
        .address_space:  global
        .offset:         32
        .size:           8
        .value_kind:     global_buffer
      - .offset:         40
        .size:           4
        .value_kind:     by_value
      - .offset:         44
        .size:           4
        .value_kind:     by_value
      - .actual_access:  write_only
        .address_space:  global
        .offset:         48
        .size:           8
        .value_kind:     global_buffer
      - .actual_access:  write_only
        .address_space:  global
        .offset:         56
        .size:           8
        .value_kind:     global_buffer
      - .actual_access:  write_only
        .address_space:  global
        .offset:         64
        .size:           8
        .value_kind:     global_buffer
    .group_segment_fixed_size: 0
    .kernarg_segment_align: 8
    .kernarg_segment_size: 72
    .language:       OpenCL C
    .language_version:
      - 2
      - 0
    .max_flat_workgroup_size: 1024
    .name:           _ZN9rocsparseL33bsr2csr_block_per_row_8_32_kernelILj1024ELj16E21rocsparse_complex_numIdEliEEv20rocsparse_direction_T3_S4_21rocsparse_index_base_PKT1_PKT2_PKS4_S4_S5_PS6_PS9_PS4_
    .private_segment_fixed_size: 0
    .sgpr_count:     28
    .sgpr_spill_count: 0
    .symbol:         _ZN9rocsparseL33bsr2csr_block_per_row_8_32_kernelILj1024ELj16E21rocsparse_complex_numIdEliEEv20rocsparse_direction_T3_S4_21rocsparse_index_base_PKT1_PKT2_PKS4_S4_S5_PS6_PS9_PS4_.kd
    .uniform_work_group_size: 1
    .uses_dynamic_stack: false
    .vgpr_count:     19
    .vgpr_spill_count: 0
    .wavefront_size: 64
  - .agpr_count:     0
    .args:
      - .offset:         0
        .size:           4
        .value_kind:     by_value
      - .offset:         4
        .size:           4
        .value_kind:     by_value
      - .offset:         8
        .size:           4
        .value_kind:     by_value
      - .offset:         12
        .size:           4
        .value_kind:     by_value
      - .actual_access:  read_only
        .address_space:  global
        .offset:         16
        .size:           8
        .value_kind:     global_buffer
      - .actual_access:  read_only
        .address_space:  global
        .offset:         24
        .size:           8
        .value_kind:     global_buffer
      - .actual_access:  read_only
        .address_space:  global
        .offset:         32
        .size:           8
        .value_kind:     global_buffer
      - .offset:         40
        .size:           4
        .value_kind:     by_value
      - .offset:         44
        .size:           4
        .value_kind:     by_value
      - .actual_access:  write_only
        .address_space:  global
        .offset:         48
        .size:           8
        .value_kind:     global_buffer
      - .actual_access:  write_only
        .address_space:  global
        .offset:         56
        .size:           8
        .value_kind:     global_buffer
      - .actual_access:  write_only
        .address_space:  global
        .offset:         64
        .size:           8
        .value_kind:     global_buffer
    .group_segment_fixed_size: 0
    .kernarg_segment_align: 8
    .kernarg_segment_size: 72
    .language:       OpenCL C
    .language_version:
      - 2
      - 0
    .max_flat_workgroup_size: 1024
    .name:           _ZN9rocsparseL33bsr2csr_block_per_row_8_32_kernelILj1024ELj32E21rocsparse_complex_numIdEliEEv20rocsparse_direction_T3_S4_21rocsparse_index_base_PKT1_PKT2_PKS4_S4_S5_PS6_PS9_PS4_
    .private_segment_fixed_size: 0
    .sgpr_count:     31
    .sgpr_spill_count: 0
    .symbol:         _ZN9rocsparseL33bsr2csr_block_per_row_8_32_kernelILj1024ELj32E21rocsparse_complex_numIdEliEEv20rocsparse_direction_T3_S4_21rocsparse_index_base_PKT1_PKT2_PKS4_S4_S5_PS6_PS9_PS4_.kd
    .uniform_work_group_size: 1
    .uses_dynamic_stack: false
    .vgpr_count:     17
    .vgpr_spill_count: 0
    .wavefront_size: 64
  - .agpr_count:     0
    .args:
      - .offset:         0
        .size:           4
        .value_kind:     by_value
      - .offset:         4
        .size:           4
        .value_kind:     by_value
      - .offset:         8
        .size:           4
        .value_kind:     by_value
      - .offset:         12
        .size:           4
        .value_kind:     by_value
      - .actual_access:  read_only
        .address_space:  global
        .offset:         16
        .size:           8
        .value_kind:     global_buffer
      - .actual_access:  read_only
        .address_space:  global
        .offset:         24
        .size:           8
        .value_kind:     global_buffer
      - .actual_access:  read_only
        .address_space:  global
        .offset:         32
        .size:           8
        .value_kind:     global_buffer
      - .offset:         40
        .size:           4
        .value_kind:     by_value
      - .offset:         44
        .size:           4
        .value_kind:     by_value
      - .actual_access:  write_only
        .address_space:  global
        .offset:         48
        .size:           8
        .value_kind:     global_buffer
      - .actual_access:  write_only
        .address_space:  global
        .offset:         56
        .size:           8
        .value_kind:     global_buffer
      - .actual_access:  write_only
        .address_space:  global
        .offset:         64
        .size:           8
        .value_kind:     global_buffer
    .group_segment_fixed_size: 0
    .kernarg_segment_align: 8
    .kernarg_segment_size: 72
    .language:       OpenCL C
    .language_version:
      - 2
      - 0
    .max_flat_workgroup_size: 1024
    .name:           _ZN9rocsparseL35bsr2csr_block_per_row_33_256_kernelILj1024ELj64ELj32E21rocsparse_complex_numIdEliEEv20rocsparse_direction_T4_S4_21rocsparse_index_base_PKT2_PKT3_PKS4_S4_S5_PS6_PS9_PS4_
    .private_segment_fixed_size: 0
    .sgpr_count:     44
    .sgpr_spill_count: 0
    .symbol:         _ZN9rocsparseL35bsr2csr_block_per_row_33_256_kernelILj1024ELj64ELj32E21rocsparse_complex_numIdEliEEv20rocsparse_direction_T4_S4_21rocsparse_index_base_PKT2_PKT3_PKS4_S4_S5_PS6_PS9_PS4_.kd
    .uniform_work_group_size: 1
    .uses_dynamic_stack: false
    .vgpr_count:     28
    .vgpr_spill_count: 0
    .wavefront_size: 64
  - .agpr_count:     0
    .args:
      - .offset:         0
        .size:           4
        .value_kind:     by_value
      - .offset:         4
        .size:           4
        .value_kind:     by_value
      - .offset:         8
        .size:           4
        .value_kind:     by_value
      - .offset:         12
        .size:           4
        .value_kind:     by_value
      - .actual_access:  read_only
        .address_space:  global
        .offset:         16
        .size:           8
        .value_kind:     global_buffer
      - .actual_access:  read_only
        .address_space:  global
        .offset:         24
        .size:           8
        .value_kind:     global_buffer
      - .actual_access:  read_only
        .address_space:  global
        .offset:         32
        .size:           8
        .value_kind:     global_buffer
      - .offset:         40
        .size:           4
        .value_kind:     by_value
      - .offset:         44
        .size:           4
        .value_kind:     by_value
      - .actual_access:  write_only
        .address_space:  global
        .offset:         48
        .size:           8
        .value_kind:     global_buffer
      - .actual_access:  write_only
        .address_space:  global
        .offset:         56
        .size:           8
        .value_kind:     global_buffer
      - .actual_access:  write_only
        .address_space:  global
        .offset:         64
        .size:           8
        .value_kind:     global_buffer
    .group_segment_fixed_size: 0
    .kernarg_segment_align: 8
    .kernarg_segment_size: 72
    .language:       OpenCL C
    .language_version:
      - 2
      - 0
    .max_flat_workgroup_size: 1024
    .name:           _ZN9rocsparseL35bsr2csr_block_per_row_33_256_kernelILj1024ELj128ELj32E21rocsparse_complex_numIdEliEEv20rocsparse_direction_T4_S4_21rocsparse_index_base_PKT2_PKT3_PKS4_S4_S5_PS6_PS9_PS4_
    .private_segment_fixed_size: 0
    .sgpr_count:     68
    .sgpr_spill_count: 0
    .symbol:         _ZN9rocsparseL35bsr2csr_block_per_row_33_256_kernelILj1024ELj128ELj32E21rocsparse_complex_numIdEliEEv20rocsparse_direction_T4_S4_21rocsparse_index_base_PKT2_PKT3_PKS4_S4_S5_PS6_PS9_PS4_.kd
    .uniform_work_group_size: 1
    .uses_dynamic_stack: false
    .vgpr_count:     46
    .vgpr_spill_count: 0
    .wavefront_size: 64
  - .agpr_count:     0
    .args:
      - .offset:         0
        .size:           4
        .value_kind:     by_value
      - .offset:         4
        .size:           4
        .value_kind:     by_value
      - .offset:         8
        .size:           4
        .value_kind:     by_value
      - .offset:         12
        .size:           4
        .value_kind:     by_value
      - .actual_access:  read_only
        .address_space:  global
        .offset:         16
        .size:           8
        .value_kind:     global_buffer
      - .actual_access:  read_only
        .address_space:  global
        .offset:         24
        .size:           8
        .value_kind:     global_buffer
      - .actual_access:  read_only
        .address_space:  global
        .offset:         32
        .size:           8
        .value_kind:     global_buffer
      - .offset:         40
        .size:           4
        .value_kind:     by_value
      - .offset:         44
        .size:           4
        .value_kind:     by_value
      - .actual_access:  write_only
        .address_space:  global
        .offset:         48
        .size:           8
        .value_kind:     global_buffer
      - .actual_access:  write_only
        .address_space:  global
        .offset:         56
        .size:           8
        .value_kind:     global_buffer
      - .actual_access:  write_only
        .address_space:  global
        .offset:         64
        .size:           8
        .value_kind:     global_buffer
    .group_segment_fixed_size: 0
    .kernarg_segment_align: 8
    .kernarg_segment_size: 72
    .language:       OpenCL C
    .language_version:
      - 2
      - 0
    .max_flat_workgroup_size: 1024
    .name:           _ZN9rocsparseL35bsr2csr_block_per_row_33_256_kernelILj1024ELj256ELj32E21rocsparse_complex_numIdEliEEv20rocsparse_direction_T4_S4_21rocsparse_index_base_PKT2_PKT3_PKS4_S4_S5_PS6_PS9_PS4_
    .private_segment_fixed_size: 0
    .sgpr_count:     100
    .sgpr_spill_count: 97
    .symbol:         _ZN9rocsparseL35bsr2csr_block_per_row_33_256_kernelILj1024ELj256ELj32E21rocsparse_complex_numIdEliEEv20rocsparse_direction_T4_S4_21rocsparse_index_base_PKT2_PKT3_PKS4_S4_S5_PS6_PS9_PS4_.kd
    .uniform_work_group_size: 1
    .uses_dynamic_stack: false
    .vgpr_count:     83
    .vgpr_spill_count: 0
    .wavefront_size: 64
  - .agpr_count:     0
    .args:
      - .offset:         0
        .size:           8
        .value_kind:     by_value
      - .offset:         8
        .size:           8
        .value_kind:     by_value
      - .offset:         16
        .size:           4
        .value_kind:     by_value
      - .actual_access:  read_only
        .address_space:  global
        .offset:         24
        .size:           8
        .value_kind:     global_buffer
      - .actual_access:  read_only
        .address_space:  global
        .offset:         32
        .size:           8
        .value_kind:     global_buffer
      - .actual_access:  read_only
        .address_space:  global
        .offset:         40
        .size:           8
        .value_kind:     global_buffer
      - .offset:         48
        .size:           4
        .value_kind:     by_value
      - .actual_access:  write_only
        .address_space:  global
        .offset:         56
        .size:           8
        .value_kind:     global_buffer
      - .actual_access:  write_only
        .address_space:  global
        .offset:         64
        .size:           8
        .value_kind:     global_buffer
      - .actual_access:  write_only
        .address_space:  global
        .offset:         72
        .size:           8
        .value_kind:     global_buffer
      - .offset:         80
        .size:           4
        .value_kind:     hidden_block_count_x
      - .offset:         84
        .size:           4
        .value_kind:     hidden_block_count_y
      - .offset:         88
        .size:           4
        .value_kind:     hidden_block_count_z
      - .offset:         92
        .size:           2
        .value_kind:     hidden_group_size_x
      - .offset:         94
        .size:           2
        .value_kind:     hidden_group_size_y
      - .offset:         96
        .size:           2
        .value_kind:     hidden_group_size_z
      - .offset:         98
        .size:           2
        .value_kind:     hidden_remainder_x
      - .offset:         100
        .size:           2
        .value_kind:     hidden_remainder_y
      - .offset:         102
        .size:           2
        .value_kind:     hidden_remainder_z
      - .offset:         120
        .size:           8
        .value_kind:     hidden_global_offset_x
      - .offset:         128
        .size:           8
        .value_kind:     hidden_global_offset_y
      - .offset:         136
        .size:           8
        .value_kind:     hidden_global_offset_z
      - .offset:         144
        .size:           2
        .value_kind:     hidden_grid_dims
    .group_segment_fixed_size: 0
    .kernarg_segment_align: 8
    .kernarg_segment_size: 336
    .language:       OpenCL C
    .language_version:
      - 2
      - 0
    .max_flat_workgroup_size: 1024
    .name:           _ZN9rocsparseL35bsr2csr_block_dim_equals_one_kernelILj1024E21rocsparse_complex_numIdEilEEvT2_S3_21rocsparse_index_base_PKT0_PKT1_PKS3_S4_PS5_PS8_PS3_
    .private_segment_fixed_size: 0
    .sgpr_count:     28
    .sgpr_spill_count: 0
    .symbol:         _ZN9rocsparseL35bsr2csr_block_dim_equals_one_kernelILj1024E21rocsparse_complex_numIdEilEEvT2_S3_21rocsparse_index_base_PKT0_PKT1_PKS3_S4_PS5_PS8_PS3_.kd
    .uniform_work_group_size: 1
    .uses_dynamic_stack: false
    .vgpr_count:     24
    .vgpr_spill_count: 0
    .wavefront_size: 64
  - .agpr_count:     0
    .args:
      - .offset:         0
        .size:           4
        .value_kind:     by_value
      - .offset:         8
        .size:           8
        .value_kind:     by_value
      - .offset:         16
        .size:           8
        .value_kind:     by_value
      - .offset:         24
        .size:           4
        .value_kind:     by_value
      - .actual_access:  read_only
        .address_space:  global
        .offset:         32
        .size:           8
        .value_kind:     global_buffer
      - .actual_access:  read_only
        .address_space:  global
        .offset:         40
        .size:           8
        .value_kind:     global_buffer
      - .actual_access:  read_only
        .address_space:  global
        .offset:         48
        .size:           8
        .value_kind:     global_buffer
      - .offset:         56
        .size:           8
        .value_kind:     by_value
      - .offset:         64
        .size:           4
        .value_kind:     by_value
      - .actual_access:  write_only
        .address_space:  global
        .offset:         72
        .size:           8
        .value_kind:     global_buffer
      - .actual_access:  write_only
        .address_space:  global
        .offset:         80
        .size:           8
        .value_kind:     global_buffer
      - .actual_access:  write_only
        .address_space:  global
        .offset:         88
        .size:           8
        .value_kind:     global_buffer
    .group_segment_fixed_size: 0
    .kernarg_segment_align: 8
    .kernarg_segment_size: 96
    .language:       OpenCL C
    .language_version:
      - 2
      - 0
    .max_flat_workgroup_size: 256
    .name:           _ZN9rocsparseL32bsr2csr_block_per_row_2_7_kernelILj256ELj2E21rocsparse_complex_numIdEilEEv20rocsparse_direction_T3_S4_21rocsparse_index_base_PKT1_PKT2_PKS4_S4_S5_PS6_PS9_PS4_
    .private_segment_fixed_size: 0
    .sgpr_count:     24
    .sgpr_spill_count: 0
    .symbol:         _ZN9rocsparseL32bsr2csr_block_per_row_2_7_kernelILj256ELj2E21rocsparse_complex_numIdEilEEv20rocsparse_direction_T3_S4_21rocsparse_index_base_PKT1_PKT2_PKS4_S4_S5_PS6_PS9_PS4_.kd
    .uniform_work_group_size: 1
    .uses_dynamic_stack: false
    .vgpr_count:     34
    .vgpr_spill_count: 0
    .wavefront_size: 64
  - .agpr_count:     0
    .args:
      - .offset:         0
        .size:           4
        .value_kind:     by_value
      - .offset:         8
        .size:           8
        .value_kind:     by_value
      - .offset:         16
        .size:           8
        .value_kind:     by_value
      - .offset:         24
        .size:           4
        .value_kind:     by_value
      - .actual_access:  read_only
        .address_space:  global
        .offset:         32
        .size:           8
        .value_kind:     global_buffer
      - .actual_access:  read_only
        .address_space:  global
        .offset:         40
        .size:           8
        .value_kind:     global_buffer
      - .actual_access:  read_only
        .address_space:  global
        .offset:         48
        .size:           8
        .value_kind:     global_buffer
      - .offset:         56
        .size:           8
        .value_kind:     by_value
      - .offset:         64
        .size:           4
        .value_kind:     by_value
      - .actual_access:  write_only
        .address_space:  global
        .offset:         72
        .size:           8
        .value_kind:     global_buffer
      - .actual_access:  write_only
        .address_space:  global
        .offset:         80
        .size:           8
        .value_kind:     global_buffer
      - .actual_access:  write_only
        .address_space:  global
        .offset:         88
        .size:           8
        .value_kind:     global_buffer
    .group_segment_fixed_size: 0
    .kernarg_segment_align: 8
    .kernarg_segment_size: 96
    .language:       OpenCL C
    .language_version:
      - 2
      - 0
    .max_flat_workgroup_size: 256
    .name:           _ZN9rocsparseL32bsr2csr_block_per_row_2_7_kernelILj256ELj3E21rocsparse_complex_numIdEilEEv20rocsparse_direction_T3_S4_21rocsparse_index_base_PKT1_PKT2_PKS4_S4_S5_PS6_PS9_PS4_
    .private_segment_fixed_size: 0
    .sgpr_count:     22
    .sgpr_spill_count: 0
    .symbol:         _ZN9rocsparseL32bsr2csr_block_per_row_2_7_kernelILj256ELj3E21rocsparse_complex_numIdEilEEv20rocsparse_direction_T3_S4_21rocsparse_index_base_PKT1_PKT2_PKS4_S4_S5_PS6_PS9_PS4_.kd
    .uniform_work_group_size: 1
    .uses_dynamic_stack: false
    .vgpr_count:     32
    .vgpr_spill_count: 0
    .wavefront_size: 64
  - .agpr_count:     0
    .args:
      - .offset:         0
        .size:           4
        .value_kind:     by_value
      - .offset:         8
        .size:           8
        .value_kind:     by_value
      - .offset:         16
        .size:           8
        .value_kind:     by_value
      - .offset:         24
        .size:           4
        .value_kind:     by_value
      - .actual_access:  read_only
        .address_space:  global
        .offset:         32
        .size:           8
        .value_kind:     global_buffer
      - .actual_access:  read_only
        .address_space:  global
        .offset:         40
        .size:           8
        .value_kind:     global_buffer
      - .actual_access:  read_only
        .address_space:  global
        .offset:         48
        .size:           8
        .value_kind:     global_buffer
      - .offset:         56
        .size:           8
        .value_kind:     by_value
      - .offset:         64
        .size:           4
        .value_kind:     by_value
      - .actual_access:  write_only
        .address_space:  global
        .offset:         72
        .size:           8
        .value_kind:     global_buffer
      - .actual_access:  write_only
        .address_space:  global
        .offset:         80
        .size:           8
        .value_kind:     global_buffer
      - .actual_access:  write_only
        .address_space:  global
        .offset:         88
        .size:           8
        .value_kind:     global_buffer
    .group_segment_fixed_size: 0
    .kernarg_segment_align: 8
    .kernarg_segment_size: 96
    .language:       OpenCL C
    .language_version:
      - 2
      - 0
    .max_flat_workgroup_size: 256
    .name:           _ZN9rocsparseL32bsr2csr_block_per_row_2_7_kernelILj256ELj4E21rocsparse_complex_numIdEilEEv20rocsparse_direction_T3_S4_21rocsparse_index_base_PKT1_PKT2_PKS4_S4_S5_PS6_PS9_PS4_
    .private_segment_fixed_size: 0
    .sgpr_count:     21
    .sgpr_spill_count: 0
    .symbol:         _ZN9rocsparseL32bsr2csr_block_per_row_2_7_kernelILj256ELj4E21rocsparse_complex_numIdEilEEv20rocsparse_direction_T3_S4_21rocsparse_index_base_PKT1_PKT2_PKS4_S4_S5_PS6_PS9_PS4_.kd
    .uniform_work_group_size: 1
    .uses_dynamic_stack: false
    .vgpr_count:     40
    .vgpr_spill_count: 0
    .wavefront_size: 64
  - .agpr_count:     0
    .args:
      - .offset:         0
        .size:           4
        .value_kind:     by_value
      - .offset:         8
        .size:           8
        .value_kind:     by_value
      - .offset:         16
        .size:           8
        .value_kind:     by_value
      - .offset:         24
        .size:           4
        .value_kind:     by_value
      - .actual_access:  read_only
        .address_space:  global
        .offset:         32
        .size:           8
        .value_kind:     global_buffer
      - .actual_access:  read_only
        .address_space:  global
        .offset:         40
        .size:           8
        .value_kind:     global_buffer
      - .actual_access:  read_only
        .address_space:  global
        .offset:         48
        .size:           8
        .value_kind:     global_buffer
      - .offset:         56
        .size:           8
        .value_kind:     by_value
      - .offset:         64
        .size:           4
        .value_kind:     by_value
      - .actual_access:  write_only
        .address_space:  global
        .offset:         72
        .size:           8
        .value_kind:     global_buffer
      - .actual_access:  write_only
        .address_space:  global
        .offset:         80
        .size:           8
        .value_kind:     global_buffer
      - .actual_access:  write_only
        .address_space:  global
        .offset:         88
        .size:           8
        .value_kind:     global_buffer
    .group_segment_fixed_size: 0
    .kernarg_segment_align: 8
    .kernarg_segment_size: 96
    .language:       OpenCL C
    .language_version:
      - 2
      - 0
    .max_flat_workgroup_size: 256
    .name:           _ZN9rocsparseL32bsr2csr_block_per_row_2_7_kernelILj256ELj5E21rocsparse_complex_numIdEilEEv20rocsparse_direction_T3_S4_21rocsparse_index_base_PKT1_PKT2_PKS4_S4_S5_PS6_PS9_PS4_
    .private_segment_fixed_size: 0
    .sgpr_count:     25
    .sgpr_spill_count: 0
    .symbol:         _ZN9rocsparseL32bsr2csr_block_per_row_2_7_kernelILj256ELj5E21rocsparse_complex_numIdEilEEv20rocsparse_direction_T3_S4_21rocsparse_index_base_PKT1_PKT2_PKS4_S4_S5_PS6_PS9_PS4_.kd
    .uniform_work_group_size: 1
    .uses_dynamic_stack: false
    .vgpr_count:     42
    .vgpr_spill_count: 0
    .wavefront_size: 64
  - .agpr_count:     0
    .args:
      - .offset:         0
        .size:           4
        .value_kind:     by_value
      - .offset:         8
        .size:           8
        .value_kind:     by_value
      - .offset:         16
        .size:           8
        .value_kind:     by_value
      - .offset:         24
        .size:           4
        .value_kind:     by_value
      - .actual_access:  read_only
        .address_space:  global
        .offset:         32
        .size:           8
        .value_kind:     global_buffer
      - .actual_access:  read_only
        .address_space:  global
        .offset:         40
        .size:           8
        .value_kind:     global_buffer
      - .actual_access:  read_only
        .address_space:  global
        .offset:         48
        .size:           8
        .value_kind:     global_buffer
      - .offset:         56
        .size:           8
        .value_kind:     by_value
      - .offset:         64
        .size:           4
        .value_kind:     by_value
      - .actual_access:  write_only
        .address_space:  global
        .offset:         72
        .size:           8
        .value_kind:     global_buffer
      - .actual_access:  write_only
        .address_space:  global
        .offset:         80
        .size:           8
        .value_kind:     global_buffer
      - .actual_access:  write_only
        .address_space:  global
        .offset:         88
        .size:           8
        .value_kind:     global_buffer
    .group_segment_fixed_size: 0
    .kernarg_segment_align: 8
    .kernarg_segment_size: 96
    .language:       OpenCL C
    .language_version:
      - 2
      - 0
    .max_flat_workgroup_size: 256
    .name:           _ZN9rocsparseL32bsr2csr_block_per_row_2_7_kernelILj256ELj6E21rocsparse_complex_numIdEilEEv20rocsparse_direction_T3_S4_21rocsparse_index_base_PKT1_PKT2_PKS4_S4_S5_PS6_PS9_PS4_
    .private_segment_fixed_size: 0
    .sgpr_count:     29
    .sgpr_spill_count: 0
    .symbol:         _ZN9rocsparseL32bsr2csr_block_per_row_2_7_kernelILj256ELj6E21rocsparse_complex_numIdEilEEv20rocsparse_direction_T3_S4_21rocsparse_index_base_PKT1_PKT2_PKS4_S4_S5_PS6_PS9_PS4_.kd
    .uniform_work_group_size: 1
    .uses_dynamic_stack: false
    .vgpr_count:     44
    .vgpr_spill_count: 0
    .wavefront_size: 64
  - .agpr_count:     0
    .args:
      - .offset:         0
        .size:           4
        .value_kind:     by_value
      - .offset:         8
        .size:           8
        .value_kind:     by_value
      - .offset:         16
        .size:           8
        .value_kind:     by_value
      - .offset:         24
        .size:           4
        .value_kind:     by_value
      - .actual_access:  read_only
        .address_space:  global
        .offset:         32
        .size:           8
        .value_kind:     global_buffer
      - .actual_access:  read_only
        .address_space:  global
        .offset:         40
        .size:           8
        .value_kind:     global_buffer
      - .actual_access:  read_only
        .address_space:  global
        .offset:         48
        .size:           8
        .value_kind:     global_buffer
      - .offset:         56
        .size:           8
        .value_kind:     by_value
      - .offset:         64
        .size:           4
        .value_kind:     by_value
      - .actual_access:  write_only
        .address_space:  global
        .offset:         72
        .size:           8
        .value_kind:     global_buffer
      - .actual_access:  write_only
        .address_space:  global
        .offset:         80
        .size:           8
        .value_kind:     global_buffer
      - .actual_access:  write_only
        .address_space:  global
        .offset:         88
        .size:           8
        .value_kind:     global_buffer
    .group_segment_fixed_size: 0
    .kernarg_segment_align: 8
    .kernarg_segment_size: 96
    .language:       OpenCL C
    .language_version:
      - 2
      - 0
    .max_flat_workgroup_size: 256
    .name:           _ZN9rocsparseL32bsr2csr_block_per_row_2_7_kernelILj256ELj7E21rocsparse_complex_numIdEilEEv20rocsparse_direction_T3_S4_21rocsparse_index_base_PKT1_PKT2_PKS4_S4_S5_PS6_PS9_PS4_
    .private_segment_fixed_size: 0
    .sgpr_count:     33
    .sgpr_spill_count: 0
    .symbol:         _ZN9rocsparseL32bsr2csr_block_per_row_2_7_kernelILj256ELj7E21rocsparse_complex_numIdEilEEv20rocsparse_direction_T3_S4_21rocsparse_index_base_PKT1_PKT2_PKS4_S4_S5_PS6_PS9_PS4_.kd
    .uniform_work_group_size: 1
    .uses_dynamic_stack: false
    .vgpr_count:     49
    .vgpr_spill_count: 0
    .wavefront_size: 64
  - .agpr_count:     0
    .args:
      - .offset:         0
        .size:           4
        .value_kind:     by_value
      - .offset:         8
        .size:           8
        .value_kind:     by_value
      - .offset:         16
        .size:           8
        .value_kind:     by_value
      - .offset:         24
        .size:           4
        .value_kind:     by_value
      - .actual_access:  read_only
        .address_space:  global
        .offset:         32
        .size:           8
        .value_kind:     global_buffer
      - .actual_access:  read_only
        .address_space:  global
        .offset:         40
        .size:           8
        .value_kind:     global_buffer
      - .actual_access:  read_only
        .address_space:  global
        .offset:         48
        .size:           8
        .value_kind:     global_buffer
      - .offset:         56
        .size:           8
        .value_kind:     by_value
      - .offset:         64
        .size:           4
        .value_kind:     by_value
      - .actual_access:  write_only
        .address_space:  global
        .offset:         72
        .size:           8
        .value_kind:     global_buffer
      - .actual_access:  write_only
        .address_space:  global
        .offset:         80
        .size:           8
        .value_kind:     global_buffer
      - .actual_access:  write_only
        .address_space:  global
        .offset:         88
        .size:           8
        .value_kind:     global_buffer
    .group_segment_fixed_size: 0
    .kernarg_segment_align: 8
    .kernarg_segment_size: 96
    .language:       OpenCL C
    .language_version:
      - 2
      - 0
    .max_flat_workgroup_size: 1024
    .name:           _ZN9rocsparseL33bsr2csr_block_per_row_8_32_kernelILj1024ELj8E21rocsparse_complex_numIdEilEEv20rocsparse_direction_T3_S4_21rocsparse_index_base_PKT1_PKT2_PKS4_S4_S5_PS6_PS9_PS4_
    .private_segment_fixed_size: 0
    .sgpr_count:     24
    .sgpr_spill_count: 0
    .symbol:         _ZN9rocsparseL33bsr2csr_block_per_row_8_32_kernelILj1024ELj8E21rocsparse_complex_numIdEilEEv20rocsparse_direction_T3_S4_21rocsparse_index_base_PKT1_PKT2_PKS4_S4_S5_PS6_PS9_PS4_.kd
    .uniform_work_group_size: 1
    .uses_dynamic_stack: false
    .vgpr_count:     22
    .vgpr_spill_count: 0
    .wavefront_size: 64
  - .agpr_count:     0
    .args:
      - .offset:         0
        .size:           4
        .value_kind:     by_value
      - .offset:         8
        .size:           8
        .value_kind:     by_value
      - .offset:         16
        .size:           8
        .value_kind:     by_value
      - .offset:         24
        .size:           4
        .value_kind:     by_value
      - .actual_access:  read_only
        .address_space:  global
        .offset:         32
        .size:           8
        .value_kind:     global_buffer
      - .actual_access:  read_only
        .address_space:  global
        .offset:         40
        .size:           8
        .value_kind:     global_buffer
      - .actual_access:  read_only
        .address_space:  global
        .offset:         48
        .size:           8
        .value_kind:     global_buffer
      - .offset:         56
        .size:           8
        .value_kind:     by_value
      - .offset:         64
        .size:           4
        .value_kind:     by_value
      - .actual_access:  write_only
        .address_space:  global
        .offset:         72
        .size:           8
        .value_kind:     global_buffer
      - .actual_access:  write_only
        .address_space:  global
        .offset:         80
        .size:           8
        .value_kind:     global_buffer
      - .actual_access:  write_only
        .address_space:  global
        .offset:         88
        .size:           8
        .value_kind:     global_buffer
    .group_segment_fixed_size: 0
    .kernarg_segment_align: 8
    .kernarg_segment_size: 96
    .language:       OpenCL C
    .language_version:
      - 2
      - 0
    .max_flat_workgroup_size: 1024
    .name:           _ZN9rocsparseL33bsr2csr_block_per_row_8_32_kernelILj1024ELj16E21rocsparse_complex_numIdEilEEv20rocsparse_direction_T3_S4_21rocsparse_index_base_PKT1_PKT2_PKS4_S4_S5_PS6_PS9_PS4_
    .private_segment_fixed_size: 0
    .sgpr_count:     24
    .sgpr_spill_count: 0
    .symbol:         _ZN9rocsparseL33bsr2csr_block_per_row_8_32_kernelILj1024ELj16E21rocsparse_complex_numIdEilEEv20rocsparse_direction_T3_S4_21rocsparse_index_base_PKT1_PKT2_PKS4_S4_S5_PS6_PS9_PS4_.kd
    .uniform_work_group_size: 1
    .uses_dynamic_stack: false
    .vgpr_count:     22
    .vgpr_spill_count: 0
    .wavefront_size: 64
  - .agpr_count:     0
    .args:
      - .offset:         0
        .size:           4
        .value_kind:     by_value
      - .offset:         8
        .size:           8
        .value_kind:     by_value
      - .offset:         16
        .size:           8
        .value_kind:     by_value
      - .offset:         24
        .size:           4
        .value_kind:     by_value
      - .actual_access:  read_only
        .address_space:  global
        .offset:         32
        .size:           8
        .value_kind:     global_buffer
      - .actual_access:  read_only
        .address_space:  global
        .offset:         40
        .size:           8
        .value_kind:     global_buffer
      - .actual_access:  read_only
        .address_space:  global
        .offset:         48
        .size:           8
        .value_kind:     global_buffer
      - .offset:         56
        .size:           8
        .value_kind:     by_value
      - .offset:         64
        .size:           4
        .value_kind:     by_value
      - .actual_access:  write_only
        .address_space:  global
        .offset:         72
        .size:           8
        .value_kind:     global_buffer
      - .actual_access:  write_only
        .address_space:  global
        .offset:         80
        .size:           8
        .value_kind:     global_buffer
      - .actual_access:  write_only
        .address_space:  global
        .offset:         88
        .size:           8
        .value_kind:     global_buffer
    .group_segment_fixed_size: 0
    .kernarg_segment_align: 8
    .kernarg_segment_size: 96
    .language:       OpenCL C
    .language_version:
      - 2
      - 0
    .max_flat_workgroup_size: 1024
    .name:           _ZN9rocsparseL33bsr2csr_block_per_row_8_32_kernelILj1024ELj32E21rocsparse_complex_numIdEilEEv20rocsparse_direction_T3_S4_21rocsparse_index_base_PKT1_PKT2_PKS4_S4_S5_PS6_PS9_PS4_
    .private_segment_fixed_size: 0
    .sgpr_count:     24
    .sgpr_spill_count: 0
    .symbol:         _ZN9rocsparseL33bsr2csr_block_per_row_8_32_kernelILj1024ELj32E21rocsparse_complex_numIdEilEEv20rocsparse_direction_T3_S4_21rocsparse_index_base_PKT1_PKT2_PKS4_S4_S5_PS6_PS9_PS4_.kd
    .uniform_work_group_size: 1
    .uses_dynamic_stack: false
    .vgpr_count:     22
    .vgpr_spill_count: 0
    .wavefront_size: 64
  - .agpr_count:     0
    .args:
      - .offset:         0
        .size:           4
        .value_kind:     by_value
      - .offset:         8
        .size:           8
        .value_kind:     by_value
      - .offset:         16
        .size:           8
        .value_kind:     by_value
      - .offset:         24
        .size:           4
        .value_kind:     by_value
      - .actual_access:  read_only
        .address_space:  global
        .offset:         32
        .size:           8
        .value_kind:     global_buffer
      - .actual_access:  read_only
        .address_space:  global
        .offset:         40
        .size:           8
        .value_kind:     global_buffer
      - .actual_access:  read_only
        .address_space:  global
        .offset:         48
        .size:           8
        .value_kind:     global_buffer
      - .offset:         56
        .size:           8
        .value_kind:     by_value
      - .offset:         64
        .size:           4
        .value_kind:     by_value
      - .actual_access:  write_only
        .address_space:  global
        .offset:         72
        .size:           8
        .value_kind:     global_buffer
      - .actual_access:  write_only
        .address_space:  global
        .offset:         80
        .size:           8
        .value_kind:     global_buffer
      - .actual_access:  write_only
        .address_space:  global
        .offset:         88
        .size:           8
        .value_kind:     global_buffer
    .group_segment_fixed_size: 0
    .kernarg_segment_align: 8
    .kernarg_segment_size: 96
    .language:       OpenCL C
    .language_version:
      - 2
      - 0
    .max_flat_workgroup_size: 1024
    .name:           _ZN9rocsparseL35bsr2csr_block_per_row_33_256_kernelILj1024ELj64ELj32E21rocsparse_complex_numIdEilEEv20rocsparse_direction_T4_S4_21rocsparse_index_base_PKT2_PKT3_PKS4_S4_S5_PS6_PS9_PS4_
    .private_segment_fixed_size: 0
    .sgpr_count:     36
    .sgpr_spill_count: 0
    .symbol:         _ZN9rocsparseL35bsr2csr_block_per_row_33_256_kernelILj1024ELj64ELj32E21rocsparse_complex_numIdEilEEv20rocsparse_direction_T4_S4_21rocsparse_index_base_PKT2_PKT3_PKS4_S4_S5_PS6_PS9_PS4_.kd
    .uniform_work_group_size: 1
    .uses_dynamic_stack: false
    .vgpr_count:     27
    .vgpr_spill_count: 0
    .wavefront_size: 64
  - .agpr_count:     0
    .args:
      - .offset:         0
        .size:           4
        .value_kind:     by_value
      - .offset:         8
        .size:           8
        .value_kind:     by_value
      - .offset:         16
        .size:           8
        .value_kind:     by_value
      - .offset:         24
        .size:           4
        .value_kind:     by_value
      - .actual_access:  read_only
        .address_space:  global
        .offset:         32
        .size:           8
        .value_kind:     global_buffer
      - .actual_access:  read_only
        .address_space:  global
        .offset:         40
        .size:           8
        .value_kind:     global_buffer
      - .actual_access:  read_only
        .address_space:  global
        .offset:         48
        .size:           8
        .value_kind:     global_buffer
      - .offset:         56
        .size:           8
        .value_kind:     by_value
      - .offset:         64
        .size:           4
        .value_kind:     by_value
      - .actual_access:  write_only
        .address_space:  global
        .offset:         72
        .size:           8
        .value_kind:     global_buffer
      - .actual_access:  write_only
        .address_space:  global
        .offset:         80
        .size:           8
        .value_kind:     global_buffer
      - .actual_access:  write_only
        .address_space:  global
        .offset:         88
        .size:           8
        .value_kind:     global_buffer
    .group_segment_fixed_size: 0
    .kernarg_segment_align: 8
    .kernarg_segment_size: 96
    .language:       OpenCL C
    .language_version:
      - 2
      - 0
    .max_flat_workgroup_size: 1024
    .name:           _ZN9rocsparseL35bsr2csr_block_per_row_33_256_kernelILj1024ELj128ELj32E21rocsparse_complex_numIdEilEEv20rocsparse_direction_T4_S4_21rocsparse_index_base_PKT2_PKT3_PKS4_S4_S5_PS6_PS9_PS4_
    .private_segment_fixed_size: 0
    .sgpr_count:     64
    .sgpr_spill_count: 0
    .symbol:         _ZN9rocsparseL35bsr2csr_block_per_row_33_256_kernelILj1024ELj128ELj32E21rocsparse_complex_numIdEilEEv20rocsparse_direction_T4_S4_21rocsparse_index_base_PKT2_PKT3_PKS4_S4_S5_PS6_PS9_PS4_.kd
    .uniform_work_group_size: 1
    .uses_dynamic_stack: false
    .vgpr_count:     44
    .vgpr_spill_count: 0
    .wavefront_size: 64
  - .agpr_count:     0
    .args:
      - .offset:         0
        .size:           4
        .value_kind:     by_value
      - .offset:         8
        .size:           8
        .value_kind:     by_value
      - .offset:         16
        .size:           8
        .value_kind:     by_value
      - .offset:         24
        .size:           4
        .value_kind:     by_value
      - .actual_access:  read_only
        .address_space:  global
        .offset:         32
        .size:           8
        .value_kind:     global_buffer
      - .actual_access:  read_only
        .address_space:  global
        .offset:         40
        .size:           8
        .value_kind:     global_buffer
      - .actual_access:  read_only
        .address_space:  global
        .offset:         48
        .size:           8
        .value_kind:     global_buffer
      - .offset:         56
        .size:           8
        .value_kind:     by_value
      - .offset:         64
        .size:           4
        .value_kind:     by_value
      - .actual_access:  write_only
        .address_space:  global
        .offset:         72
        .size:           8
        .value_kind:     global_buffer
      - .actual_access:  write_only
        .address_space:  global
        .offset:         80
        .size:           8
        .value_kind:     global_buffer
      - .actual_access:  write_only
        .address_space:  global
        .offset:         88
        .size:           8
        .value_kind:     global_buffer
    .group_segment_fixed_size: 0
    .kernarg_segment_align: 8
    .kernarg_segment_size: 96
    .language:       OpenCL C
    .language_version:
      - 2
      - 0
    .max_flat_workgroup_size: 1024
    .name:           _ZN9rocsparseL35bsr2csr_block_per_row_33_256_kernelILj1024ELj256ELj32E21rocsparse_complex_numIdEilEEv20rocsparse_direction_T4_S4_21rocsparse_index_base_PKT2_PKT3_PKS4_S4_S5_PS6_PS9_PS4_
    .private_segment_fixed_size: 0
    .sgpr_count:     100
    .sgpr_spill_count: 63
    .symbol:         _ZN9rocsparseL35bsr2csr_block_per_row_33_256_kernelILj1024ELj256ELj32E21rocsparse_complex_numIdEilEEv20rocsparse_direction_T4_S4_21rocsparse_index_base_PKT2_PKT3_PKS4_S4_S5_PS6_PS9_PS4_.kd
    .uniform_work_group_size: 1
    .uses_dynamic_stack: false
    .vgpr_count:     89
    .vgpr_spill_count: 0
    .wavefront_size: 64
  - .agpr_count:     0
    .args:
      - .offset:         0
        .size:           8
        .value_kind:     by_value
      - .offset:         8
        .size:           8
        .value_kind:     by_value
      - .offset:         16
        .size:           4
        .value_kind:     by_value
      - .actual_access:  read_only
        .address_space:  global
        .offset:         24
        .size:           8
        .value_kind:     global_buffer
      - .actual_access:  read_only
        .address_space:  global
        .offset:         32
        .size:           8
        .value_kind:     global_buffer
      - .actual_access:  read_only
        .address_space:  global
        .offset:         40
        .size:           8
        .value_kind:     global_buffer
      - .offset:         48
        .size:           4
        .value_kind:     by_value
      - .actual_access:  write_only
        .address_space:  global
        .offset:         56
        .size:           8
        .value_kind:     global_buffer
      - .actual_access:  write_only
        .address_space:  global
        .offset:         64
        .size:           8
        .value_kind:     global_buffer
      - .actual_access:  write_only
        .address_space:  global
        .offset:         72
        .size:           8
        .value_kind:     global_buffer
      - .offset:         80
        .size:           4
        .value_kind:     hidden_block_count_x
      - .offset:         84
        .size:           4
        .value_kind:     hidden_block_count_y
      - .offset:         88
        .size:           4
        .value_kind:     hidden_block_count_z
      - .offset:         92
        .size:           2
        .value_kind:     hidden_group_size_x
      - .offset:         94
        .size:           2
        .value_kind:     hidden_group_size_y
      - .offset:         96
        .size:           2
        .value_kind:     hidden_group_size_z
      - .offset:         98
        .size:           2
        .value_kind:     hidden_remainder_x
      - .offset:         100
        .size:           2
        .value_kind:     hidden_remainder_y
      - .offset:         102
        .size:           2
        .value_kind:     hidden_remainder_z
      - .offset:         120
        .size:           8
        .value_kind:     hidden_global_offset_x
      - .offset:         128
        .size:           8
        .value_kind:     hidden_global_offset_y
      - .offset:         136
        .size:           8
        .value_kind:     hidden_global_offset_z
      - .offset:         144
        .size:           2
        .value_kind:     hidden_grid_dims
    .group_segment_fixed_size: 0
    .kernarg_segment_align: 8
    .kernarg_segment_size: 336
    .language:       OpenCL C
    .language_version:
      - 2
      - 0
    .max_flat_workgroup_size: 1024
    .name:           _ZN9rocsparseL35bsr2csr_block_dim_equals_one_kernelILj1024E21rocsparse_complex_numIdEllEEvT2_S3_21rocsparse_index_base_PKT0_PKT1_PKS3_S4_PS5_PS8_PS3_
    .private_segment_fixed_size: 0
    .sgpr_count:     30
    .sgpr_spill_count: 0
    .symbol:         _ZN9rocsparseL35bsr2csr_block_dim_equals_one_kernelILj1024E21rocsparse_complex_numIdEllEEvT2_S3_21rocsparse_index_base_PKT0_PKT1_PKS3_S4_PS5_PS8_PS3_.kd
    .uniform_work_group_size: 1
    .uses_dynamic_stack: false
    .vgpr_count:     24
    .vgpr_spill_count: 0
    .wavefront_size: 64
  - .agpr_count:     0
    .args:
      - .offset:         0
        .size:           4
        .value_kind:     by_value
      - .offset:         8
        .size:           8
        .value_kind:     by_value
      - .offset:         16
        .size:           8
        .value_kind:     by_value
      - .offset:         24
        .size:           4
        .value_kind:     by_value
      - .actual_access:  read_only
        .address_space:  global
        .offset:         32
        .size:           8
        .value_kind:     global_buffer
      - .actual_access:  read_only
        .address_space:  global
        .offset:         40
        .size:           8
        .value_kind:     global_buffer
      - .actual_access:  read_only
        .address_space:  global
        .offset:         48
        .size:           8
        .value_kind:     global_buffer
      - .offset:         56
        .size:           8
        .value_kind:     by_value
      - .offset:         64
        .size:           4
        .value_kind:     by_value
      - .actual_access:  write_only
        .address_space:  global
        .offset:         72
        .size:           8
        .value_kind:     global_buffer
      - .actual_access:  write_only
        .address_space:  global
        .offset:         80
        .size:           8
        .value_kind:     global_buffer
      - .actual_access:  write_only
        .address_space:  global
        .offset:         88
        .size:           8
        .value_kind:     global_buffer
    .group_segment_fixed_size: 0
    .kernarg_segment_align: 8
    .kernarg_segment_size: 96
    .language:       OpenCL C
    .language_version:
      - 2
      - 0
    .max_flat_workgroup_size: 256
    .name:           _ZN9rocsparseL32bsr2csr_block_per_row_2_7_kernelILj256ELj2E21rocsparse_complex_numIdEllEEv20rocsparse_direction_T3_S4_21rocsparse_index_base_PKT1_PKT2_PKS4_S4_S5_PS6_PS9_PS4_
    .private_segment_fixed_size: 0
    .sgpr_count:     28
    .sgpr_spill_count: 0
    .symbol:         _ZN9rocsparseL32bsr2csr_block_per_row_2_7_kernelILj256ELj2E21rocsparse_complex_numIdEllEEv20rocsparse_direction_T3_S4_21rocsparse_index_base_PKT1_PKT2_PKS4_S4_S5_PS6_PS9_PS4_.kd
    .uniform_work_group_size: 1
    .uses_dynamic_stack: false
    .vgpr_count:     28
    .vgpr_spill_count: 0
    .wavefront_size: 64
  - .agpr_count:     0
    .args:
      - .offset:         0
        .size:           4
        .value_kind:     by_value
      - .offset:         8
        .size:           8
        .value_kind:     by_value
      - .offset:         16
        .size:           8
        .value_kind:     by_value
      - .offset:         24
        .size:           4
        .value_kind:     by_value
      - .actual_access:  read_only
        .address_space:  global
        .offset:         32
        .size:           8
        .value_kind:     global_buffer
      - .actual_access:  read_only
        .address_space:  global
        .offset:         40
        .size:           8
        .value_kind:     global_buffer
      - .actual_access:  read_only
        .address_space:  global
        .offset:         48
        .size:           8
        .value_kind:     global_buffer
      - .offset:         56
        .size:           8
        .value_kind:     by_value
      - .offset:         64
        .size:           4
        .value_kind:     by_value
      - .actual_access:  write_only
        .address_space:  global
        .offset:         72
        .size:           8
        .value_kind:     global_buffer
      - .actual_access:  write_only
        .address_space:  global
        .offset:         80
        .size:           8
        .value_kind:     global_buffer
      - .actual_access:  write_only
        .address_space:  global
        .offset:         88
        .size:           8
        .value_kind:     global_buffer
    .group_segment_fixed_size: 0
    .kernarg_segment_align: 8
    .kernarg_segment_size: 96
    .language:       OpenCL C
    .language_version:
      - 2
      - 0
    .max_flat_workgroup_size: 256
    .name:           _ZN9rocsparseL32bsr2csr_block_per_row_2_7_kernelILj256ELj3E21rocsparse_complex_numIdEllEEv20rocsparse_direction_T3_S4_21rocsparse_index_base_PKT1_PKT2_PKS4_S4_S5_PS6_PS9_PS4_
    .private_segment_fixed_size: 0
    .sgpr_count:     26
    .sgpr_spill_count: 0
    .symbol:         _ZN9rocsparseL32bsr2csr_block_per_row_2_7_kernelILj256ELj3E21rocsparse_complex_numIdEllEEv20rocsparse_direction_T3_S4_21rocsparse_index_base_PKT1_PKT2_PKS4_S4_S5_PS6_PS9_PS4_.kd
    .uniform_work_group_size: 1
    .uses_dynamic_stack: false
    .vgpr_count:     32
    .vgpr_spill_count: 0
    .wavefront_size: 64
  - .agpr_count:     0
    .args:
      - .offset:         0
        .size:           4
        .value_kind:     by_value
      - .offset:         8
        .size:           8
        .value_kind:     by_value
      - .offset:         16
        .size:           8
        .value_kind:     by_value
      - .offset:         24
        .size:           4
        .value_kind:     by_value
      - .actual_access:  read_only
        .address_space:  global
        .offset:         32
        .size:           8
        .value_kind:     global_buffer
      - .actual_access:  read_only
        .address_space:  global
        .offset:         40
        .size:           8
        .value_kind:     global_buffer
      - .actual_access:  read_only
        .address_space:  global
        .offset:         48
        .size:           8
        .value_kind:     global_buffer
      - .offset:         56
        .size:           8
        .value_kind:     by_value
      - .offset:         64
        .size:           4
        .value_kind:     by_value
      - .actual_access:  write_only
        .address_space:  global
        .offset:         72
        .size:           8
        .value_kind:     global_buffer
      - .actual_access:  write_only
        .address_space:  global
        .offset:         80
        .size:           8
        .value_kind:     global_buffer
      - .actual_access:  write_only
        .address_space:  global
        .offset:         88
        .size:           8
        .value_kind:     global_buffer
    .group_segment_fixed_size: 0
    .kernarg_segment_align: 8
    .kernarg_segment_size: 96
    .language:       OpenCL C
    .language_version:
      - 2
      - 0
    .max_flat_workgroup_size: 256
    .name:           _ZN9rocsparseL32bsr2csr_block_per_row_2_7_kernelILj256ELj4E21rocsparse_complex_numIdEllEEv20rocsparse_direction_T3_S4_21rocsparse_index_base_PKT1_PKT2_PKS4_S4_S5_PS6_PS9_PS4_
    .private_segment_fixed_size: 0
    .sgpr_count:     34
    .sgpr_spill_count: 0
    .symbol:         _ZN9rocsparseL32bsr2csr_block_per_row_2_7_kernelILj256ELj4E21rocsparse_complex_numIdEllEEv20rocsparse_direction_T3_S4_21rocsparse_index_base_PKT1_PKT2_PKS4_S4_S5_PS6_PS9_PS4_.kd
    .uniform_work_group_size: 1
    .uses_dynamic_stack: false
    .vgpr_count:     30
    .vgpr_spill_count: 0
    .wavefront_size: 64
  - .agpr_count:     0
    .args:
      - .offset:         0
        .size:           4
        .value_kind:     by_value
      - .offset:         8
        .size:           8
        .value_kind:     by_value
      - .offset:         16
        .size:           8
        .value_kind:     by_value
      - .offset:         24
        .size:           4
        .value_kind:     by_value
      - .actual_access:  read_only
        .address_space:  global
        .offset:         32
        .size:           8
        .value_kind:     global_buffer
      - .actual_access:  read_only
        .address_space:  global
        .offset:         40
        .size:           8
        .value_kind:     global_buffer
      - .actual_access:  read_only
        .address_space:  global
        .offset:         48
        .size:           8
        .value_kind:     global_buffer
      - .offset:         56
        .size:           8
        .value_kind:     by_value
      - .offset:         64
        .size:           4
        .value_kind:     by_value
      - .actual_access:  write_only
        .address_space:  global
        .offset:         72
        .size:           8
        .value_kind:     global_buffer
      - .actual_access:  write_only
        .address_space:  global
        .offset:         80
        .size:           8
        .value_kind:     global_buffer
      - .actual_access:  write_only
        .address_space:  global
        .offset:         88
        .size:           8
        .value_kind:     global_buffer
    .group_segment_fixed_size: 0
    .kernarg_segment_align: 8
    .kernarg_segment_size: 96
    .language:       OpenCL C
    .language_version:
      - 2
      - 0
    .max_flat_workgroup_size: 256
    .name:           _ZN9rocsparseL32bsr2csr_block_per_row_2_7_kernelILj256ELj5E21rocsparse_complex_numIdEllEEv20rocsparse_direction_T3_S4_21rocsparse_index_base_PKT1_PKT2_PKS4_S4_S5_PS6_PS9_PS4_
    .private_segment_fixed_size: 0
    .sgpr_count:     26
    .sgpr_spill_count: 0
    .symbol:         _ZN9rocsparseL32bsr2csr_block_per_row_2_7_kernelILj256ELj5E21rocsparse_complex_numIdEllEEv20rocsparse_direction_T3_S4_21rocsparse_index_base_PKT1_PKT2_PKS4_S4_S5_PS6_PS9_PS4_.kd
    .uniform_work_group_size: 1
    .uses_dynamic_stack: false
    .vgpr_count:     44
    .vgpr_spill_count: 0
    .wavefront_size: 64
  - .agpr_count:     0
    .args:
      - .offset:         0
        .size:           4
        .value_kind:     by_value
      - .offset:         8
        .size:           8
        .value_kind:     by_value
      - .offset:         16
        .size:           8
        .value_kind:     by_value
      - .offset:         24
        .size:           4
        .value_kind:     by_value
      - .actual_access:  read_only
        .address_space:  global
        .offset:         32
        .size:           8
        .value_kind:     global_buffer
      - .actual_access:  read_only
        .address_space:  global
        .offset:         40
        .size:           8
        .value_kind:     global_buffer
      - .actual_access:  read_only
        .address_space:  global
        .offset:         48
        .size:           8
        .value_kind:     global_buffer
      - .offset:         56
        .size:           8
        .value_kind:     by_value
      - .offset:         64
        .size:           4
        .value_kind:     by_value
      - .actual_access:  write_only
        .address_space:  global
        .offset:         72
        .size:           8
        .value_kind:     global_buffer
      - .actual_access:  write_only
        .address_space:  global
        .offset:         80
        .size:           8
        .value_kind:     global_buffer
      - .actual_access:  write_only
        .address_space:  global
        .offset:         88
        .size:           8
        .value_kind:     global_buffer
    .group_segment_fixed_size: 0
    .kernarg_segment_align: 8
    .kernarg_segment_size: 96
    .language:       OpenCL C
    .language_version:
      - 2
      - 0
    .max_flat_workgroup_size: 256
    .name:           _ZN9rocsparseL32bsr2csr_block_per_row_2_7_kernelILj256ELj6E21rocsparse_complex_numIdEllEEv20rocsparse_direction_T3_S4_21rocsparse_index_base_PKT1_PKT2_PKS4_S4_S5_PS6_PS9_PS4_
    .private_segment_fixed_size: 0
    .sgpr_count:     29
    .sgpr_spill_count: 0
    .symbol:         _ZN9rocsparseL32bsr2csr_block_per_row_2_7_kernelILj256ELj6E21rocsparse_complex_numIdEllEEv20rocsparse_direction_T3_S4_21rocsparse_index_base_PKT1_PKT2_PKS4_S4_S5_PS6_PS9_PS4_.kd
    .uniform_work_group_size: 1
    .uses_dynamic_stack: false
    .vgpr_count:     50
    .vgpr_spill_count: 0
    .wavefront_size: 64
  - .agpr_count:     0
    .args:
      - .offset:         0
        .size:           4
        .value_kind:     by_value
      - .offset:         8
        .size:           8
        .value_kind:     by_value
      - .offset:         16
        .size:           8
        .value_kind:     by_value
      - .offset:         24
        .size:           4
        .value_kind:     by_value
      - .actual_access:  read_only
        .address_space:  global
        .offset:         32
        .size:           8
        .value_kind:     global_buffer
      - .actual_access:  read_only
        .address_space:  global
        .offset:         40
        .size:           8
        .value_kind:     global_buffer
      - .actual_access:  read_only
        .address_space:  global
        .offset:         48
        .size:           8
        .value_kind:     global_buffer
      - .offset:         56
        .size:           8
        .value_kind:     by_value
      - .offset:         64
        .size:           4
        .value_kind:     by_value
      - .actual_access:  write_only
        .address_space:  global
        .offset:         72
        .size:           8
        .value_kind:     global_buffer
      - .actual_access:  write_only
        .address_space:  global
        .offset:         80
        .size:           8
        .value_kind:     global_buffer
      - .actual_access:  write_only
        .address_space:  global
        .offset:         88
        .size:           8
        .value_kind:     global_buffer
    .group_segment_fixed_size: 0
    .kernarg_segment_align: 8
    .kernarg_segment_size: 96
    .language:       OpenCL C
    .language_version:
      - 2
      - 0
    .max_flat_workgroup_size: 256
    .name:           _ZN9rocsparseL32bsr2csr_block_per_row_2_7_kernelILj256ELj7E21rocsparse_complex_numIdEllEEv20rocsparse_direction_T3_S4_21rocsparse_index_base_PKT1_PKT2_PKS4_S4_S5_PS6_PS9_PS4_
    .private_segment_fixed_size: 0
    .sgpr_count:     33
    .sgpr_spill_count: 0
    .symbol:         _ZN9rocsparseL32bsr2csr_block_per_row_2_7_kernelILj256ELj7E21rocsparse_complex_numIdEllEEv20rocsparse_direction_T3_S4_21rocsparse_index_base_PKT1_PKT2_PKS4_S4_S5_PS6_PS9_PS4_.kd
    .uniform_work_group_size: 1
    .uses_dynamic_stack: false
    .vgpr_count:     56
    .vgpr_spill_count: 0
    .wavefront_size: 64
  - .agpr_count:     0
    .args:
      - .offset:         0
        .size:           4
        .value_kind:     by_value
      - .offset:         8
        .size:           8
        .value_kind:     by_value
      - .offset:         16
        .size:           8
        .value_kind:     by_value
      - .offset:         24
        .size:           4
        .value_kind:     by_value
      - .actual_access:  read_only
        .address_space:  global
        .offset:         32
        .size:           8
        .value_kind:     global_buffer
      - .actual_access:  read_only
        .address_space:  global
        .offset:         40
        .size:           8
        .value_kind:     global_buffer
      - .actual_access:  read_only
        .address_space:  global
        .offset:         48
        .size:           8
        .value_kind:     global_buffer
      - .offset:         56
        .size:           8
        .value_kind:     by_value
      - .offset:         64
        .size:           4
        .value_kind:     by_value
      - .actual_access:  write_only
        .address_space:  global
        .offset:         72
        .size:           8
        .value_kind:     global_buffer
      - .actual_access:  write_only
        .address_space:  global
        .offset:         80
        .size:           8
        .value_kind:     global_buffer
      - .actual_access:  write_only
        .address_space:  global
        .offset:         88
        .size:           8
        .value_kind:     global_buffer
    .group_segment_fixed_size: 0
    .kernarg_segment_align: 8
    .kernarg_segment_size: 96
    .language:       OpenCL C
    .language_version:
      - 2
      - 0
    .max_flat_workgroup_size: 1024
    .name:           _ZN9rocsparseL33bsr2csr_block_per_row_8_32_kernelILj1024ELj8E21rocsparse_complex_numIdEllEEv20rocsparse_direction_T3_S4_21rocsparse_index_base_PKT1_PKT2_PKS4_S4_S5_PS6_PS9_PS4_
    .private_segment_fixed_size: 0
    .sgpr_count:     29
    .sgpr_spill_count: 0
    .symbol:         _ZN9rocsparseL33bsr2csr_block_per_row_8_32_kernelILj1024ELj8E21rocsparse_complex_numIdEllEEv20rocsparse_direction_T3_S4_21rocsparse_index_base_PKT1_PKT2_PKS4_S4_S5_PS6_PS9_PS4_.kd
    .uniform_work_group_size: 1
    .uses_dynamic_stack: false
    .vgpr_count:     22
    .vgpr_spill_count: 0
    .wavefront_size: 64
  - .agpr_count:     0
    .args:
      - .offset:         0
        .size:           4
        .value_kind:     by_value
      - .offset:         8
        .size:           8
        .value_kind:     by_value
      - .offset:         16
        .size:           8
        .value_kind:     by_value
      - .offset:         24
        .size:           4
        .value_kind:     by_value
      - .actual_access:  read_only
        .address_space:  global
        .offset:         32
        .size:           8
        .value_kind:     global_buffer
      - .actual_access:  read_only
        .address_space:  global
        .offset:         40
        .size:           8
        .value_kind:     global_buffer
      - .actual_access:  read_only
        .address_space:  global
        .offset:         48
        .size:           8
        .value_kind:     global_buffer
      - .offset:         56
        .size:           8
        .value_kind:     by_value
      - .offset:         64
        .size:           4
        .value_kind:     by_value
      - .actual_access:  write_only
        .address_space:  global
        .offset:         72
        .size:           8
        .value_kind:     global_buffer
      - .actual_access:  write_only
        .address_space:  global
        .offset:         80
        .size:           8
        .value_kind:     global_buffer
      - .actual_access:  write_only
        .address_space:  global
        .offset:         88
        .size:           8
        .value_kind:     global_buffer
    .group_segment_fixed_size: 0
    .kernarg_segment_align: 8
    .kernarg_segment_size: 96
    .language:       OpenCL C
    .language_version:
      - 2
      - 0
    .max_flat_workgroup_size: 1024
    .name:           _ZN9rocsparseL33bsr2csr_block_per_row_8_32_kernelILj1024ELj16E21rocsparse_complex_numIdEllEEv20rocsparse_direction_T3_S4_21rocsparse_index_base_PKT1_PKT2_PKS4_S4_S5_PS6_PS9_PS4_
    .private_segment_fixed_size: 0
    .sgpr_count:     29
    .sgpr_spill_count: 0
    .symbol:         _ZN9rocsparseL33bsr2csr_block_per_row_8_32_kernelILj1024ELj16E21rocsparse_complex_numIdEllEEv20rocsparse_direction_T3_S4_21rocsparse_index_base_PKT1_PKT2_PKS4_S4_S5_PS6_PS9_PS4_.kd
    .uniform_work_group_size: 1
    .uses_dynamic_stack: false
    .vgpr_count:     22
    .vgpr_spill_count: 0
    .wavefront_size: 64
  - .agpr_count:     0
    .args:
      - .offset:         0
        .size:           4
        .value_kind:     by_value
      - .offset:         8
        .size:           8
        .value_kind:     by_value
      - .offset:         16
        .size:           8
        .value_kind:     by_value
      - .offset:         24
        .size:           4
        .value_kind:     by_value
      - .actual_access:  read_only
        .address_space:  global
        .offset:         32
        .size:           8
        .value_kind:     global_buffer
      - .actual_access:  read_only
        .address_space:  global
        .offset:         40
        .size:           8
        .value_kind:     global_buffer
      - .actual_access:  read_only
        .address_space:  global
        .offset:         48
        .size:           8
        .value_kind:     global_buffer
      - .offset:         56
        .size:           8
        .value_kind:     by_value
      - .offset:         64
        .size:           4
        .value_kind:     by_value
      - .actual_access:  write_only
        .address_space:  global
        .offset:         72
        .size:           8
        .value_kind:     global_buffer
      - .actual_access:  write_only
        .address_space:  global
        .offset:         80
        .size:           8
        .value_kind:     global_buffer
      - .actual_access:  write_only
        .address_space:  global
        .offset:         88
        .size:           8
        .value_kind:     global_buffer
    .group_segment_fixed_size: 0
    .kernarg_segment_align: 8
    .kernarg_segment_size: 96
    .language:       OpenCL C
    .language_version:
      - 2
      - 0
    .max_flat_workgroup_size: 1024
    .name:           _ZN9rocsparseL33bsr2csr_block_per_row_8_32_kernelILj1024ELj32E21rocsparse_complex_numIdEllEEv20rocsparse_direction_T3_S4_21rocsparse_index_base_PKT1_PKT2_PKS4_S4_S5_PS6_PS9_PS4_
    .private_segment_fixed_size: 0
    .sgpr_count:     33
    .sgpr_spill_count: 0
    .symbol:         _ZN9rocsparseL33bsr2csr_block_per_row_8_32_kernelILj1024ELj32E21rocsparse_complex_numIdEllEEv20rocsparse_direction_T3_S4_21rocsparse_index_base_PKT1_PKT2_PKS4_S4_S5_PS6_PS9_PS4_.kd
    .uniform_work_group_size: 1
    .uses_dynamic_stack: false
    .vgpr_count:     20
    .vgpr_spill_count: 0
    .wavefront_size: 64
  - .agpr_count:     0
    .args:
      - .offset:         0
        .size:           4
        .value_kind:     by_value
      - .offset:         8
        .size:           8
        .value_kind:     by_value
      - .offset:         16
        .size:           8
        .value_kind:     by_value
      - .offset:         24
        .size:           4
        .value_kind:     by_value
      - .actual_access:  read_only
        .address_space:  global
        .offset:         32
        .size:           8
        .value_kind:     global_buffer
      - .actual_access:  read_only
        .address_space:  global
        .offset:         40
        .size:           8
        .value_kind:     global_buffer
      - .actual_access:  read_only
        .address_space:  global
        .offset:         48
        .size:           8
        .value_kind:     global_buffer
      - .offset:         56
        .size:           8
        .value_kind:     by_value
      - .offset:         64
        .size:           4
        .value_kind:     by_value
      - .actual_access:  write_only
        .address_space:  global
        .offset:         72
        .size:           8
        .value_kind:     global_buffer
      - .actual_access:  write_only
        .address_space:  global
        .offset:         80
        .size:           8
        .value_kind:     global_buffer
      - .actual_access:  write_only
        .address_space:  global
        .offset:         88
        .size:           8
        .value_kind:     global_buffer
    .group_segment_fixed_size: 0
    .kernarg_segment_align: 8
    .kernarg_segment_size: 96
    .language:       OpenCL C
    .language_version:
      - 2
      - 0
    .max_flat_workgroup_size: 1024
    .name:           _ZN9rocsparseL35bsr2csr_block_per_row_33_256_kernelILj1024ELj64ELj32E21rocsparse_complex_numIdEllEEv20rocsparse_direction_T4_S4_21rocsparse_index_base_PKT2_PKT3_PKS4_S4_S5_PS6_PS9_PS4_
    .private_segment_fixed_size: 0
    .sgpr_count:     46
    .sgpr_spill_count: 0
    .symbol:         _ZN9rocsparseL35bsr2csr_block_per_row_33_256_kernelILj1024ELj64ELj32E21rocsparse_complex_numIdEllEEv20rocsparse_direction_T4_S4_21rocsparse_index_base_PKT2_PKT3_PKS4_S4_S5_PS6_PS9_PS4_.kd
    .uniform_work_group_size: 1
    .uses_dynamic_stack: false
    .vgpr_count:     30
    .vgpr_spill_count: 0
    .wavefront_size: 64
  - .agpr_count:     0
    .args:
      - .offset:         0
        .size:           4
        .value_kind:     by_value
      - .offset:         8
        .size:           8
        .value_kind:     by_value
      - .offset:         16
        .size:           8
        .value_kind:     by_value
      - .offset:         24
        .size:           4
        .value_kind:     by_value
      - .actual_access:  read_only
        .address_space:  global
        .offset:         32
        .size:           8
        .value_kind:     global_buffer
      - .actual_access:  read_only
        .address_space:  global
        .offset:         40
        .size:           8
        .value_kind:     global_buffer
      - .actual_access:  read_only
        .address_space:  global
        .offset:         48
        .size:           8
        .value_kind:     global_buffer
      - .offset:         56
        .size:           8
        .value_kind:     by_value
      - .offset:         64
        .size:           4
        .value_kind:     by_value
      - .actual_access:  write_only
        .address_space:  global
        .offset:         72
        .size:           8
        .value_kind:     global_buffer
      - .actual_access:  write_only
        .address_space:  global
        .offset:         80
        .size:           8
        .value_kind:     global_buffer
      - .actual_access:  write_only
        .address_space:  global
        .offset:         88
        .size:           8
        .value_kind:     global_buffer
    .group_segment_fixed_size: 0
    .kernarg_segment_align: 8
    .kernarg_segment_size: 96
    .language:       OpenCL C
    .language_version:
      - 2
      - 0
    .max_flat_workgroup_size: 1024
    .name:           _ZN9rocsparseL35bsr2csr_block_per_row_33_256_kernelILj1024ELj128ELj32E21rocsparse_complex_numIdEllEEv20rocsparse_direction_T4_S4_21rocsparse_index_base_PKT2_PKT3_PKS4_S4_S5_PS6_PS9_PS4_
    .private_segment_fixed_size: 0
    .sgpr_count:     73
    .sgpr_spill_count: 0
    .symbol:         _ZN9rocsparseL35bsr2csr_block_per_row_33_256_kernelILj1024ELj128ELj32E21rocsparse_complex_numIdEllEEv20rocsparse_direction_T4_S4_21rocsparse_index_base_PKT2_PKT3_PKS4_S4_S5_PS6_PS9_PS4_.kd
    .uniform_work_group_size: 1
    .uses_dynamic_stack: false
    .vgpr_count:     52
    .vgpr_spill_count: 0
    .wavefront_size: 64
  - .agpr_count:     0
    .args:
      - .offset:         0
        .size:           4
        .value_kind:     by_value
      - .offset:         8
        .size:           8
        .value_kind:     by_value
      - .offset:         16
        .size:           8
        .value_kind:     by_value
      - .offset:         24
        .size:           4
        .value_kind:     by_value
      - .actual_access:  read_only
        .address_space:  global
        .offset:         32
        .size:           8
        .value_kind:     global_buffer
      - .actual_access:  read_only
        .address_space:  global
        .offset:         40
        .size:           8
        .value_kind:     global_buffer
      - .actual_access:  read_only
        .address_space:  global
        .offset:         48
        .size:           8
        .value_kind:     global_buffer
      - .offset:         56
        .size:           8
        .value_kind:     by_value
      - .offset:         64
        .size:           4
        .value_kind:     by_value
      - .actual_access:  write_only
        .address_space:  global
        .offset:         72
        .size:           8
        .value_kind:     global_buffer
      - .actual_access:  write_only
        .address_space:  global
        .offset:         80
        .size:           8
        .value_kind:     global_buffer
      - .actual_access:  write_only
        .address_space:  global
        .offset:         88
        .size:           8
        .value_kind:     global_buffer
    .group_segment_fixed_size: 0
    .kernarg_segment_align: 8
    .kernarg_segment_size: 96
    .language:       OpenCL C
    .language_version:
      - 2
      - 0
    .max_flat_workgroup_size: 1024
    .name:           _ZN9rocsparseL35bsr2csr_block_per_row_33_256_kernelILj1024ELj256ELj32E21rocsparse_complex_numIdEllEEv20rocsparse_direction_T4_S4_21rocsparse_index_base_PKT2_PKT3_PKS4_S4_S5_PS6_PS9_PS4_
    .private_segment_fixed_size: 0
    .sgpr_count:     100
    .sgpr_spill_count: 104
    .symbol:         _ZN9rocsparseL35bsr2csr_block_per_row_33_256_kernelILj1024ELj256ELj32E21rocsparse_complex_numIdEllEEv20rocsparse_direction_T4_S4_21rocsparse_index_base_PKT2_PKT3_PKS4_S4_S5_PS6_PS9_PS4_.kd
    .uniform_work_group_size: 1
    .uses_dynamic_stack: false
    .vgpr_count:     79
    .vgpr_spill_count: 0
    .wavefront_size: 64
amdhsa.target:   amdgcn-amd-amdhsa--gfx90a
amdhsa.version:
  - 1
  - 2
...

	.end_amdgpu_metadata
